;; amdgpu-corpus repo=ggml-org/llama.cpp kind=compiled arch=gfx90a opt=O3
	.text
	.amdgcn_target "amdgcn-amd-amdhsa--gfx90a"
	.amdhsa_code_object_version 6
	.section	.text._ZL15flash_attn_tileILi64ELi64ELi8ELi8ELb0EEvPKcS1_S1_S1_S1_PKiPfP15HIP_vector_typeIfLj2EEffffjfiS5_IjLj3EEiiiiiiiiiiiliiliiiiil,"axG",@progbits,_ZL15flash_attn_tileILi64ELi64ELi8ELi8ELb0EEvPKcS1_S1_S1_S1_PKiPfP15HIP_vector_typeIfLj2EEffffjfiS5_IjLj3EEiiiiiiiiiiiliiliiiiil,comdat
	.globl	_ZL15flash_attn_tileILi64ELi64ELi8ELi8ELb0EEvPKcS1_S1_S1_S1_PKiPfP15HIP_vector_typeIfLj2EEffffjfiS5_IjLj3EEiiiiiiiiiiiliiliiiiil ; -- Begin function _ZL15flash_attn_tileILi64ELi64ELi8ELi8ELb0EEvPKcS1_S1_S1_S1_PKiPfP15HIP_vector_typeIfLj2EEffffjfiS5_IjLj3EEiiiiiiiiiiiliiliiiiil
	.p2align	8
	.type	_ZL15flash_attn_tileILi64ELi64ELi8ELi8ELb0EEvPKcS1_S1_S1_S1_PKiPfP15HIP_vector_typeIfLj2EEffffjfiS5_IjLj3EEiiiiiiiiiiiliiliiiiil,@function
_ZL15flash_attn_tileILi64ELi64ELi8ELi8ELb0EEvPKcS1_S1_S1_S1_PKiPfP15HIP_vector_typeIfLj2EEffffjfiS5_IjLj3EEiiiiiiiiiiiliiliiiiil: ; @_ZL15flash_attn_tileILi64ELi64ELi8ELi8ELb0EEvPKcS1_S1_S1_S1_PKiPfP15HIP_vector_typeIfLj2EEffffjfiS5_IjLj3EEiiiiiiiiiiiliiliiiiil
; %bb.0:
	s_load_dwordx4 s[80:83], s[4:5], 0x5c
	s_load_dwordx2 s[86:87], s[4:5], 0x80
	s_load_dwordx16 s[64:79], s[4:5], 0x0
	s_mov_b64 s[88:89], 0
	s_waitcnt lgkmcnt(0)
	s_ashr_i32 s0, s83, 31
	s_lshr_b32 s0, s0, 29
	s_add_i32 s0, s83, s0
	s_ashr_i32 s0, s0, 3
	v_cvt_f32_u32_e32 v1, s0
	s_sub_i32 s1, 0, s0
	v_rcp_iflag_f32_e32 v1, v1
	v_mul_f32_e32 v1, 0x4f7ffffe, v1
	v_cvt_u32_f32_e32 v1, v1
	v_readfirstlane_b32 s2, v1
	s_mul_i32 s1, s1, s2
	s_mul_hi_u32 s1, s2, s1
	s_add_i32 s2, s2, s1
	s_mul_hi_u32 s1, s8, s2
	s_mul_i32 s2, s1, s0
	s_sub_i32 s2, s8, s2
	s_add_i32 s3, s1, 1
	s_sub_i32 s9, s2, s0
	s_cmp_ge_u32 s2, s0
	s_cselect_b32 s1, s3, s1
	s_cselect_b32 s2, s9, s2
	s_add_i32 s3, s1, 1
	s_cmp_ge_u32 s2, s0
	s_cselect_b32 s33, s3, s1
	s_abs_i32 s0, s87
	v_cvt_f32_u32_e32 v1, s0
	s_lshl_b32 s1, s8, 3
	s_mul_i32 s8, s33, s83
	s_sub_i32 s9, 0, s0
	v_rcp_iflag_f32_e32 v1, v1
	s_sub_i32 s84, s1, s8
	s_abs_i32 s3, s83
	s_xor_b32 s2, s83, s87
	v_mul_f32_e32 v1, 0x4f7ffffe, v1
	v_cvt_u32_f32_e32 v1, v1
	s_ashr_i32 s2, s2, 31
	v_readfirstlane_b32 s1, v1
	s_mul_i32 s9, s9, s1
	s_mul_hi_u32 s8, s1, s9
	s_add_i32 s1, s1, s8
	s_mul_hi_u32 s1, s3, s1
	s_mul_i32 s8, s1, s0
	s_sub_i32 s3, s3, s8
	s_add_i32 s9, s1, 1
	s_sub_i32 s8, s3, s0
	s_cmp_ge_u32 s3, s0
	s_cselect_b32 s1, s9, s1
	s_cselect_b32 s3, s8, s3
	s_add_i32 s8, s1, 1
	s_cmp_ge_u32 s3, s0
	s_cselect_b32 s0, s8, s1
	s_xor_b32 s0, s0, s2
	s_sub_i32 s11, s0, s2
	s_abs_i32 s10, s11
	v_cvt_f32_u32_e32 v1, s10
	s_load_dwordx2 s[8:9], s[4:5], 0xb8
	s_cmp_eq_u64 s[70:71], 0
	v_rcp_iflag_f32_e32 v1, v1
	v_mul_f32_e32 v1, 0x4f7ffffe, v1
	v_cvt_u32_f32_e32 v1, v1
	v_readfirstlane_b32 s12, v1
	s_cbranch_scc1 .LBB0_2
; %bb.1:
	s_waitcnt lgkmcnt(0)
	s_abs_i32 s2, s8
	v_cvt_f32_u32_e32 v1, s2
	s_sub_i32 s13, 0, s2
	s_abs_i32 s8, s33
	s_ashr_i32 s3, s33, 31
	v_rcp_iflag_f32_e32 v1, v1
	s_load_dwordx2 s[0:1], s[4:5], 0xc8
	v_mul_f32_e32 v1, 0x4f7ffffe, v1
	v_cvt_u32_f32_e32 v1, v1
	v_readfirstlane_b32 s14, v1
	s_mul_i32 s13, s13, s14
	s_mul_hi_u32 s13, s14, s13
	s_add_i32 s14, s14, s13
	s_mul_hi_u32 s13, s8, s14
	s_mul_i32 s13, s13, s2
	s_sub_i32 s8, s8, s13
	s_sub_i32 s13, s8, s2
	s_cmp_ge_u32 s8, s2
	s_cselect_b32 s8, s13, s8
	s_sub_i32 s13, s8, s2
	s_cmp_ge_u32 s8, s2
	s_cselect_b32 s2, s13, s8
	s_xor_b32 s2, s2, s3
	s_sub_i32 s2, s2, s3
	s_ashr_i32 s3, s2, 31
	s_waitcnt lgkmcnt(0)
	s_mul_i32 s1, s2, s1
	s_mul_hi_u32 s8, s2, s0
	s_add_i32 s1, s8, s1
	s_mul_i32 s3, s3, s0
	s_add_i32 s1, s1, s3
	s_mul_i32 s2, s2, s0
	s_add_u32 s88, s70, s2
	s_addc_u32 s89, s71, s1
.LBB0_2:
	s_load_dwordx4 s[0:3], s[4:5], 0x70
	v_bfe_u32 v8, v0, 10, 10
	v_lshl_add_u32 v153, s6, 3, v8
	v_mul_hi_u32 v1, s80, v153
	v_add_u32_e32 v1, v153, v1
	s_waitcnt lgkmcnt(0)
	s_mul_i32 s2, s33, s2
	s_ashr_i32 s8, s2, 31
	s_mul_i32 s3, s84, s1
	s_add_u32 s2, s64, s2
	s_addc_u32 s8, s65, s8
	s_ashr_i32 s13, s3, 31
	s_add_u32 s18, s2, s3
	v_lshrrev_b32_e32 v1, s81, v1
	s_addc_u32 s8, s8, s13
	s_ashr_i32 s3, s1, 31
	s_mov_b32 s2, s1
	v_mul_lo_u32 v1, v1, s82
	s_lshr_b64 s[14:15], s[2:3], 2
	v_sub_u32_e32 v9, v153, v1
	s_ashr_i32 s2, s0, 31
	v_mov_b32_e32 v1, s0
	v_alignbit_b32 v1, s2, v1, 2
	v_mad_u64_u32 v[2:3], s[16:17], v1, v9, 0
	v_mov_b32_e32 v4, v3
	s_lshr_b32 s0, s2, 2
	v_mad_u64_u32 v[4:5], s[16:17], s0, v9, v[4:5]
	v_mov_b32_e32 v3, v4
	v_and_b32_e32 v152, 0x3ff, v0
	v_lshlrev_b64 v[0:1], 2, v[2:3]
	v_mov_b32_e32 v2, s8
	v_add_co_u32_e32 v0, vcc, s18, v0
	v_addc_co_u32_e32 v1, vcc, v2, v1, vcc
	v_lshlrev_b32_e32 v2, 3, v152
	v_add_co_u32_e32 v0, vcc, v0, v2
	v_addc_co_u32_e32 v1, vcc, 0, v1, vcc
	s_and_b32 s0, s1, -4
	v_mov_b32_e32 v3, s3
	v_add_co_u32_e32 v2, vcc, s0, v0
	v_mov_b32_e32 v6, s1
	v_addc_co_u32_e32 v3, vcc, v1, v3, vcc
	s_lshl_b64 s[14:15], s[14:15], 3
	v_alignbit_b32 v20, s3, v6, 2
	v_mov_b32_e32 v5, s15
	v_add_co_u32_e32 v4, vcc, s14, v0
	v_mad_u64_u32 v[6:7], s[14:15], v20, 12, v[0:1]
	v_mov_b32_e32 v10, v7
	s_lshr_b32 s2, s3, 2
	s_and_b32 s1, s3, 0x3fffffff
	v_addc_co_u32_e32 v5, vcc, v1, v5, vcc
	v_mad_u64_u32 v[10:11], s[14:15], s2, 12, v[10:11]
	s_lshl_b64 s[0:1], s[0:1], 2
	v_mov_b32_e32 v7, v10
	v_mov_b32_e32 v11, s1
	v_add_co_u32_e32 v10, vcc, s0, v0
	v_addc_co_u32_e32 v11, vcc, v1, v11, vcc
	global_load_dwordx2 v[12:13], v[0:1], off
	global_load_dwordx2 v[14:15], v[2:3], off
	;; [unrolled: 1-line block ×4, first 2 shown]
	v_mad_u64_u32 v[2:3], s[0:1], v20, 20, v[0:1]
	v_mov_b32_e32 v4, v3
	v_mad_u64_u32 v[4:5], s[0:1], s2, 20, v[4:5]
	v_mov_b32_e32 v3, v4
	;; [unrolled: 2-line block ×3, first 2 shown]
	v_mad_u64_u32 v[10:11], s[0:1], s2, 24, v[10:11]
	global_load_dwordx2 v[6:7], v[6:7], off
	v_mad_u64_u32 v[0:1], s[0:1], v20, 28, v[0:1]
	v_mov_b32_e32 v5, v10
	global_load_dwordx2 v[4:5], v[4:5], off
	v_mov_b32_e32 v10, v1
	global_load_dwordx2 v[2:3], v[2:3], off
	v_mad_u64_u32 v[10:11], s[0:1], s2, 28, v[10:11]
	v_mov_b32_e32 v1, v10
	global_load_dwordx2 v[0:1], v[0:1], off
	s_load_dword s0, s[4:5], 0x40
	v_lshlrev_b32_e32 v210, 2, v152
	v_lshl_or_b32 v10, v8, 10, v210
	v_add_u32_e32 v10, 0x4400, v10
	s_cmp_eq_u64 s[74:75], 0
	s_waitcnt vmcnt(7) lgkmcnt(0)
	v_fma_mixlo_f16 v11, v12, s0, 0
	s_waitcnt vmcnt(6)
	v_fma_mixlo_f16 v12, v14, s0, 0
	v_fma_mixhi_f16 v11, v13, s0, 0
	v_fma_mixhi_f16 v12, v15, s0, 0
	ds_write2_b32 v10, v11, v12 offset1:32
	s_waitcnt vmcnt(5)
	v_fma_mixlo_f16 v11, v16, s0, 0
	v_fma_mixhi_f16 v11, v17, s0, 0
	s_waitcnt vmcnt(3)
	v_fma_mixlo_f16 v6, v6, s0, 0
	v_fma_mixhi_f16 v6, v7, s0, 0
	ds_write2_b32 v10, v11, v6 offset0:64 offset1:96
	v_fma_mixlo_f16 v6, v18, s0, 0
	v_fma_mixhi_f16 v6, v19, s0, 0
	s_waitcnt vmcnt(1)
	v_fma_mixlo_f16 v2, v2, s0, 0
	v_fma_mixhi_f16 v2, v3, s0, 0
	ds_write2_b32 v10, v6, v2 offset0:128 offset1:160
	v_fma_mixlo_f16 v2, v4, s0, 0
	s_waitcnt vmcnt(0)
	v_fma_mixlo_f16 v0, v0, s0, 0
	v_fma_mixhi_f16 v2, v5, s0, 0
	v_fma_mixhi_f16 v0, v1, s0, 0
	ds_write2_b32 v10, v2, v0 offset0:192 offset1:224
	s_waitcnt lgkmcnt(0)
	s_barrier
	s_cbranch_scc1 .LBB0_4
; %bb.3:
	s_load_dword s0, s[4:5], 0xd0
	s_mov_b32 s1, 0
	s_waitcnt lgkmcnt(0)
	s_mul_i32 s0, s0, s33
	s_add_i32 s0, s0, s6
	s_lshl_b64 s[0:1], s[0:1], 2
	s_add_u32 s0, s74, s0
	s_addc_u32 s1, s75, s1
	s_load_dword s86, s[0:1], 0x0
.LBB0_4:
	s_lshl_b32 s74, s7, 6
	s_waitcnt lgkmcnt(0)
	s_cmp_lt_i32 s74, s86
	v_mbcnt_lo_u32_b32 v10, -1, 0
	s_cbranch_scc1 .LBB0_6
; %bb.5:
	v_mbcnt_hi_u32_b32 v163, -1, v10
	v_and_b32_e32 v0, 0x60, v163
	s_mov_b32 s2, 0
	v_add_u32_e32 v211, 32, v0
	v_xor_b32_e32 v215, 16, v163
	v_xor_b32_e32 v216, 8, v163
	;; [unrolled: 1-line block ×5, first 2 shown]
	s_mov_b64 s[0:1], 0
	s_mov_b32 s3, 0xfeffffff
	s_branch .LBB0_7
.LBB0_6:
	s_mov_b64 s[0:1], -1
                                        ; implicit-def: $sgpr3
                                        ; implicit-def: $sgpr2
                                        ; implicit-def: $vgpr163
                                        ; implicit-def: $vgpr211
                                        ; implicit-def: $vgpr215
                                        ; implicit-def: $vgpr216
                                        ; implicit-def: $vgpr214
                                        ; implicit-def: $vgpr213
                                        ; implicit-def: $vgpr212
.LBB0_7:
	s_andn2_b64 vcc, exec, s[0:1]
	v_mov_b32_e32 v7, s3
	v_mov_b32_e32 v155, s2
	;; [unrolled: 1-line block ×24, first 2 shown]
	s_cbranch_vccnz .LBB0_10
; %bb.8:
	s_sub_i32 s0, 0, s10
	s_mul_i32 s0, s0, s12
	s_mul_hi_u32 s0, s12, s0
	s_add_i32 s8, s12, s0
	s_load_dwordx2 s[12:13], s[4:5], 0x8c
	s_load_dwordx4 s[0:3], s[4:5], 0x98
	s_abs_i32 s6, s84
	s_mul_hi_u32 s8, s6, s8
	s_ashr_i32 s16, s84, 31
	s_waitcnt lgkmcnt(0)
	s_ashr_i32 s80, s12, 2
	s_ashr_i32 s75, s2, 2
	;; [unrolled: 1-line block ×4, first 2 shown]
	s_mul_i32 s1, s33, s1
	s_mul_hi_u32 s12, s33, s0
	s_add_i32 s1, s12, s1
	s_mul_i32 s12, s9, s0
	s_ashr_i32 s11, s11, 31
	s_add_i32 s1, s1, s12
	s_mul_i32 s0, s33, s0
	s_add_u32 s0, s66, s0
	s_mul_i32 s12, s8, s10
	s_addc_u32 s1, s67, s1
	s_sub_i32 s6, s6, s12
	s_xor_b32 s11, s16, s11
	s_add_i32 s12, s8, 1
	s_sub_i32 s16, s6, s10
	s_cmp_ge_u32 s6, s10
	s_cselect_b32 s8, s12, s8
	s_cselect_b32 s6, s16, s6
	s_add_i32 s12, s8, 1
	s_cmp_ge_u32 s6, s10
	s_cselect_b32 s6, s12, s8
	s_load_dwordx2 s[14:15], s[4:5], 0xa8
	s_xor_b32 s6, s6, s11
	s_sub_i32 s6, s6, s11
	s_mul_i32 s8, s6, s13
	s_ashr_i32 s10, s8, 31
	s_add_u32 s81, s0, s8
	s_addc_u32 s85, s1, s10
	s_waitcnt lgkmcnt(0)
	s_mul_i32 s0, s33, s15
	s_mul_hi_u32 s1, s33, s14
	s_add_i32 s0, s1, s0
	s_mul_i32 s9, s9, s14
	s_add_i32 s0, s0, s9
	s_mul_i32 s1, s33, s14
	s_add_u32 s1, s68, s1
	s_mul_i32 s6, s6, s3
	s_addc_u32 s0, s69, s0
	s_ashr_i32 s3, s6, 31
	s_add_u32 s87, s1, s6
	v_lshrrev_b32_e32 v0, 3, v152
	v_and_b32_e32 v2, 28, v210
	s_addc_u32 s90, s0, s3
	v_lshl_add_u32 v0, v8, 2, v0
	v_lshlrev_b32_e32 v1, 2, v2
	s_movk_i32 s0, 0x90
	v_mad_u32_u24 v217, v0, s0, v1
	v_mul_lo_u32 v4, s80, v0
	v_lshlrev_b32_e32 v3, 10, v8
	v_mad_u64_u32 v[162:163], s[0:1], v9, s2, v[152:153]
	v_mul_lo_u32 v8, s75, v0
	v_lshl_add_u32 v6, s80, 5, v4
	v_lshl_add_u32 v12, s75, 5, v8
	v_mbcnt_hi_u32_b32 v163, -1, v10
	v_mov_b32_e32 v19, 0
	v_ashrrev_i32_e32 v5, 31, v4
	v_ashrrev_i32_e32 v7, 31, v6
	v_add_u32_e32 v220, 0x4400, v3
	v_add_u32_e32 v221, 0x2400, v3
	v_lshlrev_b32_e32 v3, 4, v152
	v_lshl_or_b32 v222, v0, 7, v1
	v_ashrrev_i32_e32 v9, 31, v8
	v_ashrrev_i32_e32 v13, 31, v12
	s_add_u32 s70, s4, 0xd0
	v_mov_b32_e32 v0, 0xfeffffff
	v_and_b32_e32 v1, 0x60, v163
	v_add_u32_e32 v218, 0x1200, v217
	v_mul_u32_u24_e32 v219, 0x90, v152
	v_add_u32_e32 v223, 0x1000, v222
	s_addc_u32 s71, s5, 0
	v_lshlrev_b64 v[164:165], 2, v[4:5]
	v_lshlrev_b32_e32 v224, 2, v2
	v_lshlrev_b64 v[166:167], 2, v[6:7]
	v_add_u32_e32 v211, 32, v1
	v_xor_b32_e32 v215, 16, v163
	v_xor_b32_e32 v216, 8, v163
	;; [unrolled: 1-line block ×5, first 2 shown]
	v_mov_b32_e32 v225, s89
	s_mov_b32 s6, 0x40051340
	s_mov_b32 s89, 0x3fb8aa3b
	;; [unrolled: 1-line block ×4, first 2 shown]
	v_mov_b32_e32 v226, 0x7f800000
	v_add_u32_e32 v227, v221, v3
	v_lshlrev_b64 v[168:169], 2, v[8:9]
	v_lshlrev_b64 v[170:171], 2, v[12:13]
	v_add_u32_e32 v228, 0x400, v210
	v_add_u32_e32 v229, 0x800, v210
	;; [unrolled: 1-line block ×7, first 2 shown]
	v_mov_b32_e32 v45, 0
	v_mov_b32_e32 v18, 0
	;; [unrolled: 1-line block ×22, first 2 shown]
.LBB0_9:                                ; =>This Inner Loop Header: Depth=1
	s_mul_hi_i32 s13, s74, s80
	s_mul_i32 s12, s74, s80
	v_add_u32_e32 v8, s74, v162
	v_cmp_lt_i32_e64 s[0:1], v216, v211
	v_cmp_lt_i32_e64 s[2:3], v214, v211
	v_cndmask_b32_e64 v11, v163, v216, s[0:1]
	s_lshl_b64 s[0:1], s[12:13], 2
	v_ashrrev_i32_e32 v9, 31, v8
	v_cmp_lt_i32_e32 vcc, v215, v211
	v_cmp_lt_i32_e64 s[10:11], v213, v211
	v_cmp_lt_i32_e64 s[8:9], v212, v211
	v_cndmask_b32_e64 v12, v163, v214, s[2:3]
	s_add_u32 s2, s81, s0
	v_lshlrev_b64 v[8:9], 1, v[8:9]
	s_mul_hi_i32 s15, s74, s75
	s_mul_i32 s14, s74, s75
	v_cndmask_b32_e32 v10, v163, v215, vcc
	v_cndmask_b32_e64 v13, v163, v213, s[10:11]
	v_cndmask_b32_e64 v14, v163, v212, s[8:9]
	s_addc_u32 s8, s85, s1
	v_add_co_u32_e32 v8, vcc, s88, v8
	v_lshlrev_b32_e32 v52, 2, v10
	v_lshlrev_b32_e32 v51, 2, v11
	;; [unrolled: 1-line block ×4, first 2 shown]
	s_lshl_b64 s[10:11], s[14:15], 2
	v_add_co_u32_e64 v10, s[0:1], s2, v166
	v_add_co_u32_e64 v11, s[2:3], s2, v164
	v_addc_co_u32_e32 v9, vcc, v225, v9, vcc
	v_mov_b32_e32 v12, s8
	v_mov_b32_e32 v13, s8
	v_lshlrev_b32_e32 v48, 2, v14
	s_add_u32 s10, s87, s10
	v_add_co_u32_e32 v14, vcc, v10, v224
	v_add_co_u32_e64 v58, s[8:9], v11, v224
	v_addc_co_u32_e64 v10, s[2:3], v12, v165, s[2:3]
	v_addc_co_u32_e64 v11, s[0:1], v13, v167, s[0:1]
	v_add_co_u32_e64 v12, s[0:1], s10, v168
	v_add_co_u32_e64 v13, s[2:3], s10, v170
	v_addc_co_u32_e64 v59, s[8:9], 0, v10, s[8:9]
	v_addc_co_u32_e32 v15, vcc, 0, v11, vcc
	v_add_co_u32_e32 v42, vcc, v13, v224
	v_add_co_u32_e64 v40, s[8:9], v12, v224
	global_load_dwordx4 v[10:13], v[58:59], off
	global_load_dwordx4 v[54:57], v[14:15], off
	v_mov_b32_e32 v24, v0
	v_mov_b32_e32 v0, 0
	;; [unrolled: 1-line block ×20, first 2 shown]
	s_addc_u32 s11, s90, s11
	v_mov_b32_e32 v41, s11
	v_mov_b32_e32 v43, s11
	v_addc_co_u32_e64 v14, s[0:1], v41, v169, s[0:1]
	v_addc_co_u32_e64 v15, s[0:1], v43, v171, s[2:3]
	;; [unrolled: 1-line block ×3, first 2 shown]
	s_waitcnt vmcnt(1)
	ds_write_b128 v217, v[10:13]
	s_waitcnt vmcnt(0)
	ds_write_b128 v218, v[54:57]
	s_waitcnt lgkmcnt(0)
	s_barrier
	ds_read_b128 v[10:13], v219
	ds_read_b128 v[54:57], v219 offset:4608
	ds_read_b128 v[58:61], v220
	ds_read_b128 v[62:65], v220 offset:128
	ds_read_b128 v[66:69], v220 offset:256
	;; [unrolled: 1-line block ×7, first 2 shown]
	s_waitcnt lgkmcnt(7)
	;;#ASMSTART
	v_dot2_f32_f16 v0, v10, v58, v0
	;;#ASMEND
	;;#ASMSTART
	v_dot2_f32_f16 v0, v11, v59, v0
	;;#ASMEND
	;;#ASMSTART
	v_dot2_f32_f16 v0, v12, v60, v0
	;;#ASMEND
	;;#ASMSTART
	v_dot2_f32_f16 v0, v13, v61, v0
	;;#ASMEND
	s_waitcnt lgkmcnt(6)
	;;#ASMSTART
	v_dot2_f32_f16 v1, v10, v62, v1
	;;#ASMEND
	;;#ASMSTART
	v_dot2_f32_f16 v1, v11, v63, v1
	;;#ASMEND
	;;#ASMSTART
	v_dot2_f32_f16 v1, v12, v64, v1
	;;#ASMEND
	;;#ASMSTART
	v_dot2_f32_f16 v1, v13, v65, v1
	;;#ASMEND
	;; [unrolled: 13-line block ×8, first 2 shown]
	;;#ASMSTART
	v_dot2_f32_f16 v30, v54, v58, v30
	;;#ASMEND
	;;#ASMSTART
	v_dot2_f32_f16 v30, v55, v59, v30
	;;#ASMEND
	;; [unrolled: 3-line block ×32, first 2 shown]
	ds_read_b128 v[10:13], v219 offset:16
	ds_read_b128 v[54:57], v219 offset:4624
	;; [unrolled: 1-line block ×10, first 2 shown]
	s_waitcnt lgkmcnt(7)
	;;#ASMSTART
	v_dot2_f32_f16 v0, v10, v58, v0
	;;#ASMEND
	;;#ASMSTART
	v_dot2_f32_f16 v0, v11, v59, v0
	;;#ASMEND
	;;#ASMSTART
	v_dot2_f32_f16 v0, v12, v60, v0
	;;#ASMEND
	;;#ASMSTART
	v_dot2_f32_f16 v0, v13, v61, v0
	;;#ASMEND
	s_waitcnt lgkmcnt(6)
	;;#ASMSTART
	v_dot2_f32_f16 v1, v10, v62, v1
	;;#ASMEND
	;;#ASMSTART
	v_dot2_f32_f16 v1, v11, v63, v1
	;;#ASMEND
	;;#ASMSTART
	v_dot2_f32_f16 v1, v12, v64, v1
	;;#ASMEND
	;;#ASMSTART
	v_dot2_f32_f16 v1, v13, v65, v1
	;;#ASMEND
	;; [unrolled: 13-line block ×8, first 2 shown]
	;;#ASMSTART
	v_dot2_f32_f16 v30, v54, v58, v30
	;;#ASMEND
	;;#ASMSTART
	v_dot2_f32_f16 v30, v55, v59, v30
	;;#ASMEND
	;; [unrolled: 3-line block ×32, first 2 shown]
	ds_read_b128 v[10:13], v219 offset:32
	ds_read_b128 v[54:57], v219 offset:4640
	;; [unrolled: 1-line block ×10, first 2 shown]
	s_waitcnt lgkmcnt(7)
	;;#ASMSTART
	v_dot2_f32_f16 v0, v10, v58, v0
	;;#ASMEND
	;;#ASMSTART
	v_dot2_f32_f16 v0, v11, v59, v0
	;;#ASMEND
	;;#ASMSTART
	v_dot2_f32_f16 v0, v12, v60, v0
	;;#ASMEND
	;;#ASMSTART
	v_dot2_f32_f16 v0, v13, v61, v0
	;;#ASMEND
	s_waitcnt lgkmcnt(6)
	;;#ASMSTART
	v_dot2_f32_f16 v1, v10, v62, v1
	;;#ASMEND
	;;#ASMSTART
	v_dot2_f32_f16 v1, v11, v63, v1
	;;#ASMEND
	;;#ASMSTART
	v_dot2_f32_f16 v1, v12, v64, v1
	;;#ASMEND
	;;#ASMSTART
	v_dot2_f32_f16 v1, v13, v65, v1
	;;#ASMEND
	;; [unrolled: 13-line block ×8, first 2 shown]
	;;#ASMSTART
	v_dot2_f32_f16 v30, v54, v58, v30
	;;#ASMEND
	;;#ASMSTART
	v_dot2_f32_f16 v30, v55, v59, v30
	;;#ASMEND
	;; [unrolled: 3-line block ×32, first 2 shown]
	ds_read_b128 v[10:13], v219 offset:48
	ds_read_b128 v[54:57], v219 offset:4656
	;; [unrolled: 1-line block ×10, first 2 shown]
	s_waitcnt lgkmcnt(7)
	;;#ASMSTART
	v_dot2_f32_f16 v0, v10, v58, v0
	;;#ASMEND
	;;#ASMSTART
	v_dot2_f32_f16 v0, v11, v59, v0
	;;#ASMEND
	;;#ASMSTART
	v_dot2_f32_f16 v0, v12, v60, v0
	;;#ASMEND
	;;#ASMSTART
	v_dot2_f32_f16 v0, v13, v61, v0
	;;#ASMEND
	s_waitcnt lgkmcnt(6)
	;;#ASMSTART
	v_dot2_f32_f16 v1, v10, v62, v1
	;;#ASMEND
	;;#ASMSTART
	v_dot2_f32_f16 v1, v11, v63, v1
	;;#ASMEND
	;;#ASMSTART
	v_dot2_f32_f16 v1, v12, v64, v1
	;;#ASMEND
	;;#ASMSTART
	v_dot2_f32_f16 v1, v13, v65, v1
	;;#ASMEND
	;; [unrolled: 13-line block ×8, first 2 shown]
	;;#ASMSTART
	v_dot2_f32_f16 v30, v54, v58, v30
	;;#ASMEND
	;;#ASMSTART
	v_dot2_f32_f16 v30, v55, v59, v30
	;;#ASMEND
	;; [unrolled: 3-line block ×32, first 2 shown]
	ds_read_b128 v[10:13], v219 offset:64
	ds_read_b128 v[54:57], v219 offset:4672
	;; [unrolled: 1-line block ×10, first 2 shown]
	s_waitcnt lgkmcnt(7)
	;;#ASMSTART
	v_dot2_f32_f16 v0, v10, v58, v0
	;;#ASMEND
	;;#ASMSTART
	v_dot2_f32_f16 v0, v11, v59, v0
	;;#ASMEND
	;;#ASMSTART
	v_dot2_f32_f16 v0, v12, v60, v0
	;;#ASMEND
	;;#ASMSTART
	v_dot2_f32_f16 v0, v13, v61, v0
	;;#ASMEND
	s_waitcnt lgkmcnt(6)
	;;#ASMSTART
	v_dot2_f32_f16 v1, v10, v62, v1
	;;#ASMEND
	;;#ASMSTART
	v_dot2_f32_f16 v1, v11, v63, v1
	;;#ASMEND
	;;#ASMSTART
	v_dot2_f32_f16 v1, v12, v64, v1
	;;#ASMEND
	;;#ASMSTART
	v_dot2_f32_f16 v1, v13, v65, v1
	;;#ASMEND
	;; [unrolled: 13-line block ×8, first 2 shown]
	;;#ASMSTART
	v_dot2_f32_f16 v30, v54, v58, v30
	;;#ASMEND
	;;#ASMSTART
	v_dot2_f32_f16 v30, v55, v59, v30
	;;#ASMEND
	;; [unrolled: 3-line block ×32, first 2 shown]
	ds_read_b128 v[10:13], v219 offset:80
	ds_read_b128 v[54:57], v219 offset:4688
	;; [unrolled: 1-line block ×10, first 2 shown]
	s_waitcnt lgkmcnt(7)
	;;#ASMSTART
	v_dot2_f32_f16 v0, v10, v58, v0
	;;#ASMEND
	;;#ASMSTART
	v_dot2_f32_f16 v0, v11, v59, v0
	;;#ASMEND
	;;#ASMSTART
	v_dot2_f32_f16 v0, v12, v60, v0
	;;#ASMEND
	;;#ASMSTART
	v_dot2_f32_f16 v0, v13, v61, v0
	;;#ASMEND
	s_waitcnt lgkmcnt(6)
	;;#ASMSTART
	v_dot2_f32_f16 v1, v10, v62, v1
	;;#ASMEND
	;;#ASMSTART
	v_dot2_f32_f16 v1, v11, v63, v1
	;;#ASMEND
	;;#ASMSTART
	v_dot2_f32_f16 v1, v12, v64, v1
	;;#ASMEND
	;;#ASMSTART
	v_dot2_f32_f16 v1, v13, v65, v1
	;;#ASMEND
	;; [unrolled: 13-line block ×8, first 2 shown]
	;;#ASMSTART
	v_dot2_f32_f16 v30, v54, v58, v30
	;;#ASMEND
	;;#ASMSTART
	v_dot2_f32_f16 v30, v55, v59, v30
	;;#ASMEND
	;; [unrolled: 3-line block ×32, first 2 shown]
	ds_read_b128 v[10:13], v219 offset:96
	ds_read_b128 v[54:57], v219 offset:4704
	ds_read_b128 v[58:61], v220 offset:96
	ds_read_b128 v[62:65], v220 offset:224
	ds_read_b128 v[66:69], v220 offset:352
	ds_read_b128 v[70:73], v220 offset:480
	ds_read_b128 v[74:77], v220 offset:608
	ds_read_b128 v[78:81], v220 offset:736
	ds_read_b128 v[82:85], v220 offset:864
	ds_read_b128 v[86:89], v220 offset:992
	s_waitcnt lgkmcnt(7)
	;;#ASMSTART
	v_dot2_f32_f16 v0, v10, v58, v0
	;;#ASMEND
	;;#ASMSTART
	v_dot2_f32_f16 v0, v11, v59, v0
	;;#ASMEND
	;;#ASMSTART
	v_dot2_f32_f16 v0, v12, v60, v0
	;;#ASMEND
	;;#ASMSTART
	v_dot2_f32_f16 v0, v13, v61, v0
	;;#ASMEND
	s_waitcnt lgkmcnt(6)
	;;#ASMSTART
	v_dot2_f32_f16 v1, v10, v62, v1
	;;#ASMEND
	;;#ASMSTART
	v_dot2_f32_f16 v1, v11, v63, v1
	;;#ASMEND
	;;#ASMSTART
	v_dot2_f32_f16 v1, v12, v64, v1
	;;#ASMEND
	;;#ASMSTART
	v_dot2_f32_f16 v1, v13, v65, v1
	;;#ASMEND
	;; [unrolled: 13-line block ×8, first 2 shown]
	;;#ASMSTART
	v_dot2_f32_f16 v30, v54, v58, v30
	;;#ASMEND
	;;#ASMSTART
	v_dot2_f32_f16 v30, v55, v59, v30
	;;#ASMEND
	;; [unrolled: 3-line block ×32, first 2 shown]
	ds_read_b128 v[10:13], v219 offset:112
	ds_read_b128 v[54:57], v219 offset:4720
	;; [unrolled: 1-line block ×10, first 2 shown]
	s_waitcnt lgkmcnt(7)
	;;#ASMSTART
	v_dot2_f32_f16 v0, v10, v58, v0
	;;#ASMEND
	;;#ASMSTART
	v_dot2_f32_f16 v0, v11, v59, v0
	;;#ASMEND
	;;#ASMSTART
	v_dot2_f32_f16 v0, v12, v60, v0
	;;#ASMEND
	;;#ASMSTART
	v_dot2_f32_f16 v0, v13, v61, v0
	;;#ASMEND
	s_waitcnt lgkmcnt(6)
	;;#ASMSTART
	v_dot2_f32_f16 v1, v10, v62, v1
	;;#ASMEND
	;;#ASMSTART
	v_dot2_f32_f16 v1, v11, v63, v1
	;;#ASMEND
	;;#ASMSTART
	v_dot2_f32_f16 v1, v12, v64, v1
	;;#ASMEND
	;;#ASMSTART
	v_dot2_f32_f16 v1, v13, v65, v1
	;;#ASMEND
	;; [unrolled: 13-line block ×8, first 2 shown]
	;;#ASMSTART
	v_dot2_f32_f16 v30, v54, v58, v30
	;;#ASMEND
	;;#ASMSTART
	v_dot2_f32_f16 v30, v55, v59, v30
	;;#ASMEND
	;; [unrolled: 3-line block ×32, first 2 shown]
	flat_load_ushort v53, v[8:9]
	flat_load_ushort v54, v[8:9] offset:64
	v_addc_co_u32_e32 v43, vcc, 0, v15, vcc
	s_waitcnt lgkmcnt(0)
	s_barrier
	global_load_dwordx4 v[8:11], v[40:41], off
	global_load_dwordx4 v[12:15], v[42:43], off
	v_mov_b32_e32 v36, v6
	v_mov_b32_e32 v37, v7
	;; [unrolled: 1-line block ×4, first 2 shown]
	s_waitcnt vmcnt(0)
	v_cvt_f32_f16_e32 v40, v53
	v_cvt_f32_f16_e32 v41, v54
	v_add_f32_e32 v42, v46, v40
	v_pk_add_f32 v[54:55], v[28:29], v[40:41]
	v_add_f32_e32 v46, v47, v41
	v_pk_add_f32 v[28:29], v[0:1], v[40:41] op_sel_hi:[1,0]
	v_mov_b32_e32 v0, v41
	v_mov_b32_e32 v43, v54
	;; [unrolled: 1-line block ×3, first 2 shown]
	v_pk_add_f32 v[56:57], v[2:3], v[40:41] op_sel_hi:[1,0]
	v_pk_add_f32 v[26:27], v[26:27], v[40:41] op_sel_hi:[1,0]
	;; [unrolled: 1-line block ×13, first 2 shown]
	v_max3_f32 v0, v6, v0, v34
	v_max3_f32 v1, v7, v1, v35
	v_max3_f32 v3, v17, v3, v65
	v_max3_f32 v2, v16, v2, v64
	v_max3_f32 v6, v25, v41, v63
	v_max3_f32 v7, v24, v40, v62
	v_max3_f32 v5, v5, v59, v67
	v_max3_f32 v4, v4, v58, v66
	ds_bpermute_b32 v34, v52, v0
	ds_bpermute_b32 v35, v52, v1
	ds_bpermute_b32 v40, v52, v7
	ds_bpermute_b32 v41, v52, v6
	ds_bpermute_b32 v43, v52, v2
	ds_bpermute_b32 v47, v52, v3
	ds_bpermute_b32 v53, v52, v4
	ds_bpermute_b32 v52, v52, v5
	s_waitcnt lgkmcnt(7)
	v_max_f32_e32 v34, v34, v34
	s_waitcnt lgkmcnt(6)
	v_max_f32_e32 v35, v35, v35
	s_waitcnt lgkmcnt(2)
	v_max_f32_e32 v47, v47, v47
	v_max_f32_e32 v43, v43, v43
	v_max_f32_e32 v41, v41, v41
	v_max_f32_e32 v40, v40, v40
	s_waitcnt lgkmcnt(0)
	v_max_f32_e32 v52, v52, v52
	v_max_f32_e32 v53, v53, v53
	v_max_f32_e32 v0, v0, v34
	v_max_f32_e32 v1, v1, v35
	v_max_f32_e32 v3, v3, v47
	v_max_f32_e32 v2, v2, v43
	v_max_f32_e32 v6, v6, v41
	v_max_f32_e32 v7, v7, v40
	v_max_f32_e32 v5, v5, v52
	v_max_f32_e32 v4, v4, v53
	ds_bpermute_b32 v34, v51, v0
	ds_bpermute_b32 v35, v51, v1
	ds_bpermute_b32 v40, v51, v7
	ds_bpermute_b32 v41, v51, v6
	ds_bpermute_b32 v43, v51, v2
	ds_bpermute_b32 v47, v51, v3
	ds_bpermute_b32 v52, v51, v4
	ds_bpermute_b32 v51, v51, v5
	s_waitcnt lgkmcnt(7)
	v_max_f32_e32 v34, v34, v34
	s_waitcnt lgkmcnt(6)
	v_max_f32_e32 v35, v35, v35
	s_waitcnt lgkmcnt(2)
	v_max_f32_e32 v47, v47, v47
	v_max_f32_e32 v43, v43, v43
	v_max_f32_e32 v41, v41, v41
	v_max_f32_e32 v40, v40, v40
	s_waitcnt lgkmcnt(0)
	v_max_f32_e32 v51, v51, v51
	v_max_f32_e32 v52, v52, v52
	v_max_f32_e32 v0, v0, v34
	v_max_f32_e32 v1, v1, v35
	v_max_f32_e32 v3, v3, v47
	v_max_f32_e32 v2, v2, v43
	v_max_f32_e32 v6, v6, v41
	v_max_f32_e32 v7, v7, v40
	v_max_f32_e32 v5, v5, v51
	v_max_f32_e32 v4, v4, v52
	;; [unrolled: 28-line block ×4, first 2 shown]
	ds_bpermute_b32 v6, v48, v0
	ds_bpermute_b32 v7, v48, v1
	;; [unrolled: 1-line block ×8, first 2 shown]
	s_waitcnt lgkmcnt(7)
	v_max_f32_e32 v6, v6, v6
	s_waitcnt lgkmcnt(6)
	v_max_f32_e32 v7, v7, v7
	;; [unrolled: 2-line block ×4, first 2 shown]
	v_max_f32_e32 v41, v41, v41
	v_max_f32_e32 v40, v40, v40
	s_waitcnt lgkmcnt(0)
	v_max_f32_e32 v48, v48, v48
	v_max_f32_e32 v49, v49, v49
	;; [unrolled: 1-line block ×10, first 2 shown]
	v_sub_f32_e32 v40, v42, v6
	v_sub_f32_e32 v47, v32, v2
	;; [unrolled: 1-line block ×3, first 2 shown]
	v_pk_add_f32 v[32:33], v[24:25], v[0:1] neg_lo:[0,1] neg_hi:[0,1]
	v_pk_add_f32 v[24:25], v[38:39], v[4:5] neg_lo:[0,1] neg_hi:[0,1]
	v_mul_f32_e32 v38, 0x3fb8aa3b, v40
	v_fma_f32 v70, v40, s89, -v38
	v_rndne_f32_e32 v71, v38
	v_fmac_f32_e32 v70, 0x32a5705f, v40
	v_sub_f32_e32 v38, v38, v71
	v_add_f32_e32 v38, v38, v70
	v_cvt_i32_f32_e32 v71, v71
	v_exp_f32_e32 v38, v38
	v_sub_f32_e32 v41, v46, v6
	v_mul_f32_e32 v39, 0x3fb8aa3b, v41
	v_fma_f32 v70, v41, s89, -v39
	v_ldexp_f32 v38, v38, v71
	v_rndne_f32_e32 v71, v39
	v_fmac_f32_e32 v70, 0x32a5705f, v41
	v_sub_f32_e32 v39, v39, v71
	v_add_f32_e32 v39, v39, v70
	v_cmp_ngt_f32_e64 s[40:41], s91, v41
	v_cmp_nlt_f32_e64 s[14:15], s92, v41
	v_cvt_i32_f32_e32 v41, v71
	v_exp_f32_e32 v39, v39
	v_pk_add_f32 v[34:35], v[36:37], v[6:7] neg_lo:[0,1] neg_hi:[0,1]
	v_mul_f32_e32 v51, 0x3fb8aa3b, v35
	v_rndne_f32_e32 v70, v51
	v_ldexp_f32 v39, v39, v41
	v_fma_f32 v41, v35, s89, -v51
	v_cmp_ngt_f32_e64 s[42:43], s91, v35
	v_cmp_nlt_f32_e64 s[16:17], s92, v35
	v_fmac_f32_e32 v41, 0x32a5705f, v35
	v_sub_f32_e32 v35, v51, v70
	v_add_f32_e32 v35, v35, v41
	v_cvt_i32_f32_e32 v51, v70
	v_exp_f32_e32 v35, v35
	v_mul_f32_e32 v52, 0x3fb8aa3b, v34
	v_fma_f32 v41, v34, s89, -v52
	v_cmp_ngt_f32_e64 s[44:45], s91, v34
	v_ldexp_f32 v35, v35, v51
	v_rndne_f32_e32 v51, v52
	v_cmp_nlt_f32_e64 s[18:19], s92, v34
	v_fmac_f32_e32 v41, 0x32a5705f, v34
	v_sub_f32_e32 v34, v52, v51
	v_add_f32_e32 v34, v34, v41
	v_cvt_i32_f32_e32 v51, v51
	v_exp_f32_e32 v34, v34
	v_mov_b32_e32 v36, v7
	v_sub_f32_e32 v37, v28, v0
	v_sub_f32_e32 v46, v56, v2
	;; [unrolled: 1-line block ×4, first 2 shown]
	v_pk_add_f32 v[30:31], v[16:17], v[2:3] neg_lo:[0,1] neg_hi:[0,1]
	v_pk_add_f32 v[16:17], v[54:55], v[36:37] op_sel_hi:[1,0] neg_lo:[0,1] neg_hi:[0,1]
	v_mul_f32_e32 v36, 0x3fb8aa3b, v46
	v_ldexp_f32 v34, v34, v51
	v_fma_f32 v41, v46, s89, -v36
	v_rndne_f32_e32 v51, v36
	v_fmac_f32_e32 v41, 0x32a5705f, v46
	v_sub_f32_e32 v36, v36, v51
	v_add_f32_e32 v36, v36, v41
	v_cmp_ngt_f32_e64 s[46:47], s91, v46
	v_cmp_nlt_f32_e64 s[20:21], s92, v46
	v_cvt_i32_f32_e32 v46, v51
	v_exp_f32_e32 v36, v36
	v_sub_f32_e32 v43, v57, v3
	v_mul_f32_e32 v53, 0x3fb8aa3b, v43
	v_fma_f32 v41, v43, s89, -v53
	v_ldexp_f32 v36, v36, v46
	v_rndne_f32_e32 v46, v53
	v_cmp_ngt_f32_e64 s[50:51], s91, v43
	v_cmp_nlt_f32_e64 s[22:23], s92, v43
	v_fmac_f32_e32 v41, 0x32a5705f, v43
	v_sub_f32_e32 v43, v53, v46
	v_add_f32_e32 v41, v43, v41
	v_cvt_i32_f32_e32 v46, v46
	v_exp_f32_e32 v41, v41
	v_sub_f32_e32 v42, v29, v1
	v_mul_f32_e32 v54, 0x3fb8aa3b, v42
	v_fma_f32 v43, v42, s89, -v54
	v_ldexp_f32 v41, v41, v46
	v_rndne_f32_e32 v46, v54
	v_cmp_ngt_f32_e64 s[54:55], s91, v42
	v_cmp_nlt_f32_e64 s[24:25], s92, v42
	v_fmac_f32_e32 v43, 0x32a5705f, v42
	v_sub_f32_e32 v42, v54, v46
	v_add_f32_e32 v42, v42, v43
	v_cvt_i32_f32_e32 v46, v46
	v_exp_f32_e32 v42, v42
	v_mul_f32_e32 v55, 0x3fb8aa3b, v37
	v_fma_f32 v43, v37, s89, -v55
	v_cmp_ngt_f32_e64 s[60:61], s91, v37
	v_ldexp_f32 v42, v42, v46
	v_rndne_f32_e32 v46, v55
	v_cmp_nlt_f32_e64 s[26:27], s92, v37
	v_fmac_f32_e32 v43, 0x32a5705f, v37
	v_sub_f32_e32 v37, v55, v46
	v_add_f32_e32 v37, v37, v43
	v_cvt_i32_f32_e32 v46, v46
	v_exp_f32_e32 v37, v37
	v_mul_f32_e32 v56, 0x3fb8aa3b, v50
	v_fma_f32 v43, v50, s89, -v56
	v_cmp_ngt_f32_e64 s[62:63], s91, v50
	v_ldexp_f32 v37, v37, v46
	v_rndne_f32_e32 v46, v56
	v_cmp_nlt_f32_e64 s[28:29], s92, v50
	v_fmac_f32_e32 v43, 0x32a5705f, v50
	v_sub_f32_e32 v50, v56, v46
	v_add_f32_e32 v43, v50, v43
	v_cvt_i32_f32_e32 v46, v46
	v_exp_f32_e32 v43, v43
	v_mul_f32_e32 v57, 0x3fb8aa3b, v49
	v_rndne_f32_e32 v50, v57
	v_cmp_ngt_f32_e64 s[64:65], s91, v49
	v_ldexp_f32 v43, v43, v46
	v_fma_f32 v46, v49, s89, -v57
	v_cmp_nlt_f32_e64 s[30:31], s92, v49
	v_fmac_f32_e32 v46, 0x32a5705f, v49
	v_sub_f32_e32 v49, v57, v50
	v_add_f32_e32 v46, v49, v46
	v_cvt_i32_f32_e32 v50, v50
	v_exp_f32_e32 v46, v46
	v_mul_f32_e32 v58, 0x3fb8aa3b, v33
	v_fma_f32 v49, v33, s89, -v58
	v_cmp_ngt_f32_e64 s[66:67], s91, v33
	v_ldexp_f32 v46, v46, v50
	v_rndne_f32_e32 v50, v58
	v_cmp_nlt_f32_e64 s[34:35], s92, v33
	v_fmac_f32_e32 v49, 0x32a5705f, v33
	v_sub_f32_e32 v33, v58, v50
	v_add_f32_e32 v33, v33, v49
	v_cvt_i32_f32_e32 v50, v50
	v_exp_f32_e32 v33, v33
	v_mul_f32_e32 v59, 0x3fb8aa3b, v32
	v_rndne_f32_e32 v51, v59
	v_cmp_ngt_f32_e64 s[58:59], s91, v32
	v_ldexp_f32 v33, v33, v50
	v_fma_f32 v50, v32, s89, -v59
	v_cmp_nlt_f32_e64 s[36:37], s92, v32
	v_fmac_f32_e32 v50, 0x32a5705f, v32
	v_sub_f32_e32 v32, v59, v51
	v_add_f32_e32 v32, v32, v50
	v_cvt_i32_f32_e32 v51, v51
	v_exp_f32_e32 v32, v32
	v_pk_add_f32 v[28:29], v[26:27], v[4:5] neg_lo:[0,1] neg_hi:[0,1]
	v_pk_add_f32 v[26:27], v[60:61], v[4:5] neg_lo:[0,1] neg_hi:[0,1]
	v_mul_f32_e32 v60, 0x3fb8aa3b, v48
	v_fma_f32 v52, v48, s89, -v60
	v_rndne_f32_e32 v53, v60
	v_ldexp_f32 v32, v32, v51
	v_cndmask_b32_e64 v50, 0, v32, s[58:59]
	v_fmac_f32_e32 v52, 0x32a5705f, v48
	v_sub_f32_e32 v32, v60, v53
	v_cmp_ngt_f32_e64 s[38:39], s91, v40
	v_add_f32_e32 v32, v32, v52
	v_cmp_ngt_f32_e64 s[56:57], s91, v48
	v_cndmask_b32_e64 v38, 0, v38, s[38:39]
	v_cmp_nlt_f32_e64 s[38:39], s92, v48
	v_cvt_i32_f32_e32 v48, v53
	v_exp_f32_e32 v32, v32
	v_mul_f32_e32 v61, 0x3fb8aa3b, v47
	v_fma_f32 v54, v47, s89, -v61
	v_rndne_f32_e32 v55, v61
	v_ldexp_f32 v32, v32, v48
	v_cndmask_b32_e64 v48, 0, v32, s[56:57]
	v_fmac_f32_e32 v54, 0x32a5705f, v47
	v_sub_f32_e32 v32, v61, v55
	v_add_f32_e32 v32, v32, v54
	v_cmp_ngt_f32_e64 s[52:53], s91, v47
	v_cndmask_b32_e64 v39, 0, v39, s[40:41]
	v_cmp_nlt_f32_e64 s[40:41], s92, v47
	v_cvt_i32_f32_e32 v47, v55
	v_exp_f32_e32 v32, v32
	v_mul_f32_e32 v62, 0x3fb8aa3b, v31
	v_fma_f32 v56, v31, s89, -v62
	v_rndne_f32_e32 v57, v62
	v_cmp_ngt_f32_e64 s[48:49], s91, v31
	v_cndmask_b32_e64 v35, 0, v35, s[42:43]
	v_cmp_nlt_f32_e64 s[42:43], s92, v31
	v_fmac_f32_e32 v56, 0x32a5705f, v31
	v_sub_f32_e32 v31, v62, v57
	v_ldexp_f32 v32, v32, v47
	v_add_f32_e32 v31, v31, v56
	v_cndmask_b32_e64 v47, 0, v32, s[52:53]
	v_cvt_i32_f32_e32 v32, v57
	v_exp_f32_e32 v31, v31
	v_mul_f32_e32 v63, 0x3fb8aa3b, v30
	v_mul_f32_e32 v64, 0x3fb8aa3b, v29
	;; [unrolled: 1-line block ×7, first 2 shown]
	v_cndmask_b32_e64 v49, 0, v33, s[66:67]
	v_cmp_nlt_f32_e64 s[66:67], s92, v40
	v_mul_f32_e32 v33, 0x3fb8aa3b, v17
	v_mul_f32_e32 v40, 0x3fb8aa3b, v16
	v_ldexp_f32 v31, v31, v32
	v_fma_f32 v58, v30, s89, -v63
	v_rndne_f32_e32 v70, v63
	v_fma_f32 v71, v29, s89, -v64
	v_rndne_f32_e32 v72, v64
	v_fma_f32 v73, v28, s89, -v65
	v_rndne_f32_e32 v74, v65
	v_fma_f32 v75, v27, s89, -v66
	v_rndne_f32_e32 v76, v66
	v_fma_f32 v77, v26, s89, -v67
	v_rndne_f32_e32 v78, v67
	v_fma_f32 v79, v25, s89, -v68
	v_rndne_f32_e32 v80, v68
	v_fma_f32 v81, v24, s89, -v69
	v_rndne_f32_e32 v82, v69
	v_cndmask_b32_e64 v51, 0, v31, s[48:49]
	v_fma_f32 v31, v17, s89, -v33
	v_rndne_f32_e32 v32, v33
	v_fma_f32 v52, v16, s89, -v40
	v_rndne_f32_e32 v53, v40
	v_cmp_ngt_f32_e32 vcc, s91, v30
	v_cmp_ngt_f32_e64 s[0:1], s91, v29
	v_cmp_ngt_f32_e64 s[2:3], s91, v28
	;; [unrolled: 1-line block ×6, first 2 shown]
	v_cndmask_b32_e64 v34, 0, v34, s[44:45]
	v_cmp_nlt_f32_e64 s[44:45], s92, v30
	v_cndmask_b32_e64 v36, 0, v36, s[46:47]
	v_cmp_nlt_f32_e64 s[46:47], s92, v29
	;; [unrolled: 2-line block ×7, first 2 shown]
	v_cmp_ngt_f32_e64 s[58:59], s91, v17
	v_cmp_ngt_f32_e64 s[56:57], s91, v16
	v_cmp_nlt_f32_e64 s[52:53], s92, v16
	v_cmp_nlt_f32_e64 s[48:49], s92, v17
	v_fmac_f32_e32 v58, 0x32a5705f, v30
	v_sub_f32_e32 v30, v63, v70
	v_fmac_f32_e32 v71, 0x32a5705f, v29
	v_sub_f32_e32 v29, v64, v72
	;; [unrolled: 2-line block ×9, first 2 shown]
	v_add_f32_e32 v30, v30, v58
	v_add_f32_e32 v29, v29, v71
	;; [unrolled: 1-line block ×9, first 2 shown]
	v_cvt_i32_f32_e32 v54, v70
	v_cvt_i32_f32_e32 v55, v72
	;; [unrolled: 1-line block ×9, first 2 shown]
	v_exp_f32_e32 v30, v30
	v_exp_f32_e32 v29, v29
	v_exp_f32_e32 v28, v28
	v_exp_f32_e32 v27, v27
	v_exp_f32_e32 v26, v26
	v_exp_f32_e32 v25, v25
	v_exp_f32_e32 v24, v24
	v_exp_f32_e32 v17, v17
	v_exp_f32_e32 v16, v16
	v_ldexp_f32 v30, v30, v54
	v_ldexp_f32 v29, v29, v55
	;; [unrolled: 1-line block ×9, first 2 shown]
	v_cndmask_b32_e32 v40, 0, v30, vcc
	v_cndmask_b32_e64 v52, 0, v29, s[0:1]
	v_cndmask_b32_e64 v53, 0, v28, s[2:3]
	;; [unrolled: 1-line block ×32, first 2 shown]
	v_cvt_f16_f32_e32 v50, v16
	v_cvt_f16_f32_e32 v51, v24
	;; [unrolled: 1-line block ×5, first 2 shown]
	v_pk_add_f32 v[48:49], v[30:31], v[32:33]
	v_cvt_f16_f32_e32 v33, v33
	v_cvt_f16_f32_e32 v55, v35
	;; [unrolled: 1-line block ×7, first 2 shown]
	v_pk_add_f32 v[28:29], v[28:29], v[36:37]
	v_cvt_f16_f32_e32 v37, v37
	v_cvt_f16_f32_e32 v61, v39
	;; [unrolled: 1-line block ×6, first 2 shown]
	v_pk_add_f32 v[30:31], v[40:41], v[42:43]
	v_cvt_f16_f32_e32 v40, v43
	v_cvt_f16_f32_e32 v41, v47
	;; [unrolled: 1-line block ×3, first 2 shown]
	v_pk_add_f32 v[16:17], v[16:17], v[24:25]
	v_cvt_f16_f32_e32 v24, v25
	v_cvt_f16_f32_e32 v32, v34
	;; [unrolled: 1-line block ×3, first 2 shown]
	v_pk_fma_f32 v[154:155], v[154:155], v[26:27], v[16:17]
	v_pk_mul_f16 v235, v52, v21 op_sel_hi:[0,1]
	v_pk_mul_f16 v236, v53, v19 op_sel_hi:[0,1]
	;; [unrolled: 1-line block ×6, first 2 shown]
	v_pack_b32_f16 v18, v63, v62
	v_pack_b32_f16 v17, v59, v58
	;; [unrolled: 1-line block ×8, first 2 shown]
	v_pk_fma_f32 v[160:161], v[160:161], v[34:35], v[48:49]
	v_pk_fma_f32 v[158:159], v[158:159], v[38:39], v[28:29]
	;; [unrolled: 1-line block ×3, first 2 shown]
	v_pk_mul_f16 v237, v32, v45 op_sel_hi:[0,1]
	v_pk_mul_f16 v239, v36, v44 op_sel_hi:[0,1]
	ds_write_b128 v227, v[16:19]
	ds_write_b128 v227, v[20:23] offset:512
	ds_write_b128 v222, v[8:11]
	ds_write_b128 v223, v[12:15]
	s_waitcnt lgkmcnt(0)
	s_barrier
	ds_read2_b32 v[186:187], v210 offset1:32
	ds_read_b128 v[56:59], v221
	ds_read_b128 v[60:63], v221 offset:16
	ds_read_b128 v[72:75], v221 offset:32
	;; [unrolled: 1-line block ×3, first 2 shown]
	ds_read2_b32 v[190:191], v210 offset0:64 offset1:96
	ds_read2_b32 v[194:195], v210 offset0:128 offset1:160
	ds_read_b128 v[88:91], v221 offset:64
	ds_read_b128 v[92:95], v221 offset:80
	ds_read2_b32 v[198:199], v210 offset0:192 offset1:224
	ds_read_b128 v[104:107], v221 offset:96
	ds_read_b128 v[116:119], v221 offset:112
	ds_read2_b32 v[202:203], v228 offset1:32
	ds_read_b128 v[128:131], v221 offset:128
	ds_read_b128 v[132:135], v221 offset:144
	ds_read2_b32 v[208:209], v228 offset0:64 offset1:96
	ds_read_b128 v[144:147], v221 offset:160
	ds_read_b128 v[148:151], v221 offset:176
	ds_read2_b32 v[206:207], v228 offset0:128 offset1:160
	ds_read_b128 v[140:143], v221 offset:192
	ds_read_b128 v[136:139], v221 offset:208
	ds_read2_b32 v[204:205], v228 offset0:192 offset1:224
	ds_read_b128 v[124:127], v221 offset:224
	ds_read_b128 v[120:123], v221 offset:240
	ds_read2_b32 v[200:201], v229 offset1:32
	ds_read_b128 v[112:115], v221 offset:256
	ds_read_b128 v[108:111], v221 offset:272
	ds_read2_b32 v[196:197], v229 offset0:64 offset1:96
	ds_read_b128 v[100:103], v221 offset:288
	ds_read_b128 v[96:99], v221 offset:304
	;; [unrolled: 12-line block ×4, first 2 shown]
	ds_read2_b32 v[182:183], v231 offset0:128 offset1:160
	s_waitcnt lgkmcnt(14)
	v_pk_fma_f16 v237, v186, v56, v237 op_sel_hi:[1,0,1]
	v_pk_fma_f16 v238, v186, v56, v238 op_sel:[0,1,0]
	v_pk_fma_f16 v239, v186, v57, v239 op_sel_hi:[1,0,1]
	v_pk_fma_f16 v240, v186, v57, v240 op_sel:[0,1,0]
	;; [unrolled: 2-line block ×108, first 2 shown]
	s_waitcnt lgkmcnt(13)
	v_pk_fma_f16 v236, v177, v28, v236 op_sel_hi:[1,0,1]
	v_pk_fma_f16 v237, v177, v28, v237 op_sel:[0,1,0]
	v_pk_fma_f16 v238, v177, v29, v238 op_sel_hi:[1,0,1]
	v_pk_fma_f16 v239, v177, v29, v239 op_sel:[0,1,0]
	v_pk_fma_f16 v240, v177, v30, v240 op_sel_hi:[1,0,1]
	v_pk_fma_f16 v241, v177, v30, v241 op_sel:[0,1,0]
	v_pk_fma_f16 v235, v177, v31, v235 op_sel_hi:[1,0,1]
	v_pk_fma_f16 v176, v177, v31, v176 op_sel:[0,1,0]
	s_waitcnt lgkmcnt(11)
	v_pk_fma_f16 v177, v172, v8, v236 op_sel_hi:[1,0,1]
	v_pk_fma_f16 v8, v172, v8, v237 op_sel:[0,1,0]
	v_pk_fma_f16 v236, v172, v9, v238 op_sel_hi:[1,0,1]
	v_pk_fma_f16 v9, v172, v9, v239 op_sel:[0,1,0]
	v_pk_fma_f16 v237, v172, v10, v240 op_sel_hi:[1,0,1]
	v_pk_fma_f16 v10, v172, v10, v241 op_sel:[0,1,0]
	v_pk_fma_f16 v235, v172, v11, v235 op_sel_hi:[1,0,1]
	v_pk_fma_f16 v11, v172, v11, v176 op_sel:[0,1,0]
	;; [unrolled: 9-line block ×4, first 2 shown]
	ds_read_b128 v[56:59], v221 offset:576
	s_waitcnt lgkmcnt(8)
	v_pk_fma_f16 v15, v175, v20, v15 op_sel_hi:[1,0,1]
	v_pk_fma_f16 v8, v175, v20, v8 op_sel:[0,1,0]
	v_pk_fma_f16 v12, v175, v21, v12 op_sel_hi:[1,0,1]
	v_pk_fma_f16 v9, v175, v21, v9 op_sel:[0,1,0]
	;; [unrolled: 2-line block ×4, first 2 shown]
	s_waitcnt lgkmcnt(6)
	v_pk_fma_f16 v15, v178, v32, v15 op_sel_hi:[1,0,1]
	v_pk_fma_f16 v8, v178, v32, v8 op_sel:[0,1,0]
	v_pk_fma_f16 v12, v178, v33, v12 op_sel_hi:[1,0,1]
	v_pk_fma_f16 v9, v178, v33, v9 op_sel:[0,1,0]
	;; [unrolled: 2-line block ×4, first 2 shown]
	ds_read_b128 v[60:63], v221 offset:592
	ds_read2_b32 v[186:187], v231 offset0:192 offset1:224
	ds_read_b128 v[72:75], v221 offset:608
	s_waitcnt lgkmcnt(8)
	v_pk_fma_f16 v15, v179, v36, v15 op_sel_hi:[1,0,1]
	v_pk_fma_f16 v8, v179, v36, v8 op_sel:[0,1,0]
	v_pk_fma_f16 v12, v179, v37, v12 op_sel_hi:[1,0,1]
	v_pk_fma_f16 v9, v179, v37, v9 op_sel:[0,1,0]
	;; [unrolled: 2-line block ×4, first 2 shown]
	s_waitcnt lgkmcnt(6)
	v_pk_fma_f16 v15, v180, v40, v15 op_sel_hi:[1,0,1]
	v_pk_fma_f16 v8, v180, v40, v8 op_sel:[0,1,0]
	v_pk_fma_f16 v12, v180, v41, v12 op_sel_hi:[1,0,1]
	v_pk_fma_f16 v9, v180, v41, v9 op_sel:[0,1,0]
	;; [unrolled: 2-line block ×4, first 2 shown]
	ds_read_b128 v[76:79], v221 offset:624
	ds_read2_b32 v[190:191], v232 offset1:32
	ds_read_b128 v[88:91], v221 offset:640
	s_waitcnt lgkmcnt(8)
	v_pk_fma_f16 v15, v181, v44, v15 op_sel_hi:[1,0,1]
	v_pk_fma_f16 v8, v181, v44, v8 op_sel:[0,1,0]
	v_pk_fma_f16 v12, v181, v45, v12 op_sel_hi:[1,0,1]
	v_pk_fma_f16 v9, v181, v45, v9 op_sel:[0,1,0]
	v_pk_fma_f16 v13, v181, v46, v13 op_sel_hi:[1,0,1]
	v_pk_fma_f16 v10, v181, v46, v10 op_sel:[0,1,0]
	v_pk_fma_f16 v14, v181, v47, v14 op_sel_hi:[1,0,1]
	v_pk_fma_f16 v11, v181, v47, v11 op_sel:[0,1,0]
	s_waitcnt lgkmcnt(6)
	v_pk_fma_f16 v15, v182, v56, v15 op_sel_hi:[1,0,1]
	v_pk_fma_f16 v8, v182, v56, v8 op_sel:[0,1,0]
	v_pk_fma_f16 v12, v182, v57, v12 op_sel_hi:[1,0,1]
	v_pk_fma_f16 v9, v182, v57, v9 op_sel:[0,1,0]
	v_pk_fma_f16 v13, v182, v58, v13 op_sel_hi:[1,0,1]
	v_pk_fma_f16 v10, v182, v58, v10 op_sel:[0,1,0]
	v_pk_fma_f16 v14, v182, v59, v14 op_sel_hi:[1,0,1]
	v_pk_fma_f16 v11, v182, v59, v11 op_sel:[0,1,0]
	ds_read_b128 v[92:95], v221 offset:656
	ds_read2_b32 v[194:195], v232 offset0:64 offset1:96
	ds_read_b128 v[104:107], v221 offset:672
	s_waitcnt lgkmcnt(8)
	v_pk_fma_f16 v15, v183, v60, v15 op_sel_hi:[1,0,1]
	v_pk_fma_f16 v8, v183, v60, v8 op_sel:[0,1,0]
	v_pk_fma_f16 v12, v183, v61, v12 op_sel_hi:[1,0,1]
	v_pk_fma_f16 v9, v183, v61, v9 op_sel:[0,1,0]
	v_pk_fma_f16 v13, v183, v62, v13 op_sel_hi:[1,0,1]
	v_pk_fma_f16 v10, v183, v62, v10 op_sel:[0,1,0]
	v_pk_fma_f16 v14, v183, v63, v14 op_sel_hi:[1,0,1]
	v_pk_fma_f16 v11, v183, v63, v11 op_sel:[0,1,0]
	s_waitcnt lgkmcnt(6)
	v_pk_fma_f16 v15, v186, v72, v15 op_sel_hi:[1,0,1]
	v_pk_fma_f16 v8, v186, v72, v8 op_sel:[0,1,0]
	v_pk_fma_f16 v12, v186, v73, v12 op_sel_hi:[1,0,1]
	v_pk_fma_f16 v9, v186, v73, v9 op_sel:[0,1,0]
	v_pk_fma_f16 v13, v186, v74, v13 op_sel_hi:[1,0,1]
	v_pk_fma_f16 v10, v186, v74, v10 op_sel:[0,1,0]
	v_pk_fma_f16 v14, v186, v75, v14 op_sel_hi:[1,0,1]
	v_pk_fma_f16 v11, v186, v75, v11 op_sel:[0,1,0]
	ds_read_b128 v[116:119], v221 offset:688
	ds_read2_b32 v[198:199], v232 offset0:128 offset1:160
	;; [unrolled: 21-line block ×3, first 2 shown]
	ds_read_b128 v[144:147], v221 offset:736
	s_waitcnt lgkmcnt(8)
	v_pk_fma_f16 v15, v191, v92, v15 op_sel_hi:[1,0,1]
	v_pk_fma_f16 v8, v191, v92, v8 op_sel:[0,1,0]
	v_pk_fma_f16 v12, v191, v93, v12 op_sel_hi:[1,0,1]
	v_pk_fma_f16 v9, v191, v93, v9 op_sel:[0,1,0]
	;; [unrolled: 2-line block ×4, first 2 shown]
	s_waitcnt lgkmcnt(6)
	v_pk_fma_f16 v15, v194, v104, v15 op_sel_hi:[1,0,1]
	v_pk_fma_f16 v8, v194, v104, v8 op_sel:[0,1,0]
	v_pk_fma_f16 v12, v194, v105, v12 op_sel_hi:[1,0,1]
	v_pk_fma_f16 v9, v194, v105, v9 op_sel:[0,1,0]
	;; [unrolled: 2-line block ×4, first 2 shown]
	ds_read_b128 v[148:151], v221 offset:752
	ds_read2_b32 v[208:209], v233 offset1:32
	ds_read_b128 v[140:143], v221 offset:768
	s_waitcnt lgkmcnt(8)
	v_pk_fma_f16 v15, v195, v116, v15 op_sel_hi:[1,0,1]
	v_pk_fma_f16 v8, v195, v116, v8 op_sel:[0,1,0]
	v_pk_fma_f16 v12, v195, v117, v12 op_sel_hi:[1,0,1]
	v_pk_fma_f16 v9, v195, v117, v9 op_sel:[0,1,0]
	v_pk_fma_f16 v13, v195, v118, v13 op_sel_hi:[1,0,1]
	v_pk_fma_f16 v10, v195, v118, v10 op_sel:[0,1,0]
	v_pk_fma_f16 v14, v195, v119, v14 op_sel_hi:[1,0,1]
	v_pk_fma_f16 v11, v195, v119, v11 op_sel:[0,1,0]
	s_waitcnt lgkmcnt(6)
	v_pk_fma_f16 v15, v198, v128, v15 op_sel_hi:[1,0,1]
	v_pk_fma_f16 v8, v198, v128, v8 op_sel:[0,1,0]
	v_pk_fma_f16 v12, v198, v129, v12 op_sel_hi:[1,0,1]
	v_pk_fma_f16 v9, v198, v129, v9 op_sel:[0,1,0]
	v_pk_fma_f16 v13, v198, v130, v13 op_sel_hi:[1,0,1]
	v_pk_fma_f16 v10, v198, v130, v10 op_sel:[0,1,0]
	v_pk_fma_f16 v14, v198, v131, v14 op_sel_hi:[1,0,1]
	v_pk_fma_f16 v11, v198, v131, v11 op_sel:[0,1,0]
	ds_read_b128 v[136:139], v221 offset:784
	ds_read2_b32 v[206:207], v233 offset0:64 offset1:96
	ds_read_b128 v[124:127], v221 offset:800
	s_waitcnt lgkmcnt(8)
	v_pk_fma_f16 v15, v199, v132, v15 op_sel_hi:[1,0,1]
	v_pk_fma_f16 v8, v199, v132, v8 op_sel:[0,1,0]
	v_pk_fma_f16 v12, v199, v133, v12 op_sel_hi:[1,0,1]
	v_pk_fma_f16 v9, v199, v133, v9 op_sel:[0,1,0]
	v_pk_fma_f16 v13, v199, v134, v13 op_sel_hi:[1,0,1]
	v_pk_fma_f16 v10, v199, v134, v10 op_sel:[0,1,0]
	v_pk_fma_f16 v14, v199, v135, v14 op_sel_hi:[1,0,1]
	v_pk_fma_f16 v11, v199, v135, v11 op_sel:[0,1,0]
	s_waitcnt lgkmcnt(6)
	v_pk_fma_f16 v15, v202, v144, v15 op_sel_hi:[1,0,1]
	v_pk_fma_f16 v8, v202, v144, v8 op_sel:[0,1,0]
	v_pk_fma_f16 v12, v202, v145, v12 op_sel_hi:[1,0,1]
	v_pk_fma_f16 v9, v202, v145, v9 op_sel:[0,1,0]
	v_pk_fma_f16 v13, v202, v146, v13 op_sel_hi:[1,0,1]
	v_pk_fma_f16 v10, v202, v146, v10 op_sel:[0,1,0]
	v_pk_fma_f16 v14, v202, v147, v14 op_sel_hi:[1,0,1]
	v_pk_fma_f16 v11, v202, v147, v11 op_sel:[0,1,0]
	ds_read_b128 v[120:123], v221 offset:816
	ds_read2_b32 v[204:205], v233 offset0:128 offset1:160
	;; [unrolled: 21-line block ×3, first 2 shown]
	ds_read_b128 v[100:103], v221 offset:864
	s_waitcnt lgkmcnt(8)
	v_pk_fma_f16 v15, v209, v136, v15 op_sel_hi:[1,0,1]
	v_pk_fma_f16 v8, v209, v136, v8 op_sel:[0,1,0]
	v_pk_fma_f16 v12, v209, v137, v12 op_sel_hi:[1,0,1]
	v_pk_fma_f16 v9, v209, v137, v9 op_sel:[0,1,0]
	;; [unrolled: 2-line block ×4, first 2 shown]
	s_waitcnt lgkmcnt(6)
	v_pk_fma_f16 v15, v206, v124, v15 op_sel_hi:[1,0,1]
	v_pk_fma_f16 v8, v206, v124, v8 op_sel:[0,1,0]
	v_pk_fma_f16 v12, v206, v125, v12 op_sel_hi:[1,0,1]
	v_pk_fma_f16 v9, v206, v125, v9 op_sel:[0,1,0]
	;; [unrolled: 2-line block ×4, first 2 shown]
	ds_read_b128 v[96:99], v221 offset:880
	ds_read2_b32 v[196:197], v234 offset1:32
	ds_read_b128 v[84:87], v221 offset:896
	s_waitcnt lgkmcnt(8)
	v_pk_fma_f16 v15, v207, v120, v15 op_sel_hi:[1,0,1]
	v_pk_fma_f16 v8, v207, v120, v8 op_sel:[0,1,0]
	v_pk_fma_f16 v12, v207, v121, v12 op_sel_hi:[1,0,1]
	v_pk_fma_f16 v9, v207, v121, v9 op_sel:[0,1,0]
	;; [unrolled: 2-line block ×4, first 2 shown]
	s_waitcnt lgkmcnt(6)
	v_pk_fma_f16 v15, v204, v112, v15 op_sel_hi:[1,0,1]
	v_pk_fma_f16 v8, v204, v112, v8 op_sel:[0,1,0]
	v_pk_fma_f16 v12, v204, v113, v12 op_sel_hi:[1,0,1]
	v_pk_fma_f16 v9, v204, v113, v9 op_sel:[0,1,0]
	;; [unrolled: 2-line block ×4, first 2 shown]
	ds_read_b128 v[80:83], v221 offset:912
	ds_read2_b32 v[192:193], v234 offset0:64 offset1:96
	ds_read_b128 v[68:71], v221 offset:928
	s_waitcnt lgkmcnt(8)
	v_pk_fma_f16 v15, v205, v108, v15 op_sel_hi:[1,0,1]
	v_pk_fma_f16 v8, v205, v108, v8 op_sel:[0,1,0]
	v_pk_fma_f16 v12, v205, v109, v12 op_sel_hi:[1,0,1]
	v_pk_fma_f16 v9, v205, v109, v9 op_sel:[0,1,0]
	;; [unrolled: 2-line block ×4, first 2 shown]
	s_waitcnt lgkmcnt(6)
	v_pk_fma_f16 v15, v200, v100, v15 op_sel_hi:[1,0,1]
	v_pk_fma_f16 v8, v200, v100, v8 op_sel:[0,1,0]
	v_pk_fma_f16 v12, v200, v101, v12 op_sel_hi:[1,0,1]
	v_pk_fma_f16 v9, v200, v101, v9 op_sel:[0,1,0]
	;; [unrolled: 2-line block ×4, first 2 shown]
	ds_read_b128 v[64:67], v221 offset:944
	ds_read2_b32 v[188:189], v234 offset0:128 offset1:160
	ds_read_b128 v[52:55], v221 offset:960
	s_waitcnt lgkmcnt(8)
	v_pk_fma_f16 v15, v201, v96, v15 op_sel_hi:[1,0,1]
	v_pk_fma_f16 v8, v201, v96, v8 op_sel:[0,1,0]
	v_pk_fma_f16 v12, v201, v97, v12 op_sel_hi:[1,0,1]
	v_pk_fma_f16 v9, v201, v97, v9 op_sel:[0,1,0]
	;; [unrolled: 2-line block ×4, first 2 shown]
	ds_read_b128 v[48:51], v221 offset:976
	ds_read2_b32 v[184:185], v234 offset0:192 offset1:224
	ds_read_b128 v[24:27], v221 offset:992
	ds_read_b128 v[28:31], v221 offset:1008
	s_waitcnt lgkmcnt(0)
	s_barrier
	s_load_dword s0, s[70:71], 0x4
	v_pk_fma_f16 v15, v196, v84, v15 op_sel_hi:[1,0,1]
	v_pk_fma_f16 v8, v196, v84, v8 op_sel:[0,1,0]
	v_pk_fma_f16 v12, v196, v85, v12 op_sel_hi:[1,0,1]
	v_pk_fma_f16 v9, v196, v85, v9 op_sel:[0,1,0]
	;; [unrolled: 2-line block ×20, first 2 shown]
	s_waitcnt lgkmcnt(0)
	s_lshl_b32 s0, s0, 6
	v_pk_fma_f16 v15, v189, v48, v15 op_sel_hi:[1,0,1]
	v_pk_fma_f16 v8, v189, v48, v8 op_sel:[0,1,0]
	v_pk_fma_f16 v12, v189, v49, v12 op_sel_hi:[1,0,1]
	v_pk_fma_f16 v9, v189, v49, v9 op_sel:[0,1,0]
	;; [unrolled: 2-line block ×4, first 2 shown]
	s_add_i32 s74, s0, s74
	v_pk_fma_f16 v15, v184, v24, v15 op_sel_hi:[1,0,1]
	v_pk_fma_f16 v8, v184, v24, v8 op_sel:[0,1,0]
	v_pk_fma_f16 v12, v184, v25, v12 op_sel_hi:[1,0,1]
	v_pk_fma_f16 v9, v184, v25, v9 op_sel:[0,1,0]
	;; [unrolled: 2-line block ×4, first 2 shown]
	s_cmp_ge_i32 s74, s86
	v_pk_fma_f16 v45, v185, v28, v15 op_sel_hi:[1,0,1]
	v_pk_fma_f16 v22, v185, v28, v8 op_sel:[0,1,0]
	v_pk_fma_f16 v44, v185, v29, v12 op_sel_hi:[1,0,1]
	v_pk_fma_f16 v20, v185, v29, v9 op_sel:[0,1,0]
	;; [unrolled: 2-line block ×4, first 2 shown]
	s_cbranch_scc0 .LBB0_9
.LBB0_10:
	v_cmp_lt_i32_e32 vcc, v215, v211
	v_cndmask_b32_e32 v8, v163, v215, vcc
	v_lshlrev_b32_e32 v17, 2, v8
	ds_bpermute_b32 v12, v17, v158
	ds_bpermute_b32 v13, v17, v159
	v_cmp_lt_i32_e32 vcc, v216, v211
	v_cndmask_b32_e32 v10, v163, v216, vcc
	v_cmp_lt_i32_e32 vcc, v214, v211
	v_lshlrev_b32_e32 v29, 2, v10
	v_cndmask_b32_e32 v10, v163, v214, vcc
	v_cmp_lt_i32_e32 vcc, v213, v211
	v_cndmask_b32_e32 v14, v163, v213, vcc
	s_waitcnt lgkmcnt(0)
	v_pk_add_f32 v[12:13], v[158:159], v[12:13]
	v_lshlrev_b32_e32 v31, 2, v14
	ds_bpermute_b32 v14, v29, v12
	ds_bpermute_b32 v15, v29, v13
	v_lshlrev_b32_e32 v30, 2, v10
	ds_bpermute_b32 v8, v17, v160
	ds_bpermute_b32 v9, v17, v161
	;; [unrolled: 1-line block ×3, first 2 shown]
	s_waitcnt lgkmcnt(3)
	v_pk_add_f32 v[12:13], v[12:13], v[14:15]
	ds_bpermute_b32 v14, v30, v12
	ds_bpermute_b32 v15, v30, v13
	;; [unrolled: 1-line block ×3, first 2 shown]
	s_waitcnt lgkmcnt(4)
	v_pk_add_f32 v[8:9], v[160:161], v[8:9]
	v_cmp_lt_i32_e32 vcc, v212, v211
	ds_bpermute_b32 v10, v29, v8
	s_waitcnt lgkmcnt(2)
	v_pk_add_f32 v[12:13], v[12:13], v[14:15]
	ds_bpermute_b32 v14, v17, v156
	ds_bpermute_b32 v15, v17, v157
	s_waitcnt lgkmcnt(3)
	v_pk_add_f32 v[24:25], v[154:155], v[24:25]
	ds_bpermute_b32 v11, v29, v9
	v_cndmask_b32_e32 v16, v163, v212, vcc
	ds_bpermute_b32 v28, v29, v24
	s_waitcnt lgkmcnt(2)
	v_pk_add_f32 v[14:15], v[156:157], v[14:15]
	ds_bpermute_b32 v26, v29, v14
	ds_bpermute_b32 v27, v29, v15
	;; [unrolled: 1-line block ×3, first 2 shown]
	v_lshlrev_b32_e32 v33, 2, v16
	ds_bpermute_b32 v16, v31, v12
	ds_bpermute_b32 v17, v31, v13
	s_waitcnt lgkmcnt(6)
	v_pk_add_f32 v[8:9], v[8:9], v[10:11]
	s_waitcnt lgkmcnt(3)
	v_pk_add_f32 v[14:15], v[14:15], v[26:27]
	s_waitcnt lgkmcnt(2)
	v_pk_add_f32 v[24:25], v[24:25], v[28:29]
	ds_bpermute_b32 v10, v30, v8
	ds_bpermute_b32 v11, v30, v9
	s_waitcnt lgkmcnt(2)
	v_pk_add_f32 v[12:13], v[12:13], v[16:17]
	ds_bpermute_b32 v16, v30, v14
	ds_bpermute_b32 v17, v30, v15
	;; [unrolled: 1-line block ×4, first 2 shown]
	s_waitcnt lgkmcnt(4)
	v_pk_add_f32 v[8:9], v[8:9], v[10:11]
	ds_bpermute_b32 v10, v31, v8
	s_waitcnt lgkmcnt(3)
	v_pk_add_f32 v[14:15], v[14:15], v[16:17]
	ds_bpermute_b32 v11, v31, v9
	;; [unrolled: 3-line block ×3, first 2 shown]
	ds_bpermute_b32 v17, v31, v15
	ds_bpermute_b32 v26, v31, v24
	;; [unrolled: 1-line block ×3, first 2 shown]
	s_waitcnt lgkmcnt(4)
	v_pk_add_f32 v[8:9], v[8:9], v[10:11]
	ds_bpermute_b32 v10, v33, v8
	s_waitcnt lgkmcnt(3)
	v_pk_add_f32 v[14:15], v[14:15], v[16:17]
	ds_bpermute_b32 v11, v33, v9
	;; [unrolled: 3-line block ×3, first 2 shown]
	ds_bpermute_b32 v29, v33, v13
	ds_bpermute_b32 v16, v33, v14
	;; [unrolled: 1-line block ×5, first 2 shown]
	s_cmp_lg_u64 s[72:73], 0
	s_cselect_b64 s[0:1], -1, 0
	s_cmp_eq_u32 s7, 0
	s_cselect_b64 s[2:3], -1, 0
	s_and_b64 s[0:1], s[2:3], s[0:1]
	v_lshlrev_b32_e32 v32, 1, v152
	s_waitcnt lgkmcnt(6)
	v_pk_add_f32 v[30:31], v[8:9], v[10:11]
	s_waitcnt lgkmcnt(4)
	v_pk_add_f32 v[28:29], v[12:13], v[28:29]
	;; [unrolled: 2-line block ×4, first 2 shown]
	s_and_b64 vcc, exec, s[0:1]
	s_cbranch_vccz .LBB0_12
; %bb.11:
	s_ashr_i32 s85, s84, 31
	s_lshl_b64 s[0:1], s[84:85], 2
	s_add_u32 s0, s72, s0
	s_addc_u32 s1, s73, s1
	v_mov_b32_e32 v8, 0
	global_load_dwordx4 v[34:37], v8, s[0:1]
	global_load_dwordx4 v[14:17], v8, s[0:1] offset:16
	v_max_f32_e32 v8, v1, v1
	v_max_f32_e32 v10, v0, v0
	;; [unrolled: 1-line block ×3, first 2 shown]
	s_mov_b32 s2, 0x3fb8aa3b
	v_max_f32_e32 v11, v3, v3
	s_mov_b32 s1, 0xc2ce8ed0
	s_mov_b32 s0, 0x42b17218
	v_mov_b32_e32 v33, 0x7f800000
	s_waitcnt vmcnt(1)
	v_max_f32_e32 v9, v35, v35
	v_max_f32_e32 v13, v34, v34
	;; [unrolled: 1-line block ×5, first 2 shown]
	v_pk_add_f32 v[0:1], v[0:1], v[8:9] neg_lo:[0,1] neg_hi:[0,1]
	v_max_f32_e32 v10, v12, v39
	v_pk_add_f32 v[12:13], v[34:35], v[8:9] neg_lo:[0,1] neg_hi:[0,1]
	v_mul_f32_e32 v34, 0x3fb8aa3b, v1
	v_max_f32_e32 v38, v37, v37
	v_mul_f32_e32 v35, 0x3fb8aa3b, v0
	v_fma_f32 v42, v1, s2, -v34
	v_rndne_f32_e32 v43, v34
	v_max_f32_e32 v11, v11, v38
	v_mul_f32_e32 v38, 0x3fb8aa3b, v13
	v_fma_f32 v46, v0, s2, -v35
	v_rndne_f32_e32 v47, v35
	v_fmac_f32_e32 v42, 0x32a5705f, v1
	v_sub_f32_e32 v34, v34, v43
	v_pk_add_f32 v[2:3], v[2:3], v[10:11] neg_lo:[0,1] neg_hi:[0,1]
	v_mul_f32_e32 v39, 0x3fb8aa3b, v12
	v_fma_f32 v48, v13, s2, -v38
	v_rndne_f32_e32 v49, v38
	v_fmac_f32_e32 v46, 0x32a5705f, v0
	v_sub_f32_e32 v35, v35, v47
	v_add_f32_e32 v34, v34, v42
	v_mul_f32_e32 v40, 0x3fb8aa3b, v3
	v_fma_f32 v50, v12, s2, -v39
	v_rndne_f32_e32 v51, v39
	v_cvt_i32_f32_e32 v43, v43
	v_fmac_f32_e32 v48, 0x32a5705f, v13
	v_sub_f32_e32 v38, v38, v49
	v_add_f32_e32 v35, v35, v46
	v_exp_f32_e32 v34, v34
	v_fma_f32 v52, v3, s2, -v40
	v_rndne_f32_e32 v53, v40
	v_cvt_i32_f32_e32 v47, v47
	v_fmac_f32_e32 v50, 0x32a5705f, v12
	v_sub_f32_e32 v39, v39, v51
	v_add_f32_e32 v38, v38, v48
	v_exp_f32_e32 v35, v35
	v_cvt_i32_f32_e32 v49, v49
	v_fmac_f32_e32 v52, 0x32a5705f, v3
	v_sub_f32_e32 v40, v40, v53
	v_add_f32_e32 v39, v39, v50
	v_exp_f32_e32 v38, v38
	v_cvt_i32_f32_e32 v51, v51
	v_add_f32_e32 v40, v40, v52
	v_exp_f32_e32 v39, v39
	v_cvt_i32_f32_e32 v53, v53
	v_exp_f32_e32 v40, v40
	v_ldexp_f32 v34, v34, v43
	v_cmp_ngt_f32_e32 vcc, s1, v1
	v_ldexp_f32 v35, v35, v47
	v_cndmask_b32_e32 v34, 0, v34, vcc
	v_cmp_ngt_f32_e32 vcc, s1, v0
	v_ldexp_f32 v38, v38, v49
	v_cndmask_b32_e32 v35, 0, v35, vcc
	;; [unrolled: 3-line block ×4, first 2 shown]
	v_cmp_ngt_f32_e32 vcc, s1, v3
	v_cndmask_b32_e32 v40, 0, v40, vcc
	v_cmp_nlt_f32_e32 vcc, s0, v1
	v_cndmask_b32_e32 v1, v33, v34, vcc
	v_cmp_nlt_f32_e32 vcc, s0, v0
	;; [unrolled: 2-line block ×3, first 2 shown]
	v_cndmask_b32_e32 v13, v33, v38, vcc
	v_cvt_f16_f32_e32 v34, v0
	v_cvt_f16_f32_e32 v35, v1
	v_cmp_nlt_f32_e32 vcc, s0, v12
	v_cndmask_b32_e32 v12, v33, v39, vcc
	v_mul_f32_e32 v41, 0x3fb8aa3b, v2
	v_pk_fma_f32 v[30:31], v[30:31], v[0:1], v[12:13]
	v_pk_add_f32 v[12:13], v[36:37], v[10:11] neg_lo:[0,1] neg_hi:[0,1]
	v_fma_f32 v54, v2, s2, -v41
	v_rndne_f32_e32 v55, v41
	v_cmp_nlt_f32_e32 vcc, s0, v3
	v_mul_f32_e32 v3, 0x3fb8aa3b, v13
	v_fmac_f32_e32 v54, 0x32a5705f, v2
	v_sub_f32_e32 v41, v41, v55
	v_pk_mul_f16 v45, v45, v34 op_sel_hi:[1,0]
	v_pk_mul_f16 v22, v35, v22 op_sel_hi:[0,1]
	v_fma_f32 v34, v13, s2, -v3
	v_rndne_f32_e32 v35, v3
	v_add_f32_e32 v41, v41, v54
	v_fmac_f32_e32 v34, 0x32a5705f, v13
	v_sub_f32_e32 v3, v3, v35
	v_cvt_i32_f32_e32 v55, v55
	v_exp_f32_e32 v41, v41
	v_add_f32_e32 v3, v3, v34
	v_exp_f32_e32 v3, v3
	v_cvt_i32_f32_e32 v34, v35
	v_cndmask_b32_e32 v1, v33, v40, vcc
	v_ldexp_f32 v0, v41, v55
	v_cmp_ngt_f32_e32 vcc, s1, v2
	v_cndmask_b32_e32 v0, 0, v0, vcc
	v_cmp_nlt_f32_e32 vcc, s0, v2
	v_ldexp_f32 v2, v3, v34
	v_mul_f32_e32 v3, 0x3fb8aa3b, v12
	v_fma_f32 v34, v12, s2, -v3
	v_rndne_f32_e32 v35, v3
	v_fmac_f32_e32 v34, 0x32a5705f, v12
	v_sub_f32_e32 v3, v3, v35
	v_add_f32_e32 v3, v3, v34
	v_exp_f32_e32 v34, v3
	v_cvt_i32_f32_e32 v35, v35
	v_cndmask_b32_e32 v0, v33, v0, vcc
	v_cmp_ngt_f32_e32 vcc, s1, v13
	v_cndmask_b32_e32 v2, 0, v2, vcc
	v_cmp_nlt_f32_e32 vcc, s0, v13
	v_cndmask_b32_e32 v3, v33, v2, vcc
	v_ldexp_f32 v2, v34, v35
	v_cmp_ngt_f32_e32 vcc, s1, v12
	v_cndmask_b32_e32 v2, 0, v2, vcc
	v_cmp_nlt_f32_e32 vcc, s0, v12
	s_waitcnt vmcnt(0)
	v_max_f32_e32 v12, v15, v15
	v_max_f32_e32 v13, v5, v5
	;; [unrolled: 1-line block ×6, first 2 shown]
	v_pk_add_f32 v[4:5], v[4:5], v[12:13] neg_lo:[0,1] neg_hi:[0,1]
	v_mul_f32_e32 v36, 0x3fb8aa3b, v5
	v_cndmask_b32_e32 v2, v33, v2, vcc
	v_fma_f32 v37, v5, s2, -v36
	v_rndne_f32_e32 v38, v36
	v_cvt_f16_f32_e32 v35, v1
	v_fmac_f32_e32 v37, 0x32a5705f, v5
	v_sub_f32_e32 v36, v36, v38
	v_pk_fma_f32 v[28:29], v[28:29], v[0:1], v[2:3]
	v_mul_f32_e32 v1, 0x3fb8aa3b, v4
	v_add_f32_e32 v36, v36, v37
	v_fma_f32 v2, v4, s2, -v1
	v_rndne_f32_e32 v3, v1
	v_exp_f32_e32 v36, v36
	v_cvt_i32_f32_e32 v37, v38
	v_fmac_f32_e32 v2, 0x32a5705f, v4
	v_sub_f32_e32 v1, v1, v3
	v_add_f32_e32 v1, v1, v2
	v_exp_f32_e32 v2, v1
	v_cvt_i32_f32_e32 v3, v3
	v_cvt_f16_f32_e32 v34, v0
	v_ldexp_f32 v0, v36, v37
	v_cmp_ngt_f32_e32 vcc, s1, v5
	v_cndmask_b32_e32 v0, 0, v0, vcc
	v_cmp_nlt_f32_e32 vcc, s0, v5
	v_cndmask_b32_e32 v1, v33, v0, vcc
	v_ldexp_f32 v0, v2, v3
	v_pk_add_f32 v[2:3], v[14:15], v[12:13] neg_lo:[0,1] neg_hi:[0,1]
	v_mul_f32_e32 v5, 0x3fb8aa3b, v3
	v_fma_f32 v14, v3, s2, -v5
	v_rndne_f32_e32 v15, v5
	v_fmac_f32_e32 v14, 0x32a5705f, v3
	v_sub_f32_e32 v5, v5, v15
	v_add_f32_e32 v5, v5, v14
	v_exp_f32_e32 v5, v5
	v_cvt_i32_f32_e32 v14, v15
	v_cmp_ngt_f32_e32 vcc, s1, v4
	v_cndmask_b32_e32 v0, 0, v0, vcc
	v_cmp_nlt_f32_e32 vcc, s0, v4
	v_ldexp_f32 v4, v5, v14
	v_mul_f32_e32 v5, 0x3fb8aa3b, v2
	v_fma_f32 v14, v2, s2, -v5
	v_rndne_f32_e32 v15, v5
	v_fmac_f32_e32 v14, 0x32a5705f, v2
	v_sub_f32_e32 v5, v5, v15
	v_add_f32_e32 v5, v5, v14
	v_exp_f32_e32 v5, v5
	v_cvt_i32_f32_e32 v14, v15
	v_cndmask_b32_e32 v0, v33, v0, vcc
	v_cmp_ngt_f32_e32 vcc, s1, v3
	v_cndmask_b32_e32 v4, 0, v4, vcc
	v_cmp_nlt_f32_e32 vcc, s0, v3
	v_cndmask_b32_e32 v3, v33, v4, vcc
	v_ldexp_f32 v4, v5, v14
	v_cmp_ngt_f32_e32 vcc, s1, v2
	v_cndmask_b32_e32 v4, 0, v4, vcc
	v_cmp_nlt_f32_e32 vcc, s0, v2
	v_cndmask_b32_e32 v2, v33, v4, vcc
	v_max_f32_e32 v4, v17, v17
	v_max_f32_e32 v5, v7, v7
	;; [unrolled: 1-line block ×6, first 2 shown]
	v_pk_add_f32 v[4:5], v[6:7], v[14:15] neg_lo:[0,1] neg_hi:[0,1]
	v_mul_f32_e32 v6, 0x3fb8aa3b, v5
	v_fma_f32 v7, v5, s2, -v6
	v_rndne_f32_e32 v36, v6
	v_pk_mul_f16 v20, v35, v20 op_sel_hi:[0,1]
	v_cvt_f16_f32_e32 v35, v1
	v_fmac_f32_e32 v7, 0x32a5705f, v5
	v_sub_f32_e32 v6, v6, v36
	v_pk_fma_f32 v[26:27], v[26:27], v[0:1], v[2:3]
	v_mul_f32_e32 v1, 0x3fb8aa3b, v4
	v_add_f32_e32 v6, v6, v7
	v_fma_f32 v2, v4, s2, -v1
	v_rndne_f32_e32 v3, v1
	v_exp_f32_e32 v6, v6
	v_cvt_i32_f32_e32 v7, v36
	v_fmac_f32_e32 v2, 0x32a5705f, v4
	v_sub_f32_e32 v1, v1, v3
	v_add_f32_e32 v1, v1, v2
	v_exp_f32_e32 v2, v1
	v_cvt_i32_f32_e32 v3, v3
	v_pk_mul_f16 v44, v34, v44 op_sel_hi:[0,1]
	v_cvt_f16_f32_e32 v34, v0
	v_ldexp_f32 v0, v6, v7
	v_cmp_ngt_f32_e32 vcc, s1, v5
	v_cndmask_b32_e32 v0, 0, v0, vcc
	v_cmp_nlt_f32_e32 vcc, s0, v5
	v_cndmask_b32_e32 v1, v33, v0, vcc
	v_ldexp_f32 v0, v2, v3
	v_pk_add_f32 v[2:3], v[16:17], v[14:15] neg_lo:[0,1] neg_hi:[0,1]
	v_mul_f32_e32 v5, 0x3fb8aa3b, v3
	v_fma_f32 v6, v3, s2, -v5
	v_rndne_f32_e32 v7, v5
	v_fmac_f32_e32 v6, 0x32a5705f, v3
	v_sub_f32_e32 v5, v5, v7
	v_add_f32_e32 v5, v5, v6
	v_exp_f32_e32 v5, v5
	v_cvt_i32_f32_e32 v6, v7
	v_cmp_ngt_f32_e32 vcc, s1, v4
	v_cndmask_b32_e32 v0, 0, v0, vcc
	v_cmp_nlt_f32_e32 vcc, s0, v4
	v_ldexp_f32 v4, v5, v6
	v_mul_f32_e32 v5, 0x3fb8aa3b, v2
	v_fma_f32 v6, v2, s2, -v5
	v_rndne_f32_e32 v7, v5
	v_fmac_f32_e32 v6, 0x32a5705f, v2
	v_sub_f32_e32 v5, v5, v7
	v_add_f32_e32 v5, v5, v6
	v_exp_f32_e32 v5, v5
	v_cvt_i32_f32_e32 v6, v7
	v_cndmask_b32_e32 v0, v33, v0, vcc
	v_cmp_ngt_f32_e32 vcc, s1, v3
	v_cndmask_b32_e32 v4, 0, v4, vcc
	v_cmp_nlt_f32_e32 vcc, s0, v3
	v_cndmask_b32_e32 v3, v33, v4, vcc
	v_ldexp_f32 v4, v5, v6
	v_cvt_f16_f32_e32 v5, v0
	v_cvt_f16_f32_e32 v6, v1
	v_cmp_ngt_f32_e32 vcc, s1, v2
	v_cndmask_b32_e32 v4, 0, v4, vcc
	v_cmp_nlt_f32_e32 vcc, s0, v2
	v_cndmask_b32_e32 v2, v33, v4, vcc
	v_pk_fma_f32 v[24:25], v[24:25], v[0:1], v[2:3]
	v_pk_mul_f16 v21, v5, v21 op_sel_hi:[0,1]
	v_pk_mul_f16 v19, v19, v6 op_sel_hi:[1,0]
	v_pk_mov_b32 v[0:1], v[8:9], v[8:9] op_sel:[0,1]
	v_pk_mul_f16 v23, v34, v23 op_sel_hi:[0,1]
	v_pk_mul_f16 v18, v35, v18 op_sel_hi:[0,1]
	v_pk_mov_b32 v[2:3], v[10:11], v[10:11] op_sel:[0,1]
	v_pk_mov_b32 v[4:5], v[12:13], v[12:13] op_sel:[0,1]
	;; [unrolled: 1-line block ×3, first 2 shown]
.LBB0_12:
	v_cmp_gt_i32_e32 vcc, s82, v153
	s_and_saveexec_b64 s[0:1], vcc
	s_cbranch_execz .LBB0_45
; %bb.13:
	s_load_dword s6, s[4:5], 0xd4
	v_mov_b32_e32 v10, 1.0
	s_waitcnt lgkmcnt(0)
	s_cmp_lg_u32 s6, 1
	s_cselect_b64 s[0:1], -1, 0
	s_cmp_eq_u32 s6, 1
	s_cselect_b64 s[4:5], -1, 0
	s_and_b64 vcc, exec, s[0:1]
	s_cbranch_vccnz .LBB0_15
; %bb.14:
	v_div_scale_f32 v8, s[2:3], v30, v30, 1.0
	v_rcp_f32_e32 v9, v8
	v_div_scale_f32 v10, vcc, 1.0, v30, 1.0
	v_fma_f32 v11, -v8, v9, 1.0
	v_fmac_f32_e32 v9, v11, v9
	v_mul_f32_e32 v11, v10, v9
	v_fma_f32 v12, -v8, v11, v10
	v_fmac_f32_e32 v11, v12, v9
	v_fma_f32 v8, -v8, v11, v10
	v_div_fmas_f32 v8, v8, v9, v11
	v_div_fixup_f32 v10, v8, v30, 1.0
.LBB0_15:
	s_mul_i32 s33, s33, s82
	v_add_u32_e32 v8, s33, v153
	v_mul_lo_u32 v8, v8, s83
	v_add_u32_e32 v8, s84, v8
	v_mul_lo_u32 v8, s6, v8
	v_add_u32_e32 v8, s7, v8
	v_cvt_f32_f16_sdwa v15, v45 dst_sel:DWORD dst_unused:UNUSED_PAD src0_sel:WORD_1
	v_cvt_f32_f16_e32 v14, v45
	v_lshl_add_u32 v12, v8, 6, v32
	v_mov_b32_e32 v13, 0
	v_cmp_eq_u32_e32 vcc, 0, v152
	v_lshlrev_b64 v[12:13], 2, v[12:13]
	s_and_b64 s[2:3], vcc, s[0:1]
	v_mov_b32_e32 v9, s77
	v_add_co_u32_e32 v12, vcc, s76, v12
	v_addc_co_u32_e32 v13, vcc, v9, v13, vcc
	v_pk_mul_f32 v[10:11], v[10:11], v[14:15] op_sel_hi:[0,1]
	global_store_dwordx2 v[12:13], v[10:11], off
	s_and_saveexec_b64 s[0:1], s[2:3]
	s_cbranch_execz .LBB0_17
; %bb.16:
	v_ashrrev_i32_e32 v9, 31, v8
	v_lshlrev_b64 v[10:11], 3, v[8:9]
	v_mov_b32_e32 v9, s79
	v_add_co_u32_e32 v10, vcc, s78, v10
	v_addc_co_u32_e32 v11, vcc, v9, v11, vcc
	v_mov_b32_e32 v12, v0
	v_mov_b32_e32 v13, v30
	global_store_dwordx2 v[10:11], v[12:13], off
.LBB0_17:
	s_or_b64 exec, exec, s[0:1]
	v_cndmask_b32_e64 v0, 0, 1, s[4:5]
	v_cmp_ne_u32_e64 s[0:1], 1, v0
	s_andn2_b64 vcc, exec, s[4:5]
	v_mov_b32_e32 v0, 1.0
	s_cbranch_vccnz .LBB0_19
; %bb.18:
	v_div_scale_f32 v0, s[4:5], v31, v31, 1.0
	v_rcp_f32_e32 v9, v0
	v_div_scale_f32 v10, vcc, 1.0, v31, 1.0
	v_fma_f32 v11, -v0, v9, 1.0
	v_fmac_f32_e32 v9, v11, v9
	v_mul_f32_e32 v11, v10, v9
	v_fma_f32 v12, -v0, v11, v10
	v_fmac_f32_e32 v11, v12, v9
	v_fma_f32 v0, -v0, v11, v10
	v_div_fmas_f32 v0, v0, v9, v11
	v_div_fixup_f32 v0, v0, v31, 1.0
.LBB0_19:
	v_add_u32_e32 v8, s6, v8
	v_cvt_f32_f16_sdwa v13, v22 dst_sel:DWORD dst_unused:UNUSED_PAD src0_sel:WORD_1
	v_cvt_f32_f16_e32 v12, v22
	v_lshl_add_u32 v10, v8, 6, v32
	v_mov_b32_e32 v11, 0
	v_lshlrev_b64 v[10:11], 2, v[10:11]
	v_mov_b32_e32 v9, s77
	v_add_co_u32_e32 v10, vcc, s76, v10
	v_addc_co_u32_e32 v11, vcc, v9, v11, vcc
	v_pk_mul_f32 v[12:13], v[0:1], v[12:13] op_sel_hi:[0,1]
	global_store_dwordx2 v[10:11], v[12:13], off
	s_and_saveexec_b64 s[4:5], s[2:3]
	s_cbranch_execz .LBB0_21
; %bb.20:
	v_ashrrev_i32_e32 v9, 31, v8
	v_lshlrev_b64 v[10:11], 3, v[8:9]
	v_mov_b32_e32 v0, s79
	v_add_co_u32_e32 v10, vcc, s78, v10
	v_addc_co_u32_e32 v11, vcc, v0, v11, vcc
	v_mov_b32_e32 v30, v1
	global_store_dwordx2 v[10:11], v[30:31], off
.LBB0_21:
	s_or_b64 exec, exec, s[4:5]
	s_and_b64 vcc, exec, s[0:1]
	v_mov_b32_e32 v10, 1.0
	s_cbranch_vccnz .LBB0_23
; %bb.22:
	v_div_scale_f32 v0, s[4:5], v28, v28, 1.0
	v_rcp_f32_e32 v1, v0
	v_div_scale_f32 v9, vcc, 1.0, v28, 1.0
	v_fma_f32 v10, -v0, v1, 1.0
	v_fmac_f32_e32 v1, v10, v1
	v_mul_f32_e32 v10, v9, v1
	v_fma_f32 v11, -v0, v10, v9
	v_fmac_f32_e32 v10, v11, v1
	v_fma_f32 v0, -v0, v10, v9
	v_div_fmas_f32 v0, v0, v1, v10
	v_div_fixup_f32 v10, v0, v28, 1.0
.LBB0_23:
	v_add_u32_e32 v0, s6, v8
	v_cvt_f32_f16_sdwa v13, v44 dst_sel:DWORD dst_unused:UNUSED_PAD src0_sel:WORD_1
	v_cvt_f32_f16_e32 v12, v44
	v_lshl_add_u32 v8, v0, 6, v32
	v_mov_b32_e32 v9, 0
	v_lshlrev_b64 v[8:9], 2, v[8:9]
	v_mov_b32_e32 v1, s77
	v_add_co_u32_e32 v8, vcc, s76, v8
	v_addc_co_u32_e32 v9, vcc, v1, v9, vcc
	v_pk_mul_f32 v[10:11], v[10:11], v[12:13] op_sel_hi:[0,1]
	global_store_dwordx2 v[8:9], v[10:11], off
	s_and_saveexec_b64 s[4:5], s[2:3]
	s_cbranch_execz .LBB0_25
; %bb.24:
	v_ashrrev_i32_e32 v1, 31, v0
	v_lshlrev_b64 v[8:9], 3, v[0:1]
	v_mov_b32_e32 v1, s79
	v_add_co_u32_e32 v8, vcc, s78, v8
	v_addc_co_u32_e32 v9, vcc, v1, v9, vcc
	v_mov_b32_e32 v10, v2
	v_mov_b32_e32 v11, v28
	global_store_dwordx2 v[8:9], v[10:11], off
.LBB0_25:
	s_or_b64 exec, exec, s[4:5]
	s_and_b64 vcc, exec, s[0:1]
	v_mov_b32_e32 v2, 1.0
	s_cbranch_vccnz .LBB0_27
; %bb.26:
	v_div_scale_f32 v1, s[4:5], v29, v29, 1.0
	v_rcp_f32_e32 v2, v1
	v_div_scale_f32 v8, vcc, 1.0, v29, 1.0
	v_fma_f32 v9, -v1, v2, 1.0
	v_fmac_f32_e32 v2, v9, v2
	v_mul_f32_e32 v9, v8, v2
	v_fma_f32 v10, -v1, v9, v8
	v_fmac_f32_e32 v9, v10, v2
	v_fma_f32 v1, -v1, v9, v8
	v_div_fmas_f32 v1, v1, v2, v9
	v_div_fixup_f32 v2, v1, v29, 1.0
.LBB0_27:
	v_add_u32_e32 v0, s6, v0
	v_cvt_f32_f16_sdwa v11, v20 dst_sel:DWORD dst_unused:UNUSED_PAD src0_sel:WORD_1
	v_cvt_f32_f16_e32 v10, v20
	v_lshl_add_u32 v8, v0, 6, v32
	v_mov_b32_e32 v9, 0
	v_lshlrev_b64 v[8:9], 2, v[8:9]
	v_mov_b32_e32 v1, s77
	v_add_co_u32_e32 v8, vcc, s76, v8
	v_addc_co_u32_e32 v9, vcc, v1, v9, vcc
	v_pk_mul_f32 v[10:11], v[2:3], v[10:11] op_sel_hi:[0,1]
	global_store_dwordx2 v[8:9], v[10:11], off
	s_and_saveexec_b64 s[4:5], s[2:3]
	s_cbranch_execz .LBB0_29
; %bb.28:
	v_ashrrev_i32_e32 v1, 31, v0
	v_lshlrev_b64 v[8:9], 3, v[0:1]
	v_mov_b32_e32 v1, s79
	v_add_co_u32_e32 v8, vcc, s78, v8
	v_addc_co_u32_e32 v9, vcc, v1, v9, vcc
	v_mov_b32_e32 v28, v3
	global_store_dwordx2 v[8:9], v[28:29], off
.LBB0_29:
	s_or_b64 exec, exec, s[4:5]
	s_and_b64 vcc, exec, s[0:1]
	v_mov_b32_e32 v2, 1.0
	s_cbranch_vccnz .LBB0_31
; %bb.30:
	v_div_scale_f32 v1, s[4:5], v26, v26, 1.0
	v_rcp_f32_e32 v2, v1
	v_div_scale_f32 v3, vcc, 1.0, v26, 1.0
	v_fma_f32 v8, -v1, v2, 1.0
	v_fmac_f32_e32 v2, v8, v2
	v_mul_f32_e32 v8, v3, v2
	v_fma_f32 v9, -v1, v8, v3
	v_fmac_f32_e32 v8, v9, v2
	v_fma_f32 v1, -v1, v8, v3
	v_div_fmas_f32 v1, v1, v2, v8
	v_div_fixup_f32 v2, v1, v26, 1.0
.LBB0_31:
	v_add_u32_e32 v0, s6, v0
	v_cvt_f32_f16_sdwa v11, v23 dst_sel:DWORD dst_unused:UNUSED_PAD src0_sel:WORD_1
	v_cvt_f32_f16_e32 v10, v23
	v_lshl_add_u32 v8, v0, 6, v32
	v_mov_b32_e32 v9, 0
	v_lshlrev_b64 v[8:9], 2, v[8:9]
	v_mov_b32_e32 v1, s77
	v_add_co_u32_e32 v8, vcc, s76, v8
	v_addc_co_u32_e32 v9, vcc, v1, v9, vcc
	v_pk_mul_f32 v[2:3], v[2:3], v[10:11] op_sel_hi:[0,1]
	global_store_dwordx2 v[8:9], v[2:3], off
	s_and_saveexec_b64 s[4:5], s[2:3]
	s_cbranch_execz .LBB0_33
; %bb.32:
	v_ashrrev_i32_e32 v1, 31, v0
	v_lshlrev_b64 v[2:3], 3, v[0:1]
	v_mov_b32_e32 v1, s79
	v_add_co_u32_e32 v2, vcc, s78, v2
	v_addc_co_u32_e32 v3, vcc, v1, v3, vcc
	v_mov_b32_e32 v8, v4
	v_mov_b32_e32 v9, v26
	global_store_dwordx2 v[2:3], v[8:9], off
.LBB0_33:
	s_or_b64 exec, exec, s[4:5]
	s_and_b64 vcc, exec, s[0:1]
	v_mov_b32_e32 v2, 1.0
	s_cbranch_vccnz .LBB0_35
; %bb.34:
	v_div_scale_f32 v1, s[4:5], v27, v27, 1.0
	v_rcp_f32_e32 v2, v1
	v_div_scale_f32 v3, vcc, 1.0, v27, 1.0
	v_fma_f32 v4, -v1, v2, 1.0
	v_fmac_f32_e32 v2, v4, v2
	v_mul_f32_e32 v4, v3, v2
	v_fma_f32 v8, -v1, v4, v3
	v_fmac_f32_e32 v4, v8, v2
	v_fma_f32 v1, -v1, v4, v3
	v_div_fmas_f32 v1, v1, v2, v4
	v_div_fixup_f32 v2, v1, v27, 1.0
.LBB0_35:
	v_add_u32_e32 v0, s6, v0
	v_cvt_f32_f16_sdwa v11, v18 dst_sel:DWORD dst_unused:UNUSED_PAD src0_sel:WORD_1
	v_cvt_f32_f16_e32 v10, v18
	v_lshl_add_u32 v8, v0, 6, v32
	v_mov_b32_e32 v9, 0
	v_lshlrev_b64 v[8:9], 2, v[8:9]
	v_mov_b32_e32 v1, s77
	v_add_co_u32_e32 v8, vcc, s76, v8
	v_addc_co_u32_e32 v9, vcc, v1, v9, vcc
	v_pk_mul_f32 v[2:3], v[2:3], v[10:11] op_sel_hi:[0,1]
	global_store_dwordx2 v[8:9], v[2:3], off
	s_and_saveexec_b64 s[4:5], s[2:3]
	s_cbranch_execz .LBB0_37
; %bb.36:
	v_ashrrev_i32_e32 v1, 31, v0
	v_lshlrev_b64 v[2:3], 3, v[0:1]
	v_mov_b32_e32 v1, s79
	v_add_co_u32_e32 v2, vcc, s78, v2
	v_addc_co_u32_e32 v3, vcc, v1, v3, vcc
	v_mov_b32_e32 v26, v5
	global_store_dwordx2 v[2:3], v[26:27], off
.LBB0_37:
	s_or_b64 exec, exec, s[4:5]
	s_and_b64 vcc, exec, s[0:1]
	v_mov_b32_e32 v2, 1.0
	s_cbranch_vccnz .LBB0_39
; %bb.38:
	v_div_scale_f32 v1, s[4:5], v24, v24, 1.0
	v_rcp_f32_e32 v2, v1
	v_div_scale_f32 v3, vcc, 1.0, v24, 1.0
	v_fma_f32 v4, -v1, v2, 1.0
	v_fmac_f32_e32 v2, v4, v2
	v_mul_f32_e32 v4, v3, v2
	v_fma_f32 v5, -v1, v4, v3
	v_fmac_f32_e32 v4, v5, v2
	v_fma_f32 v1, -v1, v4, v3
	v_div_fmas_f32 v1, v1, v2, v4
	v_div_fixup_f32 v2, v1, v24, 1.0
.LBB0_39:
	v_add_u32_e32 v0, s6, v0
	v_cvt_f32_f16_sdwa v9, v21 dst_sel:DWORD dst_unused:UNUSED_PAD src0_sel:WORD_1
	v_cvt_f32_f16_e32 v8, v21
	v_lshl_add_u32 v4, v0, 6, v32
	v_mov_b32_e32 v5, 0
	v_lshlrev_b64 v[4:5], 2, v[4:5]
	v_mov_b32_e32 v1, s77
	v_add_co_u32_e32 v4, vcc, s76, v4
	v_addc_co_u32_e32 v5, vcc, v1, v5, vcc
	v_pk_mul_f32 v[2:3], v[2:3], v[8:9] op_sel_hi:[0,1]
	global_store_dwordx2 v[4:5], v[2:3], off
	s_and_saveexec_b64 s[4:5], s[2:3]
	s_cbranch_execz .LBB0_41
; %bb.40:
	v_ashrrev_i32_e32 v1, 31, v0
	v_lshlrev_b64 v[2:3], 3, v[0:1]
	v_mov_b32_e32 v1, s79
	v_add_co_u32_e32 v2, vcc, s78, v2
	v_addc_co_u32_e32 v3, vcc, v1, v3, vcc
	v_mov_b32_e32 v4, v6
	v_mov_b32_e32 v5, v24
	global_store_dwordx2 v[2:3], v[4:5], off
.LBB0_41:
	s_or_b64 exec, exec, s[4:5]
	s_and_b64 vcc, exec, s[0:1]
	v_mov_b32_e32 v2, 1.0
	s_cbranch_vccnz .LBB0_43
; %bb.42:
	v_div_scale_f32 v1, s[0:1], v25, v25, 1.0
	v_rcp_f32_e32 v2, v1
	v_div_scale_f32 v3, vcc, 1.0, v25, 1.0
	v_fma_f32 v4, -v1, v2, 1.0
	v_fmac_f32_e32 v2, v4, v2
	v_mul_f32_e32 v4, v3, v2
	v_fma_f32 v5, -v1, v4, v3
	v_fmac_f32_e32 v4, v5, v2
	v_fma_f32 v1, -v1, v4, v3
	v_div_fmas_f32 v1, v1, v2, v4
	v_div_fixup_f32 v2, v1, v25, 1.0
.LBB0_43:
	v_add_u32_e32 v0, s6, v0
	v_cvt_f32_f16_sdwa v9, v19 dst_sel:DWORD dst_unused:UNUSED_PAD src0_sel:WORD_1
	v_cvt_f32_f16_e32 v8, v19
	v_lshl_add_u32 v4, v0, 6, v32
	v_mov_b32_e32 v5, 0
	v_lshlrev_b64 v[4:5], 2, v[4:5]
	v_mov_b32_e32 v1, s77
	v_add_co_u32_e32 v4, vcc, s76, v4
	v_addc_co_u32_e32 v5, vcc, v1, v5, vcc
	v_pk_mul_f32 v[2:3], v[2:3], v[8:9] op_sel_hi:[0,1]
	global_store_dwordx2 v[4:5], v[2:3], off
	s_and_b64 exec, exec, s[2:3]
	s_cbranch_execz .LBB0_45
; %bb.44:
	v_ashrrev_i32_e32 v1, 31, v0
	v_lshlrev_b64 v[0:1], 3, v[0:1]
	v_mov_b32_e32 v2, s79
	v_add_co_u32_e32 v0, vcc, s78, v0
	v_addc_co_u32_e32 v1, vcc, v2, v1, vcc
	v_mov_b32_e32 v24, v7
	global_store_dwordx2 v[0:1], v[24:25], off
.LBB0_45:
	s_endpgm
	.section	.rodata,"a",@progbits
	.p2align	6, 0x0
	.amdhsa_kernel _ZL15flash_attn_tileILi64ELi64ELi8ELi8ELb0EEvPKcS1_S1_S1_S1_PKiPfP15HIP_vector_typeIfLj2EEffffjfiS5_IjLj3EEiiiiiiiiiiiliiliiiiil
		.amdhsa_group_segment_fixed_size 25600
		.amdhsa_private_segment_fixed_size 0
		.amdhsa_kernarg_size 464
		.amdhsa_user_sgpr_count 6
		.amdhsa_user_sgpr_private_segment_buffer 1
		.amdhsa_user_sgpr_dispatch_ptr 0
		.amdhsa_user_sgpr_queue_ptr 0
		.amdhsa_user_sgpr_kernarg_segment_ptr 1
		.amdhsa_user_sgpr_dispatch_id 0
		.amdhsa_user_sgpr_flat_scratch_init 0
		.amdhsa_user_sgpr_kernarg_preload_length 0
		.amdhsa_user_sgpr_kernarg_preload_offset 0
		.amdhsa_user_sgpr_private_segment_size 0
		.amdhsa_uses_dynamic_stack 0
		.amdhsa_system_sgpr_private_segment_wavefront_offset 0
		.amdhsa_system_sgpr_workgroup_id_x 1
		.amdhsa_system_sgpr_workgroup_id_y 1
		.amdhsa_system_sgpr_workgroup_id_z 1
		.amdhsa_system_sgpr_workgroup_info 0
		.amdhsa_system_vgpr_workitem_id 1
		.amdhsa_next_free_vgpr 243
		.amdhsa_next_free_sgpr 93
		.amdhsa_accum_offset 244
		.amdhsa_reserve_vcc 1
		.amdhsa_reserve_flat_scratch 0
		.amdhsa_float_round_mode_32 0
		.amdhsa_float_round_mode_16_64 0
		.amdhsa_float_denorm_mode_32 3
		.amdhsa_float_denorm_mode_16_64 3
		.amdhsa_dx10_clamp 1
		.amdhsa_ieee_mode 1
		.amdhsa_fp16_overflow 0
		.amdhsa_tg_split 0
		.amdhsa_exception_fp_ieee_invalid_op 0
		.amdhsa_exception_fp_denorm_src 0
		.amdhsa_exception_fp_ieee_div_zero 0
		.amdhsa_exception_fp_ieee_overflow 0
		.amdhsa_exception_fp_ieee_underflow 0
		.amdhsa_exception_fp_ieee_inexact 0
		.amdhsa_exception_int_div_zero 0
	.end_amdhsa_kernel
	.section	.text._ZL15flash_attn_tileILi64ELi64ELi8ELi8ELb0EEvPKcS1_S1_S1_S1_PKiPfP15HIP_vector_typeIfLj2EEffffjfiS5_IjLj3EEiiiiiiiiiiiliiliiiiil,"axG",@progbits,_ZL15flash_attn_tileILi64ELi64ELi8ELi8ELb0EEvPKcS1_S1_S1_S1_PKiPfP15HIP_vector_typeIfLj2EEffffjfiS5_IjLj3EEiiiiiiiiiiiliiliiiiil,comdat
.Lfunc_end0:
	.size	_ZL15flash_attn_tileILi64ELi64ELi8ELi8ELb0EEvPKcS1_S1_S1_S1_PKiPfP15HIP_vector_typeIfLj2EEffffjfiS5_IjLj3EEiiiiiiiiiiiliiliiiiil, .Lfunc_end0-_ZL15flash_attn_tileILi64ELi64ELi8ELi8ELb0EEvPKcS1_S1_S1_S1_PKiPfP15HIP_vector_typeIfLj2EEffffjfiS5_IjLj3EEiiiiiiiiiiiliiliiiiil
                                        ; -- End function
	.section	.AMDGPU.csdata,"",@progbits
; Kernel info:
; codeLenInByte = 19656
; NumSgprs: 97
; NumVgprs: 243
; NumAgprs: 0
; TotalNumVgprs: 243
; ScratchSize: 0
; MemoryBound: 0
; FloatMode: 240
; IeeeMode: 1
; LDSByteSize: 25600 bytes/workgroup (compile time only)
; SGPRBlocks: 12
; VGPRBlocks: 30
; NumSGPRsForWavesPerEU: 97
; NumVGPRsForWavesPerEU: 243
; AccumOffset: 244
; Occupancy: 2
; WaveLimiterHint : 1
; COMPUTE_PGM_RSRC2:SCRATCH_EN: 0
; COMPUTE_PGM_RSRC2:USER_SGPR: 6
; COMPUTE_PGM_RSRC2:TRAP_HANDLER: 0
; COMPUTE_PGM_RSRC2:TGID_X_EN: 1
; COMPUTE_PGM_RSRC2:TGID_Y_EN: 1
; COMPUTE_PGM_RSRC2:TGID_Z_EN: 1
; COMPUTE_PGM_RSRC2:TIDIG_COMP_CNT: 1
; COMPUTE_PGM_RSRC3_GFX90A:ACCUM_OFFSET: 60
; COMPUTE_PGM_RSRC3_GFX90A:TG_SPLIT: 0
	.section	.text._ZL25flash_attn_mask_to_KV_maxILi8EEvPK7__half2Piiii,"axG",@progbits,_ZL25flash_attn_mask_to_KV_maxILi8EEvPK7__half2Piiii,comdat
	.globl	_ZL25flash_attn_mask_to_KV_maxILi8EEvPK7__half2Piiii ; -- Begin function _ZL25flash_attn_mask_to_KV_maxILi8EEvPK7__half2Piiii
	.p2align	8
	.type	_ZL25flash_attn_mask_to_KV_maxILi8EEvPK7__half2Piiii,@function
_ZL25flash_attn_mask_to_KV_maxILi8EEvPK7__half2Piiii: ; @_ZL25flash_attn_mask_to_KV_maxILi8EEvPK7__half2Piiii
; %bb.0:
	s_load_dwordx4 s[8:11], s[4:5], 0x0
	v_cmp_gt_u32_e32 vcc, 32, v0
	s_and_saveexec_b64 s[0:1], vcc
	s_cbranch_execz .LBB1_2
; %bb.1:
	v_lshlrev_b32_e32 v1, 2, v0
	v_mov_b32_e32 v2, 1
	ds_write_b32 v1, v2
.LBB1_2:
	s_or_b64 exec, exec, s[0:1]
	s_load_dwordx4 s[12:15], s[4:5], 0x10
	s_load_dword s33, s[4:5], 0x20
	v_and_b32_e32 v2, 31, v0
	v_lshlrev_b32_e32 v6, 2, v2
	v_lshrrev_b32_e32 v1, 3, v0
	s_waitcnt lgkmcnt(0)
	s_mul_i32 s1, s6, s13
	s_mul_i32 s0, s7, s14
	s_lshl_b32 s1, s1, 3
	s_add_i32 s0, s0, s1
	s_ashr_i32 s1, s0, 31
	s_lshl_b64 s[0:1], s[0:1], 2
	s_add_u32 s42, s8, s0
	s_addc_u32 s43, s9, s1
	v_cmp_eq_u32_e64 s[0:1], 0, v2
	v_mbcnt_lo_u32_b32 v2, -1, 0
	v_mbcnt_hi_u32_b32 v7, -1, v2
	v_and_b32_e32 v2, 0x60, v7
	s_lshl_b32 s12, s12, 8
	s_mov_b64 s[4:5], 0
	v_mov_b32_e32 v3, 0
	s_movk_i32 s44, 0x204
	s_movk_i32 s45, 0x7fff
	;; [unrolled: 1-line block ×3, first 2 shown]
	v_add_u32_e32 v8, 32, v2
	v_xor_b32_e32 v9, 16, v7
	s_barrier
	s_waitcnt lgkmcnt(0)
                                        ; implicit-def: $sgpr2_sgpr3
	s_branch .LBB1_5
.LBB1_3:                                ;   in Loop: Header=BB1_5 Depth=1
	s_or_b64 exec, exec, s[8:9]
	s_waitcnt lgkmcnt(0)
	s_barrier
	ds_read_b32 v12, v6
	s_waitcnt lgkmcnt(0)
	s_barrier
	ds_bpermute_b32 v2, v2, v12
	v_cmp_ne_u32_e32 vcc, 0, v12
	s_waitcnt lgkmcnt(0)
	v_cmp_ne_u32_e64 s[2:3], 0, v2
	s_and_b64 s[2:3], vcc, s[2:3]
	v_cndmask_b32_e64 v2, 0, 1, s[2:3]
	ds_bpermute_b32 v2, v4, v2
	s_waitcnt lgkmcnt(0)
	v_cmp_ne_u32_e32 vcc, 0, v2
	s_and_b64 s[2:3], vcc, s[2:3]
	v_cndmask_b32_e64 v2, 0, 1, s[2:3]
	ds_bpermute_b32 v2, v5, v2
	s_waitcnt lgkmcnt(0)
	v_cmp_ne_u32_e32 vcc, 0, v2
	s_and_b64 s[2:3], vcc, s[2:3]
	v_cndmask_b32_e64 v2, 0, 1, s[2:3]
	ds_bpermute_b32 v2, v10, v2
	s_waitcnt lgkmcnt(0)
	v_cmp_ne_u32_e32 vcc, 0, v2
	s_and_b64 s[2:3], vcc, s[2:3]
	v_cndmask_b32_e64 v2, 0, 1, s[2:3]
	ds_bpermute_b32 v2, v11, v2
	s_xor_b64 s[2:3], s[2:3], -1
	s_waitcnt lgkmcnt(0)
	v_cmp_eq_u32_e32 vcc, 0, v2
	s_or_b64 s[2:3], vcc, s[2:3]
.LBB1_4:                                ;   in Loop: Header=BB1_5 Depth=1
	s_and_b64 s[8:9], exec, s[2:3]
	s_or_b64 s[4:5], s[8:9], s[4:5]
	v_mov_b32_e32 v2, s12
	s_mov_b32 s12, s47
	s_andn2_b64 exec, exec, s[4:5]
	s_cbranch_execz .LBB1_36
.LBB1_5:                                ; =>This Inner Loop Header: Depth=1
	s_add_i32 s47, s12, 0xffffff00
	s_or_b64 s[2:3], s[2:3], exec
	s_cmp_lt_i32 s47, 0
	s_cbranch_scc1 .LBB1_4
; %bb.6:                                ;   in Loop: Header=BB1_5 Depth=1
	s_lshr_b32 s2, s47, 1
	v_add_u32_e32 v2, s2, v0
	v_lshlrev_b64 v[4:5], 2, v[2:3]
	v_mov_b32_e32 v10, s43
	v_add_co_u32_e32 v4, vcc, s42, v4
	v_addc_co_u32_e32 v5, vcc, v10, v5, vcc
	global_load_dword v4, v[4:5], off
	s_mov_b64 s[8:9], 0
	s_waitcnt vmcnt(0)
	v_cmp_class_f16_e64 s[2:3], v4, s44
	v_and_b32_sdwa v4, s45, v4 dst_sel:DWORD dst_unused:UNUSED_PAD src0_sel:DWORD src1_sel:WORD_1
	v_cmp_eq_f16_e32 vcc, s46, v4
	s_and_b64 s[14:15], s[2:3], vcc
	s_and_saveexec_b64 s[2:3], s[14:15]
	s_cbranch_execz .LBB1_34
; %bb.7:                                ;   in Loop: Header=BB1_5 Depth=1
	v_add_u32_e32 v4, s13, v2
	v_ashrrev_i32_e32 v5, 31, v4
	v_lshlrev_b64 v[10:11], 2, v[4:5]
	v_mov_b32_e32 v2, s43
	v_add_co_u32_e32 v10, vcc, s42, v10
	v_addc_co_u32_e32 v11, vcc, v2, v11, vcc
	global_load_dword v2, v[10:11], off
	s_mov_b64 s[14:15], 0
	s_waitcnt vmcnt(0)
	v_cmp_class_f16_e64 s[16:17], v2, s44
	s_and_saveexec_b64 s[8:9], s[16:17]
	s_cbranch_execz .LBB1_33
; %bb.8:                                ;   in Loop: Header=BB1_5 Depth=1
	v_cmp_class_f16_sdwa s[18:19], v2, s44 src0_sel:WORD_1 src1_sel:DWORD
	s_mov_b64 s[16:17], 0
	s_and_saveexec_b64 s[14:15], s[18:19]
	s_cbranch_execz .LBB1_32
; %bb.9:                                ;   in Loop: Header=BB1_5 Depth=1
	v_add_u32_e32 v4, s13, v4
	v_ashrrev_i32_e32 v5, 31, v4
	v_lshlrev_b64 v[10:11], 2, v[4:5]
	v_mov_b32_e32 v2, s43
	v_add_co_u32_e32 v10, vcc, s42, v10
	v_addc_co_u32_e32 v11, vcc, v2, v11, vcc
	global_load_dword v2, v[10:11], off
	s_mov_b64 s[18:19], 0
	s_waitcnt vmcnt(0)
	v_cmp_class_f16_e64 s[20:21], v2, s44
	s_and_saveexec_b64 s[16:17], s[20:21]
	s_cbranch_execz .LBB1_31
; %bb.10:                               ;   in Loop: Header=BB1_5 Depth=1
	v_cmp_class_f16_sdwa s[22:23], v2, s44 src0_sel:WORD_1 src1_sel:DWORD
	s_mov_b64 s[20:21], 0
	s_and_saveexec_b64 s[18:19], s[22:23]
	s_cbranch_execz .LBB1_30
; %bb.11:                               ;   in Loop: Header=BB1_5 Depth=1
	v_add_u32_e32 v4, s13, v4
	v_ashrrev_i32_e32 v5, 31, v4
	v_lshlrev_b64 v[10:11], 2, v[4:5]
	v_mov_b32_e32 v2, s43
	v_add_co_u32_e32 v10, vcc, s42, v10
	v_addc_co_u32_e32 v11, vcc, v2, v11, vcc
	global_load_dword v2, v[10:11], off
	s_mov_b64 s[22:23], 0
	s_waitcnt vmcnt(0)
	v_cmp_class_f16_e64 s[24:25], v2, s44
	s_and_saveexec_b64 s[20:21], s[24:25]
	s_cbranch_execz .LBB1_29
; %bb.12:                               ;   in Loop: Header=BB1_5 Depth=1
	v_cmp_class_f16_sdwa s[26:27], v2, s44 src0_sel:WORD_1 src1_sel:DWORD
	s_mov_b64 s[24:25], 0
	s_and_saveexec_b64 s[22:23], s[26:27]
	s_cbranch_execz .LBB1_28
; %bb.13:                               ;   in Loop: Header=BB1_5 Depth=1
	;; [unrolled: 18-line block ×5, first 2 shown]
	v_add_u32_e32 v4, s13, v4
	v_ashrrev_i32_e32 v5, 31, v4
	v_lshlrev_b64 v[4:5], 2, v[4:5]
	v_mov_b32_e32 v2, s43
	v_add_co_u32_e32 v4, vcc, s42, v4
	v_addc_co_u32_e32 v5, vcc, v2, v5, vcc
	global_load_dword v2, v[4:5], off
	s_waitcnt vmcnt(0)
	v_cmp_class_f16_e64 s[48:49], v2, s44
	s_and_saveexec_b64 s[40:41], s[48:49]
; %bb.20:                               ;   in Loop: Header=BB1_5 Depth=1
	v_cmp_class_f16_sdwa s[38:39], v2, s44 src0_sel:WORD_1 src1_sel:DWORD
	s_and_b64 s[38:39], s[38:39], exec
; %bb.21:                               ;   in Loop: Header=BB1_5 Depth=1
	s_or_b64 exec, exec, s[40:41]
	s_and_b64 s[38:39], s[38:39], exec
.LBB1_22:                               ;   in Loop: Header=BB1_5 Depth=1
	s_or_b64 exec, exec, s[36:37]
	s_and_b64 s[36:37], s[38:39], exec
.LBB1_23:                               ;   in Loop: Header=BB1_5 Depth=1
	s_or_b64 exec, exec, s[34:35]
	s_and_b64 s[34:35], s[36:37], exec
.LBB1_24:                               ;   in Loop: Header=BB1_5 Depth=1
	s_or_b64 exec, exec, s[30:31]
	s_and_b64 s[30:31], s[34:35], exec
.LBB1_25:                               ;   in Loop: Header=BB1_5 Depth=1
	s_or_b64 exec, exec, s[28:29]
	s_and_b64 s[28:29], s[30:31], exec
.LBB1_26:                               ;   in Loop: Header=BB1_5 Depth=1
	s_or_b64 exec, exec, s[26:27]
	s_and_b64 s[26:27], s[28:29], exec
.LBB1_27:                               ;   in Loop: Header=BB1_5 Depth=1
	s_or_b64 exec, exec, s[24:25]
	s_and_b64 s[24:25], s[26:27], exec
.LBB1_28:                               ;   in Loop: Header=BB1_5 Depth=1
	s_or_b64 exec, exec, s[22:23]
	s_and_b64 s[22:23], s[24:25], exec
.LBB1_29:                               ;   in Loop: Header=BB1_5 Depth=1
	s_or_b64 exec, exec, s[20:21]
	s_and_b64 s[20:21], s[22:23], exec
.LBB1_30:                               ;   in Loop: Header=BB1_5 Depth=1
	s_or_b64 exec, exec, s[18:19]
	s_and_b64 s[18:19], s[20:21], exec
.LBB1_31:                               ;   in Loop: Header=BB1_5 Depth=1
	s_or_b64 exec, exec, s[16:17]
	s_and_b64 s[16:17], s[18:19], exec
.LBB1_32:                               ;   in Loop: Header=BB1_5 Depth=1
	s_or_b64 exec, exec, s[14:15]
	s_and_b64 s[14:15], s[16:17], exec
.LBB1_33:                               ;   in Loop: Header=BB1_5 Depth=1
	s_or_b64 exec, exec, s[8:9]
	s_and_b64 s[8:9], s[14:15], exec
.LBB1_34:                               ;   in Loop: Header=BB1_5 Depth=1
	s_or_b64 exec, exec, s[2:3]
	v_cmp_lt_i32_e32 vcc, v9, v8
	v_cndmask_b32_e32 v2, v7, v9, vcc
	v_cndmask_b32_e64 v4, 0, 1, s[8:9]
	v_lshlrev_b32_e32 v2, 2, v2
	ds_bpermute_b32 v4, v2, v4
	v_xor_b32_e32 v5, 8, v7
	s_waitcnt lgkmcnt(0)
	v_cmp_ne_u32_e32 vcc, 0, v4
	s_and_b64 s[2:3], s[8:9], vcc
	v_cmp_lt_i32_e32 vcc, v5, v8
	v_cndmask_b32_e32 v4, v7, v5, vcc
	v_cndmask_b32_e64 v10, 0, 1, s[2:3]
	v_lshlrev_b32_e32 v4, 2, v4
	ds_bpermute_b32 v5, v4, v10
	s_waitcnt lgkmcnt(0)
	v_cmp_ne_u32_e32 vcc, 0, v5
	v_xor_b32_e32 v5, 4, v7
	s_and_b64 s[2:3], vcc, s[2:3]
	v_cmp_lt_i32_e32 vcc, v5, v8
	v_cndmask_b32_e32 v5, v7, v5, vcc
	v_cndmask_b32_e64 v10, 0, 1, s[2:3]
	v_lshlrev_b32_e32 v5, 2, v5
	ds_bpermute_b32 v10, v5, v10
	s_waitcnt lgkmcnt(0)
	v_cmp_ne_u32_e32 vcc, 0, v10
	v_xor_b32_e32 v10, 2, v7
	s_and_b64 s[2:3], vcc, s[2:3]
	;; [unrolled: 9-line block ×3, first 2 shown]
	v_cmp_lt_i32_e32 vcc, v11, v8
	v_cndmask_b32_e32 v11, v7, v11, vcc
	v_cndmask_b32_e64 v12, 0, 1, s[2:3]
	v_lshlrev_b32_e32 v11, 2, v11
	ds_bpermute_b32 v12, v11, v12
	s_and_saveexec_b64 s[8:9], s[0:1]
	s_cbranch_execz .LBB1_3
; %bb.35:                               ;   in Loop: Header=BB1_5 Depth=1
	s_waitcnt lgkmcnt(0)
	v_cmp_ne_u32_e32 vcc, 0, v12
	s_and_b64 s[2:3], vcc, s[2:3]
	v_cndmask_b32_e64 v12, 0, 1, s[2:3]
	ds_write_b32 v1, v12
	s_branch .LBB1_3
.LBB1_36:
	s_or_b64 exec, exec, s[4:5]
	v_cmp_eq_u32_e32 vcc, 0, v0
	s_and_saveexec_b64 s[0:1], vcc
	s_cbranch_execz .LBB1_38
; %bb.37:
	s_mul_i32 s0, s33, s7
	s_add_i32 s0, s0, s6
	s_ashr_i32 s1, s0, 31
	s_lshl_b64 s[0:1], s[0:1], 2
	s_add_u32 s0, s10, s0
	s_addc_u32 s1, s11, s1
	v_mov_b32_e32 v0, 0
	global_store_dword v0, v2, s[0:1]
.LBB1_38:
	s_endpgm
	.section	.rodata,"a",@progbits
	.p2align	6, 0x0
	.amdhsa_kernel _ZL25flash_attn_mask_to_KV_maxILi8EEvPK7__half2Piiii
		.amdhsa_group_segment_fixed_size 128
		.amdhsa_private_segment_fixed_size 0
		.amdhsa_kernarg_size 288
		.amdhsa_user_sgpr_count 6
		.amdhsa_user_sgpr_private_segment_buffer 1
		.amdhsa_user_sgpr_dispatch_ptr 0
		.amdhsa_user_sgpr_queue_ptr 0
		.amdhsa_user_sgpr_kernarg_segment_ptr 1
		.amdhsa_user_sgpr_dispatch_id 0
		.amdhsa_user_sgpr_flat_scratch_init 0
		.amdhsa_user_sgpr_kernarg_preload_length 0
		.amdhsa_user_sgpr_kernarg_preload_offset 0
		.amdhsa_user_sgpr_private_segment_size 0
		.amdhsa_uses_dynamic_stack 0
		.amdhsa_system_sgpr_private_segment_wavefront_offset 0
		.amdhsa_system_sgpr_workgroup_id_x 1
		.amdhsa_system_sgpr_workgroup_id_y 1
		.amdhsa_system_sgpr_workgroup_id_z 0
		.amdhsa_system_sgpr_workgroup_info 0
		.amdhsa_system_vgpr_workitem_id 0
		.amdhsa_next_free_vgpr 13
		.amdhsa_next_free_sgpr 50
		.amdhsa_accum_offset 16
		.amdhsa_reserve_vcc 1
		.amdhsa_reserve_flat_scratch 0
		.amdhsa_float_round_mode_32 0
		.amdhsa_float_round_mode_16_64 0
		.amdhsa_float_denorm_mode_32 3
		.amdhsa_float_denorm_mode_16_64 3
		.amdhsa_dx10_clamp 1
		.amdhsa_ieee_mode 1
		.amdhsa_fp16_overflow 0
		.amdhsa_tg_split 0
		.amdhsa_exception_fp_ieee_invalid_op 0
		.amdhsa_exception_fp_denorm_src 0
		.amdhsa_exception_fp_ieee_div_zero 0
		.amdhsa_exception_fp_ieee_overflow 0
		.amdhsa_exception_fp_ieee_underflow 0
		.amdhsa_exception_fp_ieee_inexact 0
		.amdhsa_exception_int_div_zero 0
	.end_amdhsa_kernel
	.section	.text._ZL25flash_attn_mask_to_KV_maxILi8EEvPK7__half2Piiii,"axG",@progbits,_ZL25flash_attn_mask_to_KV_maxILi8EEvPK7__half2Piiii,comdat
.Lfunc_end1:
	.size	_ZL25flash_attn_mask_to_KV_maxILi8EEvPK7__half2Piiii, .Lfunc_end1-_ZL25flash_attn_mask_to_KV_maxILi8EEvPK7__half2Piiii
                                        ; -- End function
	.section	.AMDGPU.csdata,"",@progbits
; Kernel info:
; codeLenInByte = 1424
; NumSgprs: 54
; NumVgprs: 13
; NumAgprs: 0
; TotalNumVgprs: 13
; ScratchSize: 0
; MemoryBound: 0
; FloatMode: 240
; IeeeMode: 1
; LDSByteSize: 128 bytes/workgroup (compile time only)
; SGPRBlocks: 6
; VGPRBlocks: 1
; NumSGPRsForWavesPerEU: 54
; NumVGPRsForWavesPerEU: 13
; AccumOffset: 16
; Occupancy: 8
; WaveLimiterHint : 0
; COMPUTE_PGM_RSRC2:SCRATCH_EN: 0
; COMPUTE_PGM_RSRC2:USER_SGPR: 6
; COMPUTE_PGM_RSRC2:TRAP_HANDLER: 0
; COMPUTE_PGM_RSRC2:TGID_X_EN: 1
; COMPUTE_PGM_RSRC2:TGID_Y_EN: 1
; COMPUTE_PGM_RSRC2:TGID_Z_EN: 0
; COMPUTE_PGM_RSRC2:TIDIG_COMP_CNT: 0
; COMPUTE_PGM_RSRC3_GFX90A:ACCUM_OFFSET: 3
; COMPUTE_PGM_RSRC3_GFX90A:TG_SPLIT: 0
	.section	.text._ZL33flash_attn_stream_k_fixup_uniformILi64ELi8ELi8EEvPfPK15HIP_vector_typeIfLj2EEiiiiiiS1_IjLj3EES5_S5_,"axG",@progbits,_ZL33flash_attn_stream_k_fixup_uniformILi64ELi8ELi8EEvPfPK15HIP_vector_typeIfLj2EEiiiiiiS1_IjLj3EES5_S5_,comdat
	.globl	_ZL33flash_attn_stream_k_fixup_uniformILi64ELi8ELi8EEvPfPK15HIP_vector_typeIfLj2EEiiiiiiS1_IjLj3EES5_S5_ ; -- Begin function _ZL33flash_attn_stream_k_fixup_uniformILi64ELi8ELi8EEvPfPK15HIP_vector_typeIfLj2EEiiiiiiS1_IjLj3EES5_S5_
	.p2align	8
	.type	_ZL33flash_attn_stream_k_fixup_uniformILi64ELi8ELi8EEvPfPK15HIP_vector_typeIfLj2EEiiiiiiS1_IjLj3EES5_S5_,@function
_ZL33flash_attn_stream_k_fixup_uniformILi64ELi8ELi8EEvPfPK15HIP_vector_typeIfLj2EEiiiiiiS1_IjLj3EES5_S5_: ; @_ZL33flash_attn_stream_k_fixup_uniformILi64ELi8ELi8EEvPfPK15HIP_vector_typeIfLj2EEiiiiiiS1_IjLj3EES5_S5_
; %bb.0:
	s_load_dwordx8 s[12:19], s[4:5], 0x1c
	s_load_dwordx2 s[10:11], s[4:5], 0x10
	s_load_dwordx4 s[0:3], s[4:5], 0x3c
	s_waitcnt lgkmcnt(0)
	s_mul_hi_u32 s9, s15, s6
	s_add_i32 s9, s6, s9
	s_lshr_b32 s9, s9, s16
	s_mul_i32 s15, s9, s17
	s_sub_i32 s15, s6, s15
	s_mul_hi_u32 s16, s15, s18
	s_add_i32 s16, s15, s16
	s_lshr_b32 s16, s16, s19
	s_mul_i32 s0, s16, s0
	s_sub_i32 s0, s15, s0
	;; [unrolled: 5-line block ×3, first 2 shown]
	s_lshl_b32 s0, s17, 3
	s_lshl_b32 s15, s1, 3
	s_add_i32 s0, s0, s7
	s_cmp_lt_i32 s0, s10
	s_cselect_b64 s[0:1], -1, 0
	s_add_i32 s2, s15, s8
	s_cmp_lt_i32 s2, s13
	s_cselect_b64 s[2:3], -1, 0
	s_and_b64 s[0:1], s[0:1], s[2:3]
	s_andn2_b64 vcc, exec, s[0:1]
	s_cbranch_vccnz .LBB2_6
; %bb.1:
	s_load_dwordx4 s[0:3], s[4:5], 0x0
	s_mul_i32 s4, s9, s10
	s_add_i32 s4, s4, s7
	s_mul_i32 s4, s4, s11
	s_mul_i32 s16, s16, s13
	s_add_i32 s4, s4, s8
	s_add_i32 s4, s4, s16
	s_mul_i32 s5, s11, s17
	s_add_i32 s4, s4, s15
	s_lshl_b32 s5, s5, 9
	s_lshl_b32 s4, s4, 6
	s_add_i32 s5, s5, s4
	v_or_b32_e32 v2, s5, v0
	v_ashrrev_i32_e32 v3, 31, v2
	v_lshlrev_b64 v[2:3], 2, v[2:3]
	s_waitcnt lgkmcnt(0)
	v_mov_b32_e32 v1, s1
	v_add_co_u32_e32 v2, vcc, s0, v2
	v_addc_co_u32_e32 v3, vcc, v1, v3, vcc
	global_load_dword v8, v[2:3], off
	s_mul_i32 s9, s6, s14
	s_lshl_b32 s4, s7, 3
	s_add_i32 s11, s9, s14
	s_add_i32 s0, s4, s8
	s_lshl_b32 s1, s11, 6
	s_add_i32 s0, s0, s1
	s_sub_i32 s0, s0, 64
	s_ashr_i32 s1, s0, 31
	s_lshl_b64 s[0:1], s[0:1], 3
	s_add_u32 s0, s2, s0
	s_addc_u32 s1, s3, s1
	s_load_dword s5, s[0:1], 0x4
	s_add_i32 s10, s11, -2
	s_cmp_lt_i32 s10, s9
	s_cbranch_scc1 .LBB2_4
; %bb.2:
	s_lshl_b32 s16, s12, 8
	s_ashr_i32 s17, s16, 31
	s_lshl_b64 s[16:17], s[16:17], 2
	s_add_u32 s10, s2, s16
	s_addc_u32 s13, s3, s17
	s_add_i32 s6, s6, 1
	s_load_dword s0, s[0:1], 0x0
	s_mul_i32 s1, s14, s6
	s_lshl_b32 s7, s7, 9
	s_lshl_b32 s14, s8, 6
	;; [unrolled: 1-line block ×3, first 2 shown]
	s_add_i32 s7, s14, s7
	s_lshl_b32 s1, s1, 6
	s_add_i32 s7, s7, s6
	s_add_i32 s1, s8, s1
	s_lshl_b32 s6, s12, 6
	s_add_i32 s1, s1, s6
	v_or_b32_e32 v0, s7, v0
	s_add_i32 s1, s1, s4
	s_add_i32 s11, s11, -1
	v_add_u32_e32 v0, 0xffffe000, v0
	s_add_i32 s4, s1, 0xffffff80
	s_waitcnt lgkmcnt(0)
	v_mov_b32_e32 v7, s5
	v_mov_b32_e32 v6, s0
	;; [unrolled: 1-line block ×3, first 2 shown]
	s_mov_b32 s6, 0x3fb8aa3b
	s_mov_b32 s7, 0xc2ce8ed0
	;; [unrolled: 1-line block ×3, first 2 shown]
	v_mov_b32_e32 v5, 0x7f800000
	s_mov_b32 s12, 0xc1a00000
.LBB2_3:                                ; =>This Inner Loop Header: Depth=1
	v_ashrrev_i32_e32 v1, 31, v0
	v_lshlrev_b64 v[10:11], 2, v[0:1]
	v_add_co_u32_e32 v10, vcc, s10, v10
	v_addc_co_u32_e32 v11, vcc, v4, v11, vcc
	global_load_dword v1, v[10:11], off
	s_ashr_i32 s5, s4, 31
	s_lshl_b64 s[0:1], s[4:5], 3
	s_add_u32 s0, s2, s0
	s_addc_u32 s1, s3, s1
	s_load_dwordx2 s[14:15], s[0:1], 0x0
	s_waitcnt vmcnt(1)
	v_mov_b32_e32 v9, v8
	v_max_f32_e32 v8, v6, v6
	v_mov_b32_e32 v10, v7
	s_add_i32 s11, s11, -1
	s_waitcnt lgkmcnt(0)
	v_max_f32_e64 v7, s14, s14
	v_max_f32_e32 v7, v8, v7
	v_sub_f32_e32 v11, s14, v7
	v_sub_f32_e32 v8, v6, v7
	v_mul_f32_e32 v12, 0x3fb8aa3b, v11
	v_mov_b32_e32 v6, v7
	v_mul_f32_e32 v7, 0x3fb8aa3b, v8
	v_fma_f32 v15, v11, s6, -v12
	v_rndne_f32_e32 v16, v12
	v_fma_f32 v13, v8, s6, -v7
	v_rndne_f32_e32 v14, v7
	v_fmac_f32_e32 v15, 0x32a5705f, v11
	v_sub_f32_e32 v12, v12, v16
	v_fmac_f32_e32 v13, 0x32a5705f, v8
	v_sub_f32_e32 v7, v7, v14
	v_add_f32_e32 v12, v12, v15
	v_cvt_i32_f32_e32 v16, v16
	v_add_f32_e32 v7, v7, v13
	v_exp_f32_e32 v12, v12
	v_cvt_i32_f32_e32 v14, v14
	v_exp_f32_e32 v7, v7
	v_cmp_ngt_f32_e32 vcc, s7, v11
	v_ldexp_f32 v12, v12, v16
	v_cmp_ngt_f32_e64 s[0:1], s7, v8
	v_ldexp_f32 v7, v7, v14
	v_cndmask_b32_e32 v12, 0, v12, vcc
	v_cmp_nlt_f32_e32 vcc, s8, v11
	v_cndmask_b32_e64 v7, 0, v7, s[0:1]
	v_cmp_nlt_f32_e64 s[0:1], s8, v8
	v_cndmask_b32_e32 v12, v5, v12, vcc
	v_cmp_le_f32_e32 vcc, s12, v11
	v_cndmask_b32_e64 v7, v5, v7, s[0:1]
	v_cmp_le_f32_e64 s[0:1], s12, v8
	v_cndmask_b32_e32 v8, 0, v12, vcc
	s_sub_i32 s4, s4, 64
	v_cndmask_b32_e64 v11, 0, v7, s[0:1]
	v_mul_f32_e32 v7, s15, v8
	v_add_u32_e32 v0, 0xfffff000, v0
	s_cmp_le_i32 s11, s9
	v_fmac_f32_e32 v7, v10, v11
	s_waitcnt vmcnt(0)
	v_mul_f32_e32 v8, v1, v8
	v_fmac_f32_e32 v8, v9, v11
	s_cbranch_scc0 .LBB2_3
	s_branch .LBB2_5
.LBB2_4:
	s_waitcnt lgkmcnt(0)
	v_mov_b32_e32 v7, s5
.LBB2_5:
	s_waitcnt vmcnt(0)
	v_div_scale_f32 v0, s[0:1], v7, v7, v8
	v_rcp_f32_e32 v1, v0
	v_div_scale_f32 v4, vcc, v8, v7, v8
	v_fma_f32 v5, -v0, v1, 1.0
	v_fmac_f32_e32 v1, v5, v1
	v_mul_f32_e32 v5, v4, v1
	v_fma_f32 v6, -v0, v5, v4
	v_fmac_f32_e32 v5, v6, v1
	v_fma_f32 v0, -v0, v5, v4
	v_div_fmas_f32 v0, v0, v1, v5
	v_div_fixup_f32 v0, v0, v7, v8
	global_store_dword v[2:3], v0, off
.LBB2_6:
	s_endpgm
	.section	.rodata,"a",@progbits
	.p2align	6, 0x0
	.amdhsa_kernel _ZL33flash_attn_stream_k_fixup_uniformILi64ELi8ELi8EEvPfPK15HIP_vector_typeIfLj2EEiiiiiiS1_IjLj3EES5_S5_
		.amdhsa_group_segment_fixed_size 0
		.amdhsa_private_segment_fixed_size 0
		.amdhsa_kernarg_size 76
		.amdhsa_user_sgpr_count 6
		.amdhsa_user_sgpr_private_segment_buffer 1
		.amdhsa_user_sgpr_dispatch_ptr 0
		.amdhsa_user_sgpr_queue_ptr 0
		.amdhsa_user_sgpr_kernarg_segment_ptr 1
		.amdhsa_user_sgpr_dispatch_id 0
		.amdhsa_user_sgpr_flat_scratch_init 0
		.amdhsa_user_sgpr_kernarg_preload_length 0
		.amdhsa_user_sgpr_kernarg_preload_offset 0
		.amdhsa_user_sgpr_private_segment_size 0
		.amdhsa_uses_dynamic_stack 0
		.amdhsa_system_sgpr_private_segment_wavefront_offset 0
		.amdhsa_system_sgpr_workgroup_id_x 1
		.amdhsa_system_sgpr_workgroup_id_y 1
		.amdhsa_system_sgpr_workgroup_id_z 1
		.amdhsa_system_sgpr_workgroup_info 0
		.amdhsa_system_vgpr_workitem_id 0
		.amdhsa_next_free_vgpr 17
		.amdhsa_next_free_sgpr 20
		.amdhsa_accum_offset 20
		.amdhsa_reserve_vcc 1
		.amdhsa_reserve_flat_scratch 0
		.amdhsa_float_round_mode_32 0
		.amdhsa_float_round_mode_16_64 0
		.amdhsa_float_denorm_mode_32 3
		.amdhsa_float_denorm_mode_16_64 3
		.amdhsa_dx10_clamp 1
		.amdhsa_ieee_mode 1
		.amdhsa_fp16_overflow 0
		.amdhsa_tg_split 0
		.amdhsa_exception_fp_ieee_invalid_op 0
		.amdhsa_exception_fp_denorm_src 0
		.amdhsa_exception_fp_ieee_div_zero 0
		.amdhsa_exception_fp_ieee_overflow 0
		.amdhsa_exception_fp_ieee_underflow 0
		.amdhsa_exception_fp_ieee_inexact 0
		.amdhsa_exception_int_div_zero 0
	.end_amdhsa_kernel
	.section	.text._ZL33flash_attn_stream_k_fixup_uniformILi64ELi8ELi8EEvPfPK15HIP_vector_typeIfLj2EEiiiiiiS1_IjLj3EES5_S5_,"axG",@progbits,_ZL33flash_attn_stream_k_fixup_uniformILi64ELi8ELi8EEvPfPK15HIP_vector_typeIfLj2EEiiiiiiS1_IjLj3EES5_S5_,comdat
.Lfunc_end2:
	.size	_ZL33flash_attn_stream_k_fixup_uniformILi64ELi8ELi8EEvPfPK15HIP_vector_typeIfLj2EEiiiiiiS1_IjLj3EES5_S5_, .Lfunc_end2-_ZL33flash_attn_stream_k_fixup_uniformILi64ELi8ELi8EEvPfPK15HIP_vector_typeIfLj2EEiiiiiiS1_IjLj3EES5_S5_
                                        ; -- End function
	.section	.AMDGPU.csdata,"",@progbits
; Kernel info:
; codeLenInByte = 860
; NumSgprs: 24
; NumVgprs: 17
; NumAgprs: 0
; TotalNumVgprs: 17
; ScratchSize: 0
; MemoryBound: 0
; FloatMode: 240
; IeeeMode: 1
; LDSByteSize: 0 bytes/workgroup (compile time only)
; SGPRBlocks: 2
; VGPRBlocks: 2
; NumSGPRsForWavesPerEU: 24
; NumVGPRsForWavesPerEU: 17
; AccumOffset: 20
; Occupancy: 8
; WaveLimiterHint : 0
; COMPUTE_PGM_RSRC2:SCRATCH_EN: 0
; COMPUTE_PGM_RSRC2:USER_SGPR: 6
; COMPUTE_PGM_RSRC2:TRAP_HANDLER: 0
; COMPUTE_PGM_RSRC2:TGID_X_EN: 1
; COMPUTE_PGM_RSRC2:TGID_Y_EN: 1
; COMPUTE_PGM_RSRC2:TGID_Z_EN: 1
; COMPUTE_PGM_RSRC2:TIDIG_COMP_CNT: 0
; COMPUTE_PGM_RSRC3_GFX90A:ACCUM_OFFSET: 4
; COMPUTE_PGM_RSRC3_GFX90A:TG_SPLIT: 0
	.section	.text._ZL33flash_attn_stream_k_fixup_generalILi64ELi8ELi8EEvPfPK15HIP_vector_typeIfLj2EEiiiiS1_IjLj3EES5_S5_S5_,"axG",@progbits,_ZL33flash_attn_stream_k_fixup_generalILi64ELi8ELi8EEvPfPK15HIP_vector_typeIfLj2EEiiiiS1_IjLj3EES5_S5_S5_,comdat
	.globl	_ZL33flash_attn_stream_k_fixup_generalILi64ELi8ELi8EEvPfPK15HIP_vector_typeIfLj2EEiiiiS1_IjLj3EES5_S5_S5_ ; -- Begin function _ZL33flash_attn_stream_k_fixup_generalILi64ELi8ELi8EEvPfPK15HIP_vector_typeIfLj2EEiiiiS1_IjLj3EES5_S5_S5_
	.p2align	8
	.type	_ZL33flash_attn_stream_k_fixup_generalILi64ELi8ELi8EEvPfPK15HIP_vector_typeIfLj2EEiiiiS1_IjLj3EES5_S5_S5_,@function
_ZL33flash_attn_stream_k_fixup_generalILi64ELi8ELi8EEvPfPK15HIP_vector_typeIfLj2EEiiiiS1_IjLj3EES5_S5_S5_: ; @_ZL33flash_attn_stream_k_fixup_generalILi64ELi8ELi8EEvPfPK15HIP_vector_typeIfLj2EEiiiiS1_IjLj3EES5_S5_S5_
; %bb.0:
	s_load_dwordx4 s[12:15], s[4:5], 0x10
	s_load_dword s9, s[4:5], 0x50
	s_mov_b32 s2, 0
	s_waitcnt lgkmcnt(0)
	s_mul_hi_i32 s3, s15, s6
	s_cmp_lg_u64 s[2:3], 0
	s_mul_i32 s2, s15, s6
	s_cbranch_scc0 .LBB3_21
; %bb.1:
	v_cvt_f32_u32_e32 v1, s9
	v_cvt_f32_ubyte0_e32 v2, 0
	s_sub_u32 s10, 0, s9
	s_subb_u32 s11, 0, 0
	v_madmk_f32 v1, v2, 0x4f800000, v1
	v_rcp_f32_e32 v1, v1
	v_mul_f32_e32 v1, 0x5f7ffffc, v1
	v_mul_f32_e32 v2, 0x2f800000, v1
	v_trunc_f32_e32 v2, v2
	v_madmk_f32 v1, v2, 0xcf800000, v1
	v_cvt_u32_f32_e32 v2, v2
	v_cvt_u32_f32_e32 v1, v1
	v_readfirstlane_b32 s16, v2
	v_readfirstlane_b32 s17, v1
	s_mul_i32 s18, s10, s16
	s_mul_hi_u32 s20, s10, s17
	s_mul_i32 s19, s11, s17
	s_add_i32 s18, s20, s18
	s_add_i32 s18, s18, s19
	s_mul_i32 s21, s10, s17
	s_mul_hi_u32 s19, s17, s18
	s_mul_i32 s20, s17, s18
	s_mul_hi_u32 s17, s17, s21
	s_add_u32 s17, s17, s20
	s_addc_u32 s19, 0, s19
	s_mul_hi_u32 s22, s16, s21
	s_mul_i32 s21, s16, s21
	s_add_u32 s17, s17, s21
	s_mul_hi_u32 s20, s16, s18
	s_addc_u32 s17, s19, s22
	s_addc_u32 s19, s20, 0
	s_mul_i32 s18, s16, s18
	s_add_u32 s17, s17, s18
	s_addc_u32 s18, 0, s19
	v_add_co_u32_e32 v1, vcc, s17, v1
	s_cmp_lg_u64 vcc, 0
	s_addc_u32 s16, s16, s18
	v_readfirstlane_b32 s18, v1
	s_mul_i32 s17, s10, s16
	s_mul_hi_u32 s19, s10, s18
	s_add_i32 s17, s19, s17
	s_mul_i32 s11, s11, s18
	s_add_i32 s17, s17, s11
	s_mul_i32 s10, s10, s18
	s_mul_hi_u32 s19, s16, s10
	s_mul_i32 s20, s16, s10
	s_mul_i32 s22, s18, s17
	s_mul_hi_u32 s10, s18, s10
	s_mul_hi_u32 s21, s18, s17
	s_add_u32 s10, s10, s22
	s_addc_u32 s18, 0, s21
	s_add_u32 s10, s10, s20
	s_mul_hi_u32 s11, s16, s17
	s_addc_u32 s10, s18, s19
	s_addc_u32 s11, s11, 0
	s_mul_i32 s17, s16, s17
	s_add_u32 s10, s10, s17
	s_addc_u32 s11, 0, s11
	v_add_co_u32_e32 v1, vcc, s10, v1
	s_cmp_lg_u64 vcc, 0
	s_addc_u32 s18, s16, s11
	s_ashr_i32 s10, s3, 31
	s_add_u32 s16, s2, s10
	s_mov_b32 s11, s10
	s_addc_u32 s17, s3, s10
	s_xor_b64 s[16:17], s[16:17], s[10:11]
	v_readfirstlane_b32 s20, v1
	s_mul_i32 s19, s16, s18
	s_mul_hi_u32 s21, s16, s20
	s_mul_hi_u32 s3, s16, s18
	s_add_u32 s19, s21, s19
	s_addc_u32 s3, 0, s3
	s_mul_hi_u32 s22, s17, s20
	s_mul_i32 s20, s17, s20
	s_add_u32 s19, s19, s20
	s_mul_hi_u32 s21, s17, s18
	s_addc_u32 s3, s3, s22
	s_addc_u32 s19, s21, 0
	s_mul_i32 s18, s17, s18
	s_add_u32 s3, s3, s18
	s_addc_u32 s18, 0, s19
	s_add_u32 s19, s3, 1
	s_addc_u32 s20, s18, 0
	s_add_u32 s21, s3, 2
	s_mul_i32 s23, s9, s18
	s_mul_hi_u32 s24, s9, s3
	s_addc_u32 s22, s18, 0
	s_add_i32 s24, s24, s23
	s_mul_i32 s23, s9, s3
	v_mov_b32_e32 v1, s23
	v_sub_co_u32_e32 v1, vcc, s16, v1
	s_cmp_lg_u64 vcc, 0
	s_subb_u32 s16, s17, s24
	v_subrev_co_u32_e32 v2, vcc, s9, v1
	s_cmp_lg_u64 vcc, 0
	s_subb_u32 s17, s16, 0
	v_readfirstlane_b32 s23, v2
	s_cmp_ge_u32 s23, s9
	s_cselect_b32 s23, -1, 0
	s_cmp_eq_u32 s17, 0
	s_cselect_b32 s17, s23, -1
	s_cmp_lg_u32 s17, 0
	s_cselect_b32 s17, s22, s20
	v_readfirstlane_b32 s20, v1
	s_cselect_b32 s19, s21, s19
	s_cmp_ge_u32 s20, s9
	s_cselect_b32 s20, -1, 0
	s_cmp_eq_u32 s16, 0
	s_cselect_b32 s16, s20, -1
	s_cmp_lg_u32 s16, 0
	s_cselect_b32 s17, s17, s18
	s_cselect_b32 s16, s19, s3
	s_xor_b64 s[16:17], s[16:17], s[10:11]
	s_sub_u32 s20, s16, s10
	s_load_dwordx4 s[16:19], s[4:5], 0x44
	s_cbranch_execnz .LBB3_3
.LBB3_2:
	v_cvt_f32_u32_e32 v1, s9
	s_sub_i32 s0, 0, s9
	v_rcp_iflag_f32_e32 v1, v1
	v_mul_f32_e32 v1, 0x4f7ffffe, v1
	v_cvt_u32_f32_e32 v1, v1
	v_readfirstlane_b32 s1, v1
	s_mul_i32 s0, s0, s1
	s_mul_hi_u32 s0, s1, s0
	s_add_i32 s1, s1, s0
	s_mul_hi_u32 s0, s2, s1
	s_mul_i32 s3, s0, s9
	s_sub_i32 s2, s2, s3
	s_add_i32 s1, s0, 1
	s_sub_i32 s3, s2, s9
	s_cmp_ge_u32 s2, s9
	s_cselect_b32 s0, s1, s0
	s_cselect_b32 s2, s3, s2
	s_add_i32 s1, s0, 1
	s_cmp_ge_u32 s2, s9
	s_cselect_b32 s20, s1, s0
.LBB3_3:
	s_add_i32 s0, s6, 1
	s_mul_hi_i32 s3, s15, s0
	s_mov_b32 s2, 0
	s_cmp_lg_u64 s[2:3], 0
	s_mul_i32 s2, s15, s0
	s_cbranch_scc0 .LBB3_22
; %bb.4:
	v_cvt_f32_u32_e32 v1, s9
	v_cvt_f32_ubyte0_e32 v2, 0
	s_sub_u32 s10, 0, s9
	s_subb_u32 s11, 0, 0
	v_madmk_f32 v1, v2, 0x4f800000, v1
	v_rcp_f32_e32 v1, v1
	v_mul_f32_e32 v1, 0x5f7ffffc, v1
	v_mul_f32_e32 v2, 0x2f800000, v1
	v_trunc_f32_e32 v2, v2
	v_madmk_f32 v1, v2, 0xcf800000, v1
	v_cvt_u32_f32_e32 v2, v2
	v_cvt_u32_f32_e32 v1, v1
	s_waitcnt lgkmcnt(0)
	v_readfirstlane_b32 s19, v2
	v_readfirstlane_b32 s21, v1
	s_mul_i32 s22, s10, s19
	s_mul_hi_u32 s24, s10, s21
	s_mul_i32 s23, s11, s21
	s_add_i32 s22, s24, s22
	s_add_i32 s22, s22, s23
	s_mul_i32 s25, s10, s21
	s_mul_hi_u32 s23, s21, s22
	s_mul_i32 s24, s21, s22
	s_mul_hi_u32 s21, s21, s25
	s_add_u32 s21, s21, s24
	s_addc_u32 s23, 0, s23
	s_mul_hi_u32 s26, s19, s25
	s_mul_i32 s25, s19, s25
	s_add_u32 s21, s21, s25
	s_mul_hi_u32 s24, s19, s22
	s_addc_u32 s21, s23, s26
	s_addc_u32 s23, s24, 0
	s_mul_i32 s22, s19, s22
	s_add_u32 s21, s21, s22
	s_addc_u32 s22, 0, s23
	v_add_co_u32_e32 v1, vcc, s21, v1
	s_cmp_lg_u64 vcc, 0
	s_addc_u32 s19, s19, s22
	v_readfirstlane_b32 s22, v1
	s_mul_i32 s21, s10, s19
	s_mul_hi_u32 s23, s10, s22
	s_add_i32 s21, s23, s21
	s_mul_i32 s11, s11, s22
	s_add_i32 s21, s21, s11
	s_mul_i32 s10, s10, s22
	s_mul_hi_u32 s23, s19, s10
	s_mul_i32 s24, s19, s10
	s_mul_i32 s26, s22, s21
	s_mul_hi_u32 s10, s22, s10
	s_mul_hi_u32 s25, s22, s21
	s_add_u32 s10, s10, s26
	s_addc_u32 s22, 0, s25
	s_add_u32 s10, s10, s24
	s_mul_hi_u32 s11, s19, s21
	s_addc_u32 s10, s22, s23
	s_addc_u32 s11, s11, 0
	s_mul_i32 s21, s19, s21
	s_add_u32 s10, s10, s21
	s_addc_u32 s11, 0, s11
	v_add_co_u32_e32 v1, vcc, s10, v1
	s_cmp_lg_u64 vcc, 0
	s_addc_u32 s19, s19, s11
	s_ashr_i32 s10, s3, 31
	s_add_u32 s22, s2, s10
	s_mov_b32 s11, s10
	s_addc_u32 s23, s3, s10
	s_xor_b64 s[22:23], s[22:23], s[10:11]
	v_readfirstlane_b32 s21, v1
	s_mul_i32 s11, s22, s19
	s_mul_hi_u32 s24, s22, s21
	s_mul_hi_u32 s3, s22, s19
	s_add_u32 s11, s24, s11
	s_addc_u32 s3, 0, s3
	s_mul_hi_u32 s25, s23, s21
	s_mul_i32 s21, s23, s21
	s_add_u32 s11, s11, s21
	s_mul_hi_u32 s24, s23, s19
	s_addc_u32 s3, s3, s25
	s_addc_u32 s11, s24, 0
	s_mul_i32 s19, s23, s19
	s_add_u32 s3, s3, s19
	s_addc_u32 s11, 0, s11
	s_mul_i32 s11, s9, s11
	s_mul_hi_u32 s24, s9, s3
	s_add_i32 s24, s24, s11
	s_mul_i32 s11, s9, s3
	v_mov_b32_e32 v1, s11
	s_add_u32 s19, s3, 1
	s_add_u32 s21, s3, 2
	v_sub_co_u32_e32 v1, vcc, s22, v1
	s_cmp_lg_u64 vcc, 0
	s_subb_u32 s11, s23, s24
	v_subrev_co_u32_e32 v2, vcc, s9, v1
	s_cmp_lg_u64 vcc, 0
	s_subb_u32 s22, s11, 0
	v_cmp_le_u32_e32 vcc, s9, v2
	s_cmp_eq_u32 s22, 0
	v_cndmask_b32_e64 v2, 0, -1, vcc
	s_cselect_b64 vcc, -1, 0
	v_cndmask_b32_e32 v2, -1, v2, vcc
	v_mov_b32_e32 v3, s19
	v_mov_b32_e32 v4, s21
	v_cmp_ne_u32_e32 vcc, 0, v2
	v_cndmask_b32_e32 v2, v3, v4, vcc
	v_cmp_le_u32_e32 vcc, s9, v1
	s_cmp_eq_u32 s11, 0
	v_cndmask_b32_e64 v1, 0, -1, vcc
	s_cselect_b64 vcc, -1, 0
	v_cndmask_b32_e32 v1, -1, v1, vcc
	v_mov_b32_e32 v3, s3
	v_cmp_ne_u32_e32 vcc, 0, v1
	v_cndmask_b32_e32 v1, v3, v2, vcc
	v_xor_b32_e32 v1, s10, v1
	v_subrev_co_u32_e32 v2, vcc, s10, v1
	s_cbranch_execnz .LBB3_6
.LBB3_5:
	v_cvt_f32_u32_e32 v1, s9
	s_sub_i32 s0, 0, s9
	s_mov_b32 s1, 0
	v_rcp_iflag_f32_e32 v1, v1
	v_mul_f32_e32 v1, 0x4f7ffffe, v1
	v_cvt_u32_f32_e32 v1, v1
	v_readfirstlane_b32 s3, v1
	s_mul_i32 s0, s0, s3
	s_mul_hi_u32 s0, s3, s0
	s_add_i32 s3, s3, s0
	s_mul_hi_u32 s0, s2, s3
	s_mul_i32 s10, s0, s9
	s_sub_i32 s2, s2, s10
	s_add_i32 s3, s0, 1
	s_sub_i32 s10, s2, s9
	s_cmp_ge_u32 s2, s9
	s_cselect_b32 s0, s3, s0
	s_cselect_b32 s2, s10, s2
	s_add_i32 s3, s0, 1
	s_cmp_ge_u32 s2, s9
	s_cselect_b32 s0, s3, s0
	v_pk_mov_b32 v[2:3], s[0:1], s[0:1] op_sel:[0,1]
.LBB3_6:
	s_waitcnt lgkmcnt(0)
	s_mul_hi_u32 s0, s20, s16
	s_add_i32 s0, s0, s20
	v_mul_hi_u32 v1, v2, s16
	s_lshr_b32 s19, s0, s17
	v_add_u32_e32 v1, v1, v2
	s_mul_i32 s0, s19, s18
	v_lshrrev_b32_e32 v1, s17, v1
	s_cmp_eq_u32 s0, s20
	v_cmp_eq_u32_e64 s[0:1], s19, v1
	v_mul_lo_u32 v1, v1, s18
	v_cmp_eq_u32_e32 vcc, s20, v2
	s_cselect_b64 s[10:11], -1, 0
	v_cmp_ne_u32_e64 s[2:3], v1, v2
	s_and_b64 s[0:1], s[0:1], s[2:3]
	s_or_b64 s[2:3], vcc, s[10:11]
	s_or_b64 s[0:1], s[2:3], s[0:1]
	s_and_b64 vcc, exec, s[0:1]
	s_cbranch_vccnz .LBB3_24
; %bb.7:
	s_load_dwordx8 s[24:31], s[4:5], 0x20
	s_load_dword s0, s[4:5], 0x40
	s_mov_b32 s10, 0
	s_waitcnt lgkmcnt(0)
	s_mul_hi_u32 s1, s20, s24
	s_add_i32 s1, s1, s20
	s_lshr_b32 s11, s1, s25
	s_mul_i32 s1, s11, s26
	s_sub_i32 s1, s20, s1
	s_mul_hi_u32 s2, s1, s27
	s_add_i32 s2, s1, s2
	s_lshr_b32 s24, s2, s28
	s_mul_i32 s2, s24, s29
	s_sub_i32 s1, s1, s2
	;; [unrolled: 5-line block ×3, first 2 shown]
	s_mul_hi_u32 s1, s0, s16
	s_add_i32 s0, s0, s1
	s_lshr_b32 s26, s0, s17
	s_lshl_b32 s0, s26, 3
	s_lshl_b32 s25, s2, 3
	s_add_i32 s0, s0, s7
	s_cmp_lt_i32 s0, s12
	s_cselect_b64 s[0:1], -1, 0
	s_add_i32 s2, s25, s8
	s_cmp_lt_i32 s2, s14
	s_cselect_b64 s[2:3], -1, 0
	s_and_b64 s[0:1], s[0:1], s[2:3]
	s_andn2_b64 vcc, exec, s[0:1]
	s_cbranch_vccnz .LBB3_24
; %bb.8:
	s_load_dwordx4 s[0:3], s[4:5], 0x0
	s_lshl_b32 s21, s7, 3
	s_lshl_b32 s4, s9, 8
	s_mov_b32 s5, s10
	s_add_i32 s21, s21, s8
	s_lshl_b64 s[4:5], s[4:5], 2
	s_waitcnt lgkmcnt(0)
	s_add_u32 s22, s2, s4
	s_mul_i32 s4, s11, s12
	s_addc_u32 s23, s3, s5
	s_add_i32 s4, s4, s7
	s_mul_i32 s4, s4, s13
	s_mul_i32 s24, s24, s14
	s_add_i32 s4, s4, s8
	s_add_i32 s4, s4, s24
	s_mul_i32 s5, s13, s26
	s_add_i32 s4, s4, s25
	s_lshl_b32 s5, s5, 9
	s_lshl_b32 s4, s4, 6
	s_add_i32 s5, s5, s4
	v_or_b32_e32 v2, s5, v0
	v_ashrrev_i32_e32 v3, 31, v2
	v_lshlrev_b64 v[2:3], 2, v[2:3]
	v_mov_b32_e32 v1, s1
	v_add_co_u32_e32 v2, vcc, s0, v2
	v_addc_co_u32_e32 v3, vcc, v1, v3, vcc
	global_load_dword v5, v[2:3], off
	v_lshl_or_b32 v4, s21, 6, v0
	v_cvt_f32_u32_e32 v0, s9
	v_cvt_f32_ubyte0_e32 v1, 0
	s_lshl_b32 s0, s6, 6
	s_add_i32 s0, s21, s0
	v_mac_f32_e32 v0, 0x4f800000, v1
	v_rcp_f32_e32 v0, v0
	v_cvt_f32_u32_e32 v1, s9
	s_ashr_i32 s1, s0, 31
	s_lshl_b64 s[0:1], s[0:1], 3
	v_mul_f32_e32 v0, 0x5f7ffffc, v0
	v_rcp_iflag_f32_e32 v1, v1
	s_add_u32 s0, s2, s0
	v_mul_f32_e32 v9, 0x2f800000, v0
	s_addc_u32 s1, s3, s1
	v_trunc_f32_e32 v10, v9
	s_load_dwordx2 s[0:1], s[0:1], 0x0
	v_mac_f32_e32 v0, 0xcf800000, v10
	v_cvt_u32_f32_e32 v9, v0
	v_mul_f32_e32 v0, 0x4f7ffffe, v1
	v_cvt_u32_f32_e32 v10, v10
	v_cvt_u32_f32_e32 v11, v0
	s_add_i32 s8, s6, -1
	s_waitcnt lgkmcnt(0)
	v_mov_b32_e32 v6, s1
	v_mov_b32_e32 v7, s0
	;; [unrolled: 1-line block ×3, first 2 shown]
	s_mov_b32 s6, 0x3fb8aa3b
	s_mov_b32 s7, 0xc2ce8ed0
	;; [unrolled: 1-line block ×4, first 2 shown]
	v_mov_b32_e32 v12, 0x7f800000
	s_mul_hi_i32 s11, s8, s15
	s_cmp_lg_u64 s[10:11], 0
	s_mul_i32 s4, s8, s15
	s_cbranch_scc0 .LBB3_15
.LBB3_9:
	s_sub_u32 s0, 0, s9
	v_readfirstlane_b32 s5, v9
	v_readfirstlane_b32 s24, v10
	s_subb_u32 s1, 0, 0
	s_mul_hi_u32 s20, s0, s5
	s_mul_i32 s25, s0, s24
	s_mul_i32 s14, s1, s5
	s_add_i32 s20, s20, s25
	s_add_i32 s20, s20, s14
	s_mul_i32 s26, s0, s5
	s_mul_hi_u32 s14, s5, s20
	s_mul_i32 s25, s5, s20
	s_mul_hi_u32 s5, s5, s26
	s_add_u32 s5, s5, s25
	s_addc_u32 s14, 0, s14
	s_mul_hi_u32 s27, s24, s26
	s_mul_i32 s26, s24, s26
	s_add_u32 s5, s5, s26
	s_mul_hi_u32 s25, s24, s20
	s_addc_u32 s5, s14, s27
	s_addc_u32 s14, s25, 0
	s_mul_i32 s20, s24, s20
	s_add_u32 s5, s5, s20
	s_addc_u32 s14, 0, s14
	v_add_co_u32_e32 v0, vcc, s5, v9
	s_cmp_lg_u64 vcc, 0
	s_addc_u32 s5, s24, s14
	v_readfirstlane_b32 s20, v0
	s_mul_i32 s14, s0, s5
	s_mul_hi_u32 s24, s0, s20
	s_add_i32 s14, s24, s14
	s_mul_i32 s1, s1, s20
	s_add_i32 s14, s14, s1
	s_mul_i32 s0, s0, s20
	s_mul_hi_u32 s24, s5, s0
	s_mul_i32 s25, s5, s0
	s_mul_i32 s27, s20, s14
	s_mul_hi_u32 s0, s20, s0
	s_mul_hi_u32 s26, s20, s14
	s_add_u32 s0, s0, s27
	s_addc_u32 s20, 0, s26
	s_add_u32 s0, s0, s25
	s_mul_hi_u32 s1, s5, s14
	s_addc_u32 s0, s20, s24
	s_addc_u32 s1, s1, 0
	s_mul_i32 s14, s5, s14
	s_add_u32 s0, s0, s14
	s_addc_u32 s1, 0, s1
	v_add_co_u32_e32 v0, vcc, s0, v0
	s_cmp_lg_u64 vcc, 0
	s_addc_u32 s5, s5, s1
	s_ashr_i32 s0, s11, 31
	s_add_u32 s24, s4, s0
	s_mov_b32 s1, s0
	s_addc_u32 s25, s11, s0
	s_xor_b64 s[24:25], s[24:25], s[0:1]
	v_readfirstlane_b32 s14, v0
	s_mul_i32 s11, s24, s5
	s_mul_hi_u32 s20, s24, s14
	s_mul_hi_u32 s1, s24, s5
	s_add_u32 s11, s20, s11
	s_addc_u32 s1, 0, s1
	s_mul_hi_u32 s26, s25, s14
	s_mul_i32 s14, s25, s14
	s_add_u32 s11, s11, s14
	s_mul_hi_u32 s20, s25, s5
	s_addc_u32 s1, s1, s26
	s_addc_u32 s11, s20, 0
	s_mul_i32 s5, s25, s5
	s_add_u32 s1, s1, s5
	s_addc_u32 s5, 0, s11
	s_mul_i32 s5, s9, s5
	s_mul_hi_u32 s20, s9, s1
	s_add_i32 s20, s20, s5
	s_mul_i32 s5, s9, s1
	v_mov_b32_e32 v0, s5
	s_add_u32 s11, s1, 1
	s_add_u32 s14, s1, 2
	v_sub_co_u32_e32 v0, vcc, s24, v0
	s_cmp_lg_u64 vcc, 0
	s_subb_u32 s5, s25, s20
	v_subrev_co_u32_e32 v1, vcc, s9, v0
	s_cmp_lg_u64 vcc, 0
	s_subb_u32 s20, s5, 0
	v_cmp_le_u32_e32 vcc, s9, v1
	s_cmp_eq_u32 s20, 0
	v_cndmask_b32_e64 v1, 0, -1, vcc
	s_cselect_b64 vcc, -1, 0
	v_cndmask_b32_e32 v1, -1, v1, vcc
	v_mov_b32_e32 v13, s11
	v_mov_b32_e32 v14, s14
	v_cmp_ne_u32_e32 vcc, 0, v1
	v_cndmask_b32_e32 v1, v13, v14, vcc
	v_cmp_le_u32_e32 vcc, s9, v0
	s_cmp_eq_u32 s5, 0
	v_cndmask_b32_e64 v0, 0, -1, vcc
	s_cselect_b64 vcc, -1, 0
	v_cndmask_b32_e32 v0, -1, v0, vcc
	v_mov_b32_e32 v13, s1
	v_cmp_ne_u32_e32 vcc, 0, v0
	v_cndmask_b32_e32 v0, v13, v1, vcc
	v_xor_b32_e32 v0, s0, v0
	v_subrev_co_u32_e32 v0, vcc, s0, v0
	s_cbranch_execnz .LBB3_11
.LBB3_10:
	s_sub_i32 s0, 0, s9
	v_mul_lo_u32 v0, s0, v11
	v_mul_hi_u32 v0, v11, v0
	v_add_u32_e32 v0, v11, v0
	v_mul_hi_u32 v0, s4, v0
	v_mul_lo_u32 v13, v0, s9
	v_sub_u32_e32 v13, s4, v13
	v_add_u32_e32 v1, 1, v0
	v_subrev_u32_e32 v14, s9, v13
	v_cmp_le_u32_e32 vcc, s9, v13
	v_cndmask_b32_e32 v13, v13, v14, vcc
	v_cndmask_b32_e32 v0, v0, v1, vcc
	v_add_u32_e32 v1, 1, v0
	v_cmp_le_u32_e32 vcc, s9, v13
	v_cndmask_b32_e32 v0, v0, v1, vcc
.LBB3_11:
	v_cmp_ne_u32_e32 vcc, v8, v0
	s_cbranch_vccz .LBB3_14
; %bb.12:
	s_add_i32 s0, s8, s9
	s_lshl_b32 s0, s0, 6
	v_mul_hi_u32 v1, v0, s16
	s_add_i32 s0, s0, s21
	s_mov_b32 s1, s10
	v_add_u32_e32 v1, v1, v0
	s_lshl_b64 s[0:1], s[0:1], 3
	v_lshrrev_b32_e32 v1, s17, v1
	s_add_u32 s4, s2, s0
	v_mul_lo_u32 v13, v1, s18
	s_addc_u32 s5, s3, s1
	v_cmp_eq_u32_e32 vcc, v13, v0
	v_cmp_gt_u32_e64 s[0:1], s19, v1
	s_or_b64 s[0:1], s[0:1], vcc
	s_and_b64 vcc, exec, s[0:1]
	s_cbranch_vccnz .LBB3_16
; %bb.13:
	s_add_i32 s11, s8, -1
	s_mov_b64 s[0:1], 0
	s_branch .LBB3_17
.LBB3_14:
                                        ; implicit-def: $sgpr0_sgpr1
                                        ; implicit-def: $vgpr14
                                        ; implicit-def: $vgpr1
                                        ; implicit-def: $vgpr13
                                        ; implicit-def: $sgpr11
                                        ; implicit-def: $vgpr0
	s_branch .LBB3_18
.LBB3_15:
                                        ; implicit-def: $vgpr0_vgpr1
	s_branch .LBB3_10
.LBB3_16:
	s_mov_b64 s[0:1], -1
	s_mov_b32 s11, s8
	v_mov_b32_e32 v0, v8
.LBB3_17:
	v_lshl_add_u32 v14, s8, 12, v4
	v_ashrrev_i32_e32 v15, 31, v14
	v_lshlrev_b64 v[14:15], 2, v[14:15]
	v_mov_b32_e32 v1, s23
	v_add_co_u32_e32 v14, vcc, s22, v14
	v_addc_co_u32_e32 v15, vcc, v1, v15, vcc
	global_load_dword v14, v[14:15], off
	s_load_dwordx2 s[4:5], s[4:5], 0x0
	v_max_f32_e32 v1, v7, v7
	s_waitcnt lgkmcnt(0)
	v_max_f32_e64 v13, s4, s4
	v_max_f32_e32 v1, v1, v13
	v_sub_f32_e32 v13, v7, v1
	v_sub_f32_e32 v15, s4, v1
	v_mul_f32_e32 v16, 0x3fb8aa3b, v13
	v_mul_f32_e32 v17, 0x3fb8aa3b, v15
	v_fma_f32 v18, v13, s6, -v16
	v_rndne_f32_e32 v19, v16
	v_fma_f32 v20, v15, s6, -v17
	v_rndne_f32_e32 v21, v17
	v_fmac_f32_e32 v18, 0x32a5705f, v13
	v_sub_f32_e32 v16, v16, v19
	v_fmac_f32_e32 v20, 0x32a5705f, v15
	v_sub_f32_e32 v17, v17, v21
	v_add_f32_e32 v16, v16, v18
	v_cvt_i32_f32_e32 v19, v19
	v_add_f32_e32 v17, v17, v20
	v_exp_f32_e32 v16, v16
	v_cvt_i32_f32_e32 v21, v21
	v_exp_f32_e32 v17, v17
	v_cmp_ngt_f32_e32 vcc, s7, v13
	v_ldexp_f32 v16, v16, v19
	v_cndmask_b32_e32 v16, 0, v16, vcc
	v_ldexp_f32 v17, v17, v21
	v_cmp_ngt_f32_e32 vcc, s7, v15
	v_cndmask_b32_e32 v17, 0, v17, vcc
	v_cmp_nlt_f32_e32 vcc, s12, v13
	v_cndmask_b32_e32 v16, v12, v16, vcc
	v_cmp_nlt_f32_e32 vcc, s12, v15
	v_cndmask_b32_e32 v17, v12, v17, vcc
	v_cmp_le_f32_e32 vcc, s13, v13
	v_cndmask_b32_e32 v16, 0, v16, vcc
	v_cmp_le_f32_e32 vcc, s13, v15
	v_cndmask_b32_e32 v15, 0, v17, vcc
	v_mul_f32_e32 v13, s5, v15
	v_fmac_f32_e32 v13, v6, v16
	s_waitcnt vmcnt(0)
	v_mul_f32_e32 v14, v14, v15
	v_fmac_f32_e32 v14, v5, v16
	s_cbranch_execnz .LBB3_19
.LBB3_18:
	s_add_i32 s11, s8, -1
	s_mov_b64 s[0:1], 0
	v_mov_b32_e32 v0, v8
	v_mov_b32_e32 v13, v6
	;; [unrolled: 1-line block ×3, first 2 shown]
	s_waitcnt vmcnt(0)
	v_mov_b32_e32 v14, v5
.LBB3_19:
	s_andn2_b64 vcc, exec, s[0:1]
	s_cbranch_vccz .LBB3_23
; %bb.20:
	v_mov_b32_e32 v8, v0
	s_mov_b32 s8, s11
	v_mov_b32_e32 v6, v13
	v_mov_b32_e32 v7, v1
	s_waitcnt vmcnt(0)
	v_mov_b32_e32 v5, v14
	s_mul_hi_i32 s11, s8, s15
	s_cmp_lg_u64 s[10:11], 0
	s_mul_i32 s4, s8, s15
	s_cbranch_scc1 .LBB3_9
	s_branch .LBB3_15
.LBB3_21:
                                        ; implicit-def: $sgpr20_sgpr21
	s_load_dwordx4 s[16:19], s[4:5], 0x44
	s_branch .LBB3_2
.LBB3_22:
                                        ; implicit-def: $vgpr2_vgpr3
	s_branch .LBB3_5
.LBB3_23:
	v_div_scale_f32 v0, s[0:1], v13, v13, v14
	v_rcp_f32_e32 v1, v0
	v_div_scale_f32 v4, vcc, v14, v13, v14
	s_waitcnt vmcnt(0)
	v_fma_f32 v5, -v0, v1, 1.0
	v_fmac_f32_e32 v1, v5, v1
	v_mul_f32_e32 v5, v4, v1
	v_fma_f32 v6, -v0, v5, v4
	v_fmac_f32_e32 v5, v6, v1
	v_fma_f32 v0, -v0, v5, v4
	v_div_fmas_f32 v0, v0, v1, v5
	v_div_fixup_f32 v0, v0, v13, v14
	global_store_dword v[2:3], v0, off
.LBB3_24:
	s_endpgm
	.section	.rodata,"a",@progbits
	.p2align	6, 0x0
	.amdhsa_kernel _ZL33flash_attn_stream_k_fixup_generalILi64ELi8ELi8EEvPfPK15HIP_vector_typeIfLj2EEiiiiS1_IjLj3EES5_S5_S5_
		.amdhsa_group_segment_fixed_size 0
		.amdhsa_private_segment_fixed_size 0
		.amdhsa_kernarg_size 336
		.amdhsa_user_sgpr_count 6
		.amdhsa_user_sgpr_private_segment_buffer 1
		.amdhsa_user_sgpr_dispatch_ptr 0
		.amdhsa_user_sgpr_queue_ptr 0
		.amdhsa_user_sgpr_kernarg_segment_ptr 1
		.amdhsa_user_sgpr_dispatch_id 0
		.amdhsa_user_sgpr_flat_scratch_init 0
		.amdhsa_user_sgpr_kernarg_preload_length 0
		.amdhsa_user_sgpr_kernarg_preload_offset 0
		.amdhsa_user_sgpr_private_segment_size 0
		.amdhsa_uses_dynamic_stack 0
		.amdhsa_system_sgpr_private_segment_wavefront_offset 0
		.amdhsa_system_sgpr_workgroup_id_x 1
		.amdhsa_system_sgpr_workgroup_id_y 1
		.amdhsa_system_sgpr_workgroup_id_z 1
		.amdhsa_system_sgpr_workgroup_info 0
		.amdhsa_system_vgpr_workitem_id 0
		.amdhsa_next_free_vgpr 22
		.amdhsa_next_free_sgpr 32
		.amdhsa_accum_offset 24
		.amdhsa_reserve_vcc 1
		.amdhsa_reserve_flat_scratch 0
		.amdhsa_float_round_mode_32 0
		.amdhsa_float_round_mode_16_64 0
		.amdhsa_float_denorm_mode_32 3
		.amdhsa_float_denorm_mode_16_64 3
		.amdhsa_dx10_clamp 1
		.amdhsa_ieee_mode 1
		.amdhsa_fp16_overflow 0
		.amdhsa_tg_split 0
		.amdhsa_exception_fp_ieee_invalid_op 0
		.amdhsa_exception_fp_denorm_src 0
		.amdhsa_exception_fp_ieee_div_zero 0
		.amdhsa_exception_fp_ieee_overflow 0
		.amdhsa_exception_fp_ieee_underflow 0
		.amdhsa_exception_fp_ieee_inexact 0
		.amdhsa_exception_int_div_zero 0
	.end_amdhsa_kernel
	.section	.text._ZL33flash_attn_stream_k_fixup_generalILi64ELi8ELi8EEvPfPK15HIP_vector_typeIfLj2EEiiiiS1_IjLj3EES5_S5_S5_,"axG",@progbits,_ZL33flash_attn_stream_k_fixup_generalILi64ELi8ELi8EEvPfPK15HIP_vector_typeIfLj2EEiiiiS1_IjLj3EES5_S5_S5_,comdat
.Lfunc_end3:
	.size	_ZL33flash_attn_stream_k_fixup_generalILi64ELi8ELi8EEvPfPK15HIP_vector_typeIfLj2EEiiiiS1_IjLj3EES5_S5_S5_, .Lfunc_end3-_ZL33flash_attn_stream_k_fixup_generalILi64ELi8ELi8EEvPfPK15HIP_vector_typeIfLj2EEiiiiS1_IjLj3EES5_S5_S5_
                                        ; -- End function
	.section	.AMDGPU.csdata,"",@progbits
; Kernel info:
; codeLenInByte = 2824
; NumSgprs: 36
; NumVgprs: 22
; NumAgprs: 0
; TotalNumVgprs: 22
; ScratchSize: 0
; MemoryBound: 0
; FloatMode: 240
; IeeeMode: 1
; LDSByteSize: 0 bytes/workgroup (compile time only)
; SGPRBlocks: 4
; VGPRBlocks: 2
; NumSGPRsForWavesPerEU: 36
; NumVGPRsForWavesPerEU: 22
; AccumOffset: 24
; Occupancy: 8
; WaveLimiterHint : 0
; COMPUTE_PGM_RSRC2:SCRATCH_EN: 0
; COMPUTE_PGM_RSRC2:USER_SGPR: 6
; COMPUTE_PGM_RSRC2:TRAP_HANDLER: 0
; COMPUTE_PGM_RSRC2:TGID_X_EN: 1
; COMPUTE_PGM_RSRC2:TGID_Y_EN: 1
; COMPUTE_PGM_RSRC2:TGID_Z_EN: 1
; COMPUTE_PGM_RSRC2:TIDIG_COMP_CNT: 0
; COMPUTE_PGM_RSRC3_GFX90A:ACCUM_OFFSET: 5
; COMPUTE_PGM_RSRC3_GFX90A:TG_SPLIT: 0
	.section	.text._ZL26flash_attn_combine_resultsILi64EEvPKfPK15HIP_vector_typeIfLj2EEPfi,"axG",@progbits,_ZL26flash_attn_combine_resultsILi64EEvPKfPK15HIP_vector_typeIfLj2EEPfi,comdat
	.globl	_ZL26flash_attn_combine_resultsILi64EEvPKfPK15HIP_vector_typeIfLj2EEPfi ; -- Begin function _ZL26flash_attn_combine_resultsILi64EEvPKfPK15HIP_vector_typeIfLj2EEPfi
	.p2align	8
	.type	_ZL26flash_attn_combine_resultsILi64EEvPKfPK15HIP_vector_typeIfLj2EEPfi,@function
_ZL26flash_attn_combine_resultsILi64EEvPKfPK15HIP_vector_typeIfLj2EEPfi: ; @_ZL26flash_attn_combine_resultsILi64EEvPKfPK15HIP_vector_typeIfLj2EEPfi
; %bb.0:
	s_load_dwordx2 s[10:11], s[4:5], 0x20
	s_load_dword s17, s[4:5], 0x18
	s_load_dwordx4 s[0:3], s[4:5], 0x0
	s_load_dwordx2 s[14:15], s[4:5], 0x10
	s_waitcnt lgkmcnt(0)
	s_mul_i32 s4, s10, s8
	s_add_i32 s4, s4, s6
	s_mul_i32 s16, s4, s11
	s_add_i32 s16, s16, s7
	s_lshl_b32 s18, s17, 1
	s_mul_i32 s4, s16, s17
	v_cmp_gt_i32_e32 vcc, s18, v0
	s_and_saveexec_b64 s[6:7], vcc
	s_cbranch_execz .LBB4_13
; %bb.1:
	v_xad_u32 v1, v0, -1, s18
	s_ashr_i32 s5, s4, 31
	v_cmp_lt_u32_e32 vcc, 63, v1
	s_mov_b64 s[10:11], -1
	v_mov_b32_e32 v2, v0
	s_and_saveexec_b64 s[8:9], vcc
	s_cbranch_execz .LBB4_10
; %bb.2:
	v_lshrrev_b32_e32 v6, 6, v1
	s_lshl_b64 s[10:11], s[4:5], 3
	v_add_u32_e32 v2, -1, v6
	s_add_u32 s19, s2, s10
	v_or_b32_e32 v1, 64, v0
	v_lshrrev_b32_e32 v3, 1, v2
	s_addc_u32 s20, s3, s11
	v_add_u32_e32 v7, 1, v3
	v_cmp_lt_u32_e32 vcc, 13, v2
	v_mov_b32_e32 v4, 0
	v_pk_mov_b32 v[2:3], v[0:1], v[0:1] op_sel:[0,1]
	s_and_saveexec_b64 s[10:11], vcc
	s_cbranch_execz .LBB4_6
; %bb.3:
	v_and_b32_e32 v8, -8, v7
	s_mov_b32 s21, 0
	v_lshl_add_u32 v9, v0, 2, 0
	s_mov_b64 s[12:13], 0
	v_mov_b32_e32 v10, s20
	v_mov_b32_e32 v5, 0
	v_pk_mov_b32 v[2:3], v[0:1], v[0:1] op_sel:[0,1]
.LBB4_4:                                ; =>This Inner Loop Header: Depth=1
	v_mov_b32_e32 v4, v2
	v_lshlrev_b64 v[26:27], 2, v[4:5]
	v_add_u32_e32 v12, 0x80, v3
	v_mov_b32_e32 v13, v5
	v_add_co_u32_e32 v26, vcc, s19, v26
	v_lshlrev_b64 v[12:13], 2, v[12:13]
	v_addc_co_u32_e32 v27, vcc, v10, v27, vcc
	v_add_u32_e32 v14, 0x100, v3
	v_mov_b32_e32 v15, v5
	v_add_co_u32_e32 v12, vcc, s19, v12
	v_lshlrev_b64 v[14:15], 2, v[14:15]
	v_addc_co_u32_e32 v13, vcc, v10, v13, vcc
	;; [unrolled: 5-line block ×7, first 2 shown]
	v_mov_b32_e32 v4, v3
	v_add_co_u32_e32 v24, vcc, s19, v24
	v_lshlrev_b64 v[28:29], 2, v[4:5]
	v_addc_co_u32_e32 v25, vcc, v10, v25, vcc
	v_add_u32_e32 v4, 0x80, v2
	v_add_co_u32_e32 v28, vcc, s19, v28
	v_addc_co_u32_e32 v29, vcc, v10, v29, vcc
	global_load_dword v1, v[26:27], off
	v_lshlrev_b64 v[26:27], 2, v[4:5]
	v_add_u32_e32 v4, 0x100, v2
	v_add_co_u32_e32 v26, vcc, s19, v26
	v_addc_co_u32_e32 v27, vcc, v10, v27, vcc
	v_lshlrev_b64 v[30:31], 2, v[4:5]
	v_add_u32_e32 v4, 0x180, v2
	global_load_dword v11, v[28:29], off
	global_load_dword v32, v[26:27], off
	;; [unrolled: 1-line block ×3, first 2 shown]
	v_add_co_u32_e32 v12, vcc, s19, v30
	v_addc_co_u32_e32 v13, vcc, v10, v31, vcc
	v_lshlrev_b64 v[26:27], 2, v[4:5]
	v_add_u32_e32 v4, 0x200, v2
	v_add_co_u32_e32 v26, vcc, s19, v26
	v_addc_co_u32_e32 v27, vcc, v10, v27, vcc
	v_lshlrev_b64 v[28:29], 2, v[4:5]
	v_add_u32_e32 v4, 0x280, v2
	global_load_dword v30, v[12:13], off
	global_load_dword v31, v[14:15], off
	global_load_dword v34, v[26:27], off
	global_load_dword v35, v[16:17], off
	v_add_co_u32_e32 v12, vcc, s19, v28
	v_addc_co_u32_e32 v13, vcc, v10, v29, vcc
	v_lshlrev_b64 v[14:15], 2, v[4:5]
	v_add_u32_e32 v4, 0x300, v2
	v_add_co_u32_e32 v14, vcc, s19, v14
	v_addc_co_u32_e32 v15, vcc, v10, v15, vcc
	v_lshlrev_b64 v[16:17], 2, v[4:5]
	v_add_u32_e32 v4, 0x380, v2
	global_load_dword v26, v[12:13], off
	global_load_dword v27, v[18:19], off
	;; [unrolled: 1-line block ×4, first 2 shown]
	v_add_co_u32_e32 v12, vcc, s19, v16
	v_addc_co_u32_e32 v13, vcc, v10, v17, vcc
	v_lshlrev_b64 v[14:15], 2, v[4:5]
	v_add_co_u32_e32 v14, vcc, s19, v14
	v_addc_co_u32_e32 v15, vcc, v10, v15, vcc
	global_load_dword v16, v[12:13], off
	global_load_dword v17, v[22:23], off
	;; [unrolled: 1-line block ×4, first 2 shown]
	v_add_u32_e32 v8, -8, v8
	s_add_i32 s21, s21, 16
	v_cmp_eq_u32_e32 vcc, 0, v8
	v_add_u32_e32 v3, 0x400, v3
	v_mov_b32_e32 v4, s21
	s_or_b64 s[12:13], vcc, s[12:13]
	v_add_u32_e32 v2, 0x400, v2
	s_waitcnt vmcnt(14)
	ds_write2st64_b32 v9, v1, v11 offset1:1
	s_waitcnt vmcnt(12)
	ds_write2st64_b32 v9, v32, v33 offset0:2 offset1:3
	s_waitcnt vmcnt(10)
	ds_write2st64_b32 v9, v30, v31 offset0:4 offset1:5
	;; [unrolled: 2-line block ×7, first 2 shown]
	v_add_u32_e32 v9, 0x1000, v9
	s_andn2_b64 exec, exec, s[12:13]
	s_cbranch_execnz .LBB4_4
; %bb.5:
	s_or_b64 exec, exec, s[12:13]
.LBB4_6:
	s_or_b64 exec, exec, s[10:11]
	v_and_b32_e32 v1, 7, v7
	v_cmp_ne_u32_e32 vcc, 0, v1
	s_and_saveexec_b64 s[10:11], vcc
	s_cbranch_execz .LBB4_9
; %bb.7:
	v_lshlrev_b32_e32 v5, 2, v0
	v_lshl_or_b32 v4, v4, 8, v5
	v_add_u32_e32 v7, 0, v4
	s_mov_b64 s[12:13], 0
	v_mov_b32_e32 v8, s20
	v_mov_b32_e32 v5, 0
.LBB4_8:                                ; =>This Inner Loop Header: Depth=1
	v_mov_b32_e32 v4, v2
	v_lshlrev_b64 v[10:11], 2, v[4:5]
	v_mov_b32_e32 v4, v3
	v_add_co_u32_e32 v10, vcc, s19, v10
	v_addc_co_u32_e32 v11, vcc, v8, v11, vcc
	v_lshlrev_b64 v[12:13], 2, v[4:5]
	v_add_co_u32_e32 v12, vcc, s19, v12
	v_addc_co_u32_e32 v13, vcc, v8, v13, vcc
	global_load_dword v4, v[10:11], off
	global_load_dword v9, v[12:13], off
	v_add_u32_e32 v1, -1, v1
	v_cmp_eq_u32_e32 vcc, 0, v1
	v_add_u32_e32 v2, 0x80, v2
	v_add_u32_e32 v3, 0x80, v3
	s_or_b64 s[12:13], vcc, s[12:13]
	s_waitcnt vmcnt(0)
	ds_write2st64_b32 v7, v4, v9 offset1:1
	v_add_u32_e32 v7, 0x200, v7
	s_andn2_b64 exec, exec, s[12:13]
	s_cbranch_execnz .LBB4_8
.LBB4_9:
	s_or_b64 exec, exec, s[10:11]
	v_add_u32_e32 v1, 1, v6
	v_and_b32_e32 v3, 0x7fffffe, v1
	v_cmp_ne_u32_e32 vcc, v1, v3
	v_lshl_or_b32 v2, v3, 6, v0
	s_orn2_b64 s[10:11], vcc, exec
.LBB4_10:
	s_or_b64 exec, exec, s[8:9]
	s_and_b64 exec, exec, s[10:11]
	s_cbranch_execz .LBB4_13
; %bb.11:
	s_lshl_b64 s[8:9], s[4:5], 3
	v_mov_b32_e32 v3, 0
	s_add_u32 s2, s2, s8
	v_lshlrev_b64 v[4:5], 2, v[2:3]
	s_addc_u32 s3, s3, s9
	v_mov_b32_e32 v1, s3
	v_add_co_u32_e32 v4, vcc, s2, v4
	v_addc_co_u32_e32 v5, vcc, v1, v5, vcc
	v_lshl_add_u32 v1, v2, 2, 0
	s_mov_b64 s[2:3], 0
.LBB4_12:                               ; =>This Inner Loop Header: Depth=1
	global_load_dword v3, v[4:5], off
	v_add_co_u32_e32 v4, vcc, 0x100, v4
	v_add_u32_e32 v2, 64, v2
	v_addc_co_u32_e32 v5, vcc, 0, v5, vcc
	v_cmp_le_i32_e32 vcc, s18, v2
	s_or_b64 s[2:3], vcc, s[2:3]
	s_waitcnt vmcnt(0)
	ds_write_b32 v1, v3
	v_add_u32_e32 v1, 0x100, v1
	s_andn2_b64 exec, exec, s[2:3]
	s_cbranch_execnz .LBB4_12
.LBB4_13:
	s_or_b64 exec, exec, s[6:7]
	v_mov_b32_e32 v1, 0
	s_waitcnt lgkmcnt(0)
	; wave barrier
	s_waitcnt lgkmcnt(0)
	ds_read_b32 v1, v1
	s_cmp_lt_i32 s17, 2
	s_cbranch_scc1 .LBB4_21
; %bb.14:
	s_add_i32 s2, s17, -1
	s_add_i32 s3, s17, -2
	s_cmp_lt_u32 s3, 7
	s_cbranch_scc1 .LBB4_18
; %bb.15:
	s_mov_b32 s6, 0
	s_add_i32 s3, 0, 8
	s_and_b32 s5, s2, -8
.LBB4_16:                               ; =>This Inner Loop Header: Depth=1
	v_mov_b32_e32 v8, s3
	ds_read2_b32 v[2:3], v8 offset1:2
	ds_read2_b32 v[4:5], v8 offset0:4 offset1:6
	ds_read2_b32 v[6:7], v8 offset0:8 offset1:10
	;; [unrolled: 1-line block ×3, first 2 shown]
	s_mov_b32 s7, s6
	s_waitcnt lgkmcnt(3)
	v_max3_f32 v1, v1, v2, v3
	s_waitcnt lgkmcnt(2)
	v_max3_f32 v1, v1, v4, v5
	s_add_i32 s3, s3, 64
	s_add_i32 s6, s6, 8
	s_waitcnt lgkmcnt(1)
	v_max3_f32 v1, v1, v6, v7
	s_cmp_eq_u32 s5, s6
	s_waitcnt lgkmcnt(0)
	v_max3_f32 v1, v1, v8, v9
	s_cbranch_scc0 .LBB4_16
; %bb.17:
	s_add_i32 s3, s7, 9
	s_and_b32 s2, s2, 7
	s_cmp_eq_u32 s2, 0
	s_cbranch_scc0 .LBB4_19
	s_branch .LBB4_21
.LBB4_18:
	s_mov_b32 s3, 1
	s_and_b32 s2, s2, 7
	s_cmp_eq_u32 s2, 0
	s_cbranch_scc1 .LBB4_21
.LBB4_19:
	s_lshl_b32 s3, s3, 3
	s_add_i32 s3, s3, 0
.LBB4_20:                               ; =>This Inner Loop Header: Depth=1
	v_mov_b32_e32 v2, s3
	ds_read_b32 v2, v2
	s_waitcnt lgkmcnt(1)
	v_max_f32_e32 v1, v1, v1
	s_add_i32 s3, s3, 8
	s_add_i32 s2, s2, -1
	s_cmp_lg_u32 s2, 0
	s_waitcnt lgkmcnt(0)
	v_max_f32_e32 v2, v2, v2
	v_max_f32_e32 v1, v1, v2
	s_cbranch_scc1 .LBB4_20
.LBB4_21:
	s_cmp_lt_i32 s17, 1
	s_cbranch_scc1 .LBB4_26
; %bb.22:
	s_lshl_b32 s2, s4, 6
	s_ashr_i32 s3, s2, 31
	s_lshl_b64 s[2:3], s[2:3], 2
	s_add_u32 s18, s0, s2
	s_addc_u32 s19, s1, s3
	s_cmp_lt_u32 s17, 8
	v_mov_b32_e32 v6, 0
	s_cbranch_scc1 .LBB4_27
; %bb.23:
	s_and_b32 s20, s17, 0x7ffffff8
	v_or_b32_e32 v2, 0x1c0, v0
	s_mov_b32 s21, 0
	v_mov_b32_e32 v5, 0
	s_mov_b32 s22, 0x3fb8aa3b
	s_mov_b32 s23, 0xc2ce8ed0
	;; [unrolled: 1-line block ×3, first 2 shown]
	v_mov_b32_e32 v8, 0x7f800000
	v_mov_b32_e32 v9, s19
	s_mov_b32 s25, 0
	v_mov_b32_e32 v7, 0
	v_mov_b32_e32 v6, 0
.LBB4_24:                               ; =>This Inner Loop Header: Depth=1
	v_add_u32_e32 v4, 0xfffffe40, v2
	v_lshlrev_b64 v[26:27], 2, v[4:5]
	v_mov_b32_e32 v3, v5
	v_add_co_u32_e32 v26, vcc, s18, v26
	v_lshlrev_b64 v[28:29], 2, v[2:3]
	v_addc_co_u32_e32 v27, vcc, v9, v27, vcc
	v_add_u32_e32 v4, 0xfffffe80, v2
	v_add_co_u32_e32 v28, vcc, s18, v28
	v_mov_b32_e32 v22, s21
	v_lshlrev_b64 v[30:31], 2, v[4:5]
	v_addc_co_u32_e32 v29, vcc, v9, v29, vcc
	ds_read2_b64 v[10:13], v22 offset1:1
	ds_read2_b64 v[14:17], v22 offset0:2 offset1:3
	ds_read2_b64 v[18:21], v22 offset0:4 offset1:5
	;; [unrolled: 1-line block ×3, first 2 shown]
	v_add_u32_e32 v4, 0xfffffec0, v2
	global_load_dword v3, v[26:27], off
	v_add_co_u32_e32 v26, vcc, s18, v30
	v_addc_co_u32_e32 v27, vcc, v9, v31, vcc
	v_lshlrev_b64 v[30:31], 2, v[4:5]
	v_add_u32_e32 v4, 0xffffff00, v2
	v_add_co_u32_e32 v30, vcc, s18, v30
	v_addc_co_u32_e32 v31, vcc, v9, v31, vcc
	v_lshlrev_b64 v[32:33], 2, v[4:5]
	v_add_u32_e32 v4, 0xffffff40, v2
	global_load_dword v34, v[26:27], off
	global_load_dword v35, v[30:31], off
	v_add_co_u32_e32 v26, vcc, s18, v32
	v_addc_co_u32_e32 v27, vcc, v9, v33, vcc
	v_lshlrev_b64 v[30:31], 2, v[4:5]
	v_add_u32_e32 v4, 0xffffff80, v2
	v_add_co_u32_e32 v30, vcc, s18, v30
	v_addc_co_u32_e32 v31, vcc, v9, v31, vcc
	v_lshlrev_b64 v[32:33], 2, v[4:5]
	global_load_dword v36, v[26:27], off
	v_subrev_u32_e32 v4, 64, v2
	global_load_dword v28, v[28:29], off
	v_add_co_u32_e32 v26, vcc, s18, v32
	v_addc_co_u32_e32 v27, vcc, v9, v33, vcc
	global_load_dword v42, v[30:31], off
	s_waitcnt lgkmcnt(3)
	v_sub_f32_e32 v12, v12, v1
	global_load_dword v26, v[26:27], off
	v_lshlrev_b64 v[30:31], 2, v[4:5]
	v_add_co_u32_e32 v30, vcc, s18, v30
	v_addc_co_u32_e32 v31, vcc, v9, v31, vcc
	global_load_dword v30, v[30:31], off
	s_waitcnt lgkmcnt(2)
	v_sub_f32_e32 v14, v14, v1
	v_sub_f32_e32 v10, v10, v1
	v_mul_f32_e32 v38, 0x3fb8aa3b, v12
	v_mul_f32_e32 v39, 0x3fb8aa3b, v14
	s_waitcnt lgkmcnt(1)
	v_sub_f32_e32 v18, v18, v1
	s_waitcnt lgkmcnt(0)
	v_sub_f32_e32 v22, v22, v1
	v_mul_f32_e32 v37, 0x3fb8aa3b, v10
	v_fma_f32 v45, v12, s22, -v38
	v_rndne_f32_e32 v46, v38
	v_fma_f32 v47, v14, s22, -v39
	v_rndne_f32_e32 v48, v39
	v_sub_f32_e32 v16, v16, v1
	v_sub_f32_e32 v20, v20, v1
	v_mul_f32_e32 v41, 0x3fb8aa3b, v18
	v_mul_f32_e32 v32, 0x3fb8aa3b, v22
	v_fma_f32 v33, v10, s22, -v37
	v_rndne_f32_e32 v44, v37
	v_fmac_f32_e32 v45, 0x32a5705f, v12
	v_sub_f32_e32 v38, v38, v46
	v_fmac_f32_e32 v47, 0x32a5705f, v14
	v_sub_f32_e32 v39, v39, v48
	v_mul_f32_e32 v40, 0x3fb8aa3b, v16
	v_mul_f32_e32 v43, 0x3fb8aa3b, v20
	v_fma_f32 v27, v18, s22, -v41
	v_rndne_f32_e32 v31, v41
	v_fmac_f32_e32 v33, 0x32a5705f, v10
	v_sub_f32_e32 v37, v37, v44
	v_add_f32_e32 v38, v38, v45
	v_fma_f32 v45, v22, s22, -v32
	v_add_f32_e32 v39, v39, v47
	v_rndne_f32_e32 v47, v32
	v_fma_f32 v49, v16, s22, -v40
	v_rndne_f32_e32 v50, v40
	v_fma_f32 v29, v20, s22, -v43
	v_add_f32_e32 v33, v37, v33
	v_rndne_f32_e32 v37, v43
	v_fmac_f32_e32 v27, 0x32a5705f, v18
	v_sub_f32_e32 v41, v41, v31
	v_fmac_f32_e32 v45, 0x32a5705f, v22
	v_sub_f32_e32 v32, v32, v47
	;; [unrolled: 2-line block ×3, first 2 shown]
	v_add_f32_e32 v27, v41, v27
	v_cvt_i32_f32_e32 v44, v44
	v_fmac_f32_e32 v29, 0x32a5705f, v20
	v_sub_f32_e32 v43, v43, v37
	v_add_f32_e32 v32, v32, v45
	v_exp_f32_e32 v33, v33
	v_add_f32_e32 v40, v40, v49
	v_cvt_i32_f32_e32 v46, v46
	v_cvt_i32_f32_e32 v31, v31
	;; [unrolled: 1-line block ×3, first 2 shown]
	v_add_f32_e32 v29, v43, v29
	v_exp_f32_e32 v38, v38
	v_exp_f32_e32 v27, v27
	;; [unrolled: 1-line block ×3, first 2 shown]
	v_sub_f32_e32 v24, v24, v1
	v_cvt_i32_f32_e32 v48, v48
	v_cvt_i32_f32_e32 v50, v50
	;; [unrolled: 1-line block ×3, first 2 shown]
	v_exp_f32_e32 v39, v39
	v_exp_f32_e32 v40, v40
	;; [unrolled: 1-line block ×3, first 2 shown]
	v_mul_f32_e32 v4, 0x3fb8aa3b, v24
	v_fma_f32 v49, v24, s22, -v4
	v_rndne_f32_e32 v41, v4
	v_ldexp_f32 v33, v33, v44
	v_cmp_ngt_f32_e64 s[12:13], s23, v10
	v_fmac_f32_e32 v49, 0x32a5705f, v24
	v_sub_f32_e32 v4, v4, v41
	v_ldexp_f32 v38, v38, v46
	v_cmp_ngt_f32_e32 vcc, s23, v12
	v_ldexp_f32 v27, v27, v31
	v_ldexp_f32 v31, v32, v47
	v_cndmask_b32_e64 v32, 0, v33, s[12:13]
	v_cmp_nlt_f32_e64 s[12:13], s24, v10
	v_add_f32_e32 v4, v4, v49
	v_ldexp_f32 v39, v39, v48
	v_cmp_ngt_f32_e64 s[0:1], s23, v14
	v_ldexp_f32 v40, v40, v50
	v_cmp_ngt_f32_e64 s[2:3], s23, v16
	v_cmp_ngt_f32_e64 s[4:5], s23, v18
	v_ldexp_f32 v29, v29, v37
	v_cmp_ngt_f32_e64 s[6:7], s23, v20
	v_cmp_ngt_f32_e64 s[8:9], s23, v22
	v_cndmask_b32_e32 v33, 0, v38, vcc
	v_cmp_nlt_f32_e32 vcc, s24, v12
	v_cndmask_b32_e64 v10, v8, v32, s[12:13]
	v_cvt_i32_f32_e32 v41, v41
	v_exp_f32_e32 v4, v4
	v_cndmask_b32_e64 v12, 0, v39, s[0:1]
	v_cmp_nlt_f32_e64 s[0:1], s24, v14
	v_cndmask_b32_e64 v14, 0, v40, s[2:3]
	v_cmp_nlt_f32_e64 s[2:3], s24, v16
	;; [unrolled: 2-line block ×5, first 2 shown]
	v_cndmask_b32_e32 v22, v8, v33, vcc
	v_fmac_f32_e32 v7, v10, v11
	s_waitcnt vmcnt(7)
	v_fmac_f32_e32 v6, v3, v10
	v_cndmask_b32_e64 v12, v8, v12, s[0:1]
	v_fmac_f32_e32 v7, v22, v13
	s_waitcnt vmcnt(6)
	v_fmac_f32_e32 v6, v34, v22
	v_cndmask_b32_e64 v14, v8, v14, s[2:3]
	;; [unrolled: 4-line block ×3, first 2 shown]
	v_fmac_f32_e32 v7, v14, v17
	s_waitcnt vmcnt(4)
	v_fmac_f32_e32 v6, v36, v14
	v_ldexp_f32 v4, v4, v41
	v_cmp_ngt_f32_e64 s[10:11], s23, v24
	v_cndmask_b32_e64 v18, v8, v18, s[6:7]
	v_fmac_f32_e32 v7, v16, v19
	s_waitcnt vmcnt(2)
	v_fmac_f32_e32 v6, v42, v16
	v_cndmask_b32_e64 v4, 0, v4, s[10:11]
	v_cmp_nlt_f32_e64 s[10:11], s24, v24
	v_cndmask_b32_e64 v20, v8, v20, s[8:9]
	v_fmac_f32_e32 v7, v18, v21
	s_waitcnt vmcnt(1)
	v_fmac_f32_e32 v6, v26, v18
	s_add_i32 s25, s25, 8
	s_add_i32 s21, s21, 64
	v_cndmask_b32_e64 v4, v8, v4, s[10:11]
	v_fmac_f32_e32 v7, v20, v23
	s_waitcnt vmcnt(0)
	v_fmac_f32_e32 v6, v30, v20
	s_cmp_eq_u32 s20, s25
	v_add_u32_e32 v2, 0x200, v2
	v_fmac_f32_e32 v7, v4, v25
	v_fmac_f32_e32 v6, v28, v4
	s_cbranch_scc0 .LBB4_24
; %bb.25:
	s_and_b32 s0, s17, 7
	s_cmp_eq_u32 s0, 0
	s_cbranch_scc0 .LBB4_28
	s_branch .LBB4_30
.LBB4_26:
	s_waitcnt lgkmcnt(0)
	v_mov_b32_e32 v1, 0x7fc00000
	s_branch .LBB4_31
.LBB4_27:
	s_mov_b32 s20, 0
	v_mov_b32_e32 v7, 0
	s_and_b32 s0, s17, 7
	s_cmp_eq_u32 s0, 0
	s_cbranch_scc1 .LBB4_30
.LBB4_28:
	s_lshl_b32 s1, s20, 3
	v_lshl_or_b32 v2, s20, 6, v0
	s_add_i32 s1, s1, 0
	s_mov_b32 s2, 0x3fb8aa3b
	s_mov_b32 s3, 0xc2ce8ed0
	;; [unrolled: 1-line block ×3, first 2 shown]
	v_mov_b32_e32 v4, 0x7f800000
	v_mov_b32_e32 v3, 0
	;; [unrolled: 1-line block ×3, first 2 shown]
.LBB4_29:                               ; =>This Inner Loop Header: Depth=1
	v_lshlrev_b64 v[8:9], 2, v[2:3]
	v_add_co_u32_e32 v8, vcc, s18, v8
	v_addc_co_u32_e32 v9, vcc, v5, v9, vcc
	global_load_dword v10, v[8:9], off
	v_mov_b32_e32 v8, s1
	ds_read_b64 v[8:9], v8
	s_add_i32 s1, s1, 8
	s_add_i32 s0, s0, -1
	v_add_u32_e32 v2, 64, v2
	s_cmp_lg_u32 s0, 0
	s_waitcnt lgkmcnt(0)
	v_sub_f32_e32 v8, v8, v1
	v_mul_f32_e32 v11, 0x3fb8aa3b, v8
	v_fma_f32 v12, v8, s2, -v11
	v_rndne_f32_e32 v13, v11
	v_fmac_f32_e32 v12, 0x32a5705f, v8
	v_sub_f32_e32 v11, v11, v13
	v_add_f32_e32 v11, v11, v12
	v_cvt_i32_f32_e32 v13, v13
	v_exp_f32_e32 v11, v11
	v_cmp_ngt_f32_e32 vcc, s3, v8
	v_ldexp_f32 v11, v11, v13
	v_cndmask_b32_e32 v11, 0, v11, vcc
	v_cmp_nlt_f32_e32 vcc, s4, v8
	v_cndmask_b32_e32 v8, v4, v11, vcc
	v_fmac_f32_e32 v7, v8, v9
	s_waitcnt vmcnt(0)
	v_fmac_f32_e32 v6, v10, v8
	s_cbranch_scc1 .LBB4_29
.LBB4_30:
	s_waitcnt lgkmcnt(0)
	v_div_scale_f32 v1, s[0:1], v7, v7, v6
	v_rcp_f32_e32 v2, v1
	v_div_scale_f32 v3, vcc, v6, v7, v6
	v_fma_f32 v4, -v1, v2, 1.0
	v_fmac_f32_e32 v2, v4, v2
	v_mul_f32_e32 v4, v3, v2
	v_fma_f32 v5, -v1, v4, v3
	v_fmac_f32_e32 v4, v5, v2
	v_fma_f32 v1, -v1, v4, v3
	v_div_fmas_f32 v1, v1, v2, v4
	v_div_fixup_f32 v1, v1, v7, v6
.LBB4_31:
	s_lshl_b32 s0, s16, 6
	s_ashr_i32 s1, s0, 31
	s_lshl_b64 s[0:1], s[0:1], 2
	s_add_u32 s0, s14, s0
	s_addc_u32 s1, s15, s1
	v_lshlrev_b32_e32 v0, 2, v0
	global_store_dword v0, v1, s[0:1]
	s_endpgm
	.section	.rodata,"a",@progbits
	.p2align	6, 0x0
	.amdhsa_kernel _ZL26flash_attn_combine_resultsILi64EEvPKfPK15HIP_vector_typeIfLj2EEPfi
		.amdhsa_group_segment_fixed_size 0
		.amdhsa_private_segment_fixed_size 0
		.amdhsa_kernarg_size 288
		.amdhsa_user_sgpr_count 6
		.amdhsa_user_sgpr_private_segment_buffer 1
		.amdhsa_user_sgpr_dispatch_ptr 0
		.amdhsa_user_sgpr_queue_ptr 0
		.amdhsa_user_sgpr_kernarg_segment_ptr 1
		.amdhsa_user_sgpr_dispatch_id 0
		.amdhsa_user_sgpr_flat_scratch_init 0
		.amdhsa_user_sgpr_kernarg_preload_length 0
		.amdhsa_user_sgpr_kernarg_preload_offset 0
		.amdhsa_user_sgpr_private_segment_size 0
		.amdhsa_uses_dynamic_stack 0
		.amdhsa_system_sgpr_private_segment_wavefront_offset 0
		.amdhsa_system_sgpr_workgroup_id_x 1
		.amdhsa_system_sgpr_workgroup_id_y 1
		.amdhsa_system_sgpr_workgroup_id_z 1
		.amdhsa_system_sgpr_workgroup_info 0
		.amdhsa_system_vgpr_workitem_id 0
		.amdhsa_next_free_vgpr 51
		.amdhsa_next_free_sgpr 26
		.amdhsa_accum_offset 52
		.amdhsa_reserve_vcc 1
		.amdhsa_reserve_flat_scratch 0
		.amdhsa_float_round_mode_32 0
		.amdhsa_float_round_mode_16_64 0
		.amdhsa_float_denorm_mode_32 3
		.amdhsa_float_denorm_mode_16_64 3
		.amdhsa_dx10_clamp 1
		.amdhsa_ieee_mode 1
		.amdhsa_fp16_overflow 0
		.amdhsa_tg_split 0
		.amdhsa_exception_fp_ieee_invalid_op 0
		.amdhsa_exception_fp_denorm_src 0
		.amdhsa_exception_fp_ieee_div_zero 0
		.amdhsa_exception_fp_ieee_overflow 0
		.amdhsa_exception_fp_ieee_underflow 0
		.amdhsa_exception_fp_ieee_inexact 0
		.amdhsa_exception_int_div_zero 0
	.end_amdhsa_kernel
	.section	.text._ZL26flash_attn_combine_resultsILi64EEvPKfPK15HIP_vector_typeIfLj2EEPfi,"axG",@progbits,_ZL26flash_attn_combine_resultsILi64EEvPKfPK15HIP_vector_typeIfLj2EEPfi,comdat
.Lfunc_end4:
	.size	_ZL26flash_attn_combine_resultsILi64EEvPKfPK15HIP_vector_typeIfLj2EEPfi, .Lfunc_end4-_ZL26flash_attn_combine_resultsILi64EEvPKfPK15HIP_vector_typeIfLj2EEPfi
                                        ; -- End function
	.section	.AMDGPU.csdata,"",@progbits
; Kernel info:
; codeLenInByte = 3028
; NumSgprs: 30
; NumVgprs: 51
; NumAgprs: 0
; TotalNumVgprs: 51
; ScratchSize: 0
; MemoryBound: 0
; FloatMode: 240
; IeeeMode: 1
; LDSByteSize: 0 bytes/workgroup (compile time only)
; SGPRBlocks: 3
; VGPRBlocks: 6
; NumSGPRsForWavesPerEU: 30
; NumVGPRsForWavesPerEU: 51
; AccumOffset: 52
; Occupancy: 8
; WaveLimiterHint : 0
; COMPUTE_PGM_RSRC2:SCRATCH_EN: 0
; COMPUTE_PGM_RSRC2:USER_SGPR: 6
; COMPUTE_PGM_RSRC2:TRAP_HANDLER: 0
; COMPUTE_PGM_RSRC2:TGID_X_EN: 1
; COMPUTE_PGM_RSRC2:TGID_Y_EN: 1
; COMPUTE_PGM_RSRC2:TGID_Z_EN: 1
; COMPUTE_PGM_RSRC2:TIDIG_COMP_CNT: 0
; COMPUTE_PGM_RSRC3_GFX90A:ACCUM_OFFSET: 12
; COMPUTE_PGM_RSRC3_GFX90A:TG_SPLIT: 0
	.section	.text._ZL15flash_attn_tileILi64ELi64ELi4ELi8ELb0EEvPKcS1_S1_S1_S1_PKiPfP15HIP_vector_typeIfLj2EEffffjfiS5_IjLj3EEiiiiiiiiiiiliiliiiiil,"axG",@progbits,_ZL15flash_attn_tileILi64ELi64ELi4ELi8ELb0EEvPKcS1_S1_S1_S1_PKiPfP15HIP_vector_typeIfLj2EEffffjfiS5_IjLj3EEiiiiiiiiiiiliiliiiiil,comdat
	.globl	_ZL15flash_attn_tileILi64ELi64ELi4ELi8ELb0EEvPKcS1_S1_S1_S1_PKiPfP15HIP_vector_typeIfLj2EEffffjfiS5_IjLj3EEiiiiiiiiiiiliiliiiiil ; -- Begin function _ZL15flash_attn_tileILi64ELi64ELi4ELi8ELb0EEvPKcS1_S1_S1_S1_PKiPfP15HIP_vector_typeIfLj2EEffffjfiS5_IjLj3EEiiiiiiiiiiiliiliiiiil
	.p2align	8
	.type	_ZL15flash_attn_tileILi64ELi64ELi4ELi8ELb0EEvPKcS1_S1_S1_S1_PKiPfP15HIP_vector_typeIfLj2EEffffjfiS5_IjLj3EEiiiiiiiiiiiliiliiiiil,@function
_ZL15flash_attn_tileILi64ELi64ELi4ELi8ELb0EEvPKcS1_S1_S1_S1_PKiPfP15HIP_vector_typeIfLj2EEffffjfiS5_IjLj3EEiiiiiiiiiiiliiliiiiil: ; @_ZL15flash_attn_tileILi64ELi64ELi4ELi8ELb0EEvPKcS1_S1_S1_S1_PKiPfP15HIP_vector_typeIfLj2EEffffjfiS5_IjLj3EEiiiiiiiiiiiliiliiiiil
; %bb.0:
	s_load_dwordx4 s[60:63], s[4:5], 0x5c
	s_load_dwordx2 s[64:65], s[4:5], 0x80
	s_load_dwordx16 s[44:59], s[4:5], 0x0
	s_mov_b64 s[66:67], 0
	s_waitcnt lgkmcnt(0)
	s_ashr_i32 s0, s63, 31
	s_lshr_b32 s0, s0, 29
	s_add_i32 s0, s63, s0
	s_ashr_i32 s0, s0, 3
	v_cvt_f32_u32_e32 v1, s0
	s_sub_i32 s1, 0, s0
	v_rcp_iflag_f32_e32 v1, v1
	v_mul_f32_e32 v1, 0x4f7ffffe, v1
	v_cvt_u32_f32_e32 v1, v1
	v_readfirstlane_b32 s2, v1
	s_mul_i32 s1, s1, s2
	s_mul_hi_u32 s1, s2, s1
	s_add_i32 s2, s2, s1
	s_mul_hi_u32 s1, s8, s2
	s_mul_i32 s2, s1, s0
	s_sub_i32 s2, s8, s2
	s_add_i32 s3, s1, 1
	s_sub_i32 s9, s2, s0
	s_cmp_ge_u32 s2, s0
	s_cselect_b32 s1, s3, s1
	s_cselect_b32 s2, s9, s2
	s_add_i32 s3, s1, 1
	s_cmp_ge_u32 s2, s0
	s_cselect_b32 s33, s3, s1
	s_abs_i32 s0, s65
	v_cvt_f32_u32_e32 v1, s0
	s_lshl_b32 s1, s8, 3
	s_mul_i32 s8, s33, s63
	s_xor_b32 s2, s63, s65
	v_rcp_iflag_f32_e32 v1, v1
	s_sub_i32 s9, 0, s0
	s_sub_i32 s65, s1, s8
	s_abs_i32 s3, s63
	v_mul_f32_e32 v1, 0x4f7ffffe, v1
	v_cvt_u32_f32_e32 v1, v1
	s_ashr_i32 s2, s2, 31
	v_readfirstlane_b32 s1, v1
	s_mul_i32 s9, s9, s1
	s_mul_hi_u32 s8, s1, s9
	s_add_i32 s1, s1, s8
	s_mul_hi_u32 s1, s3, s1
	s_mul_i32 s8, s1, s0
	s_sub_i32 s3, s3, s8
	s_add_i32 s9, s1, 1
	s_sub_i32 s8, s3, s0
	s_cmp_ge_u32 s3, s0
	s_cselect_b32 s1, s9, s1
	s_cselect_b32 s3, s8, s3
	s_add_i32 s8, s1, 1
	s_cmp_ge_u32 s3, s0
	s_cselect_b32 s0, s8, s1
	s_xor_b32 s0, s0, s2
	s_sub_i32 s11, s0, s2
	s_abs_i32 s10, s11
	v_cvt_f32_u32_e32 v1, s10
	s_load_dwordx2 s[8:9], s[4:5], 0xb8
	s_cmp_eq_u64 s[50:51], 0
	v_rcp_iflag_f32_e32 v1, v1
	v_mul_f32_e32 v1, 0x4f7ffffe, v1
	v_cvt_u32_f32_e32 v1, v1
	v_readfirstlane_b32 s12, v1
	s_cbranch_scc1 .LBB5_2
; %bb.1:
	s_waitcnt lgkmcnt(0)
	s_abs_i32 s2, s8
	v_cvt_f32_u32_e32 v1, s2
	s_sub_i32 s13, 0, s2
	s_abs_i32 s8, s33
	s_ashr_i32 s3, s33, 31
	v_rcp_iflag_f32_e32 v1, v1
	s_load_dwordx2 s[0:1], s[4:5], 0xc8
	v_mul_f32_e32 v1, 0x4f7ffffe, v1
	v_cvt_u32_f32_e32 v1, v1
	v_readfirstlane_b32 s14, v1
	s_mul_i32 s13, s13, s14
	s_mul_hi_u32 s13, s14, s13
	s_add_i32 s14, s14, s13
	s_mul_hi_u32 s13, s8, s14
	s_mul_i32 s13, s13, s2
	s_sub_i32 s8, s8, s13
	s_sub_i32 s13, s8, s2
	s_cmp_ge_u32 s8, s2
	s_cselect_b32 s8, s13, s8
	s_sub_i32 s13, s8, s2
	s_cmp_ge_u32 s8, s2
	s_cselect_b32 s2, s13, s8
	s_xor_b32 s2, s2, s3
	s_sub_i32 s2, s2, s3
	s_ashr_i32 s3, s2, 31
	s_waitcnt lgkmcnt(0)
	s_mul_i32 s1, s2, s1
	s_mul_hi_u32 s8, s2, s0
	s_add_i32 s1, s8, s1
	s_mul_i32 s3, s3, s0
	s_add_i32 s1, s1, s3
	s_mul_i32 s2, s2, s0
	s_add_u32 s66, s50, s2
	s_addc_u32 s67, s51, s1
.LBB5_2:
	s_load_dwordx4 s[0:3], s[4:5], 0x70
	v_bfe_u32 v5, v0, 10, 10
	v_lshrrev_b32_e32 v1, 1, v5
	v_lshl_add_u32 v73, s6, 2, v1
	v_mul_hi_u32 v1, s60, v73
	s_waitcnt lgkmcnt(0)
	s_mul_i32 s2, s33, s2
	s_ashr_i32 s8, s2, 31
	s_mul_i32 s3, s65, s1
	s_add_u32 s2, s44, s2
	v_add_u32_e32 v1, v73, v1
	s_addc_u32 s8, s45, s8
	s_ashr_i32 s13, s3, 31
	v_lshrrev_b32_e32 v1, s61, v1
	s_add_u32 s14, s2, s3
	v_mul_lo_u32 v1, v1, s62
	s_addc_u32 s8, s8, s13
	v_sub_u32_e32 v6, v73, v1
	s_ashr_i32 s15, s0, 31
	v_mov_b32_e32 v1, s0
	v_alignbit_b32 v1, s15, v1, 2
	v_mad_u64_u32 v[2:3], s[2:3], v1, v6, 0
	v_mov_b32_e32 v4, v3
	s_lshr_b32 s0, s15, 2
	v_mad_u64_u32 v[8:9], s[2:3], s0, v6, v[4:5]
	v_mov_b32_e32 v3, v8
	v_and_b32_e32 v72, 0x3ff, v0
	v_lshlrev_b64 v[0:1], 2, v[2:3]
	v_mov_b32_e32 v2, s8
	v_add_co_u32_e32 v0, vcc, s14, v0
	v_addc_co_u32_e32 v1, vcc, v2, v1, vcc
	v_lshlrev_b32_e32 v4, 3, v72
	v_lshlrev_b32_e32 v7, 2, v5
	s_ashr_i32 s13, s1, 31
	v_add_co_u32_e32 v16, vcc, v0, v4
	v_mov_b32_e32 v0, s1
	v_and_b32_e32 v126, 4, v7
	s_lshr_b32 s2, s13, 2
	v_alignbit_b32 v18, s13, v0, 2
	v_or_b32_e32 v19, 1, v7
	v_addc_co_u32_e32 v17, vcc, 0, v1, vcc
	v_mul_lo_u32 v2, s2, v126
	v_mad_u64_u32 v[0:1], s[0:1], v18, v126, 0
	v_and_b32_e32 v9, 5, v19
	v_or_b32_e32 v1, v1, v2
	v_mad_u64_u32 v[2:3], s[0:1], v18, v9, 0
	v_mov_b32_e32 v8, v3
	v_or_b32_e32 v20, 2, v7
	v_mad_u64_u32 v[8:9], s[0:1], s2, v9, v[8:9]
	v_and_b32_e32 v11, 6, v20
	v_lshlrev_b64 v[0:1], 2, v[0:1]
	v_mov_b32_e32 v3, v8
	v_mad_u64_u32 v[8:9], s[0:1], v18, v11, 0
	v_add_co_u32_e32 v0, vcc, v16, v0
	v_mov_b32_e32 v10, v9
	v_addc_co_u32_e32 v1, vcc, v17, v1, vcc
	v_lshlrev_b64 v[2:3], 2, v[2:3]
	v_mad_u64_u32 v[10:11], s[0:1], s2, v11, v[10:11]
	v_add_co_u32_e32 v2, vcc, v16, v2
	v_mov_b32_e32 v9, v10
	v_addc_co_u32_e32 v3, vcc, v17, v3, vcc
	v_lshlrev_b64 v[8:9], 2, v[8:9]
	v_add_co_u32_e32 v8, vcc, v16, v8
	v_addc_co_u32_e32 v9, vcc, v17, v9, vcc
	global_load_dwordx2 v[10:11], v[0:1], off
	global_load_dwordx2 v[12:13], v[2:3], off
	;; [unrolled: 1-line block ×3, first 2 shown]
	v_or_b32_e32 v8, 3, v7
	v_and_b32_e32 v3, 7, v8
	v_mad_u64_u32 v[0:1], s[0:1], v18, v3, 0
	v_mov_b32_e32 v2, v1
	v_mad_u64_u32 v[2:3], s[0:1], s2, v3, v[2:3]
	v_mov_b32_e32 v1, v2
	v_lshlrev_b64 v[0:1], 2, v[0:1]
	v_add_co_u32_e32 v0, vcc, v16, v0
	v_addc_co_u32_e32 v1, vcc, v17, v1, vcc
	global_load_dwordx2 v[0:1], v[0:1], off
	s_load_dword s0, s[4:5], 0x40
	v_lshlrev_b32_e32 v2, 7, v5
	v_add_lshl_u32 v2, v2, v72, 2
	s_cmp_eq_u64 s[54:55], 0
	s_waitcnt vmcnt(3) lgkmcnt(0)
	v_fma_mixlo_f16 v3, v10, s0, 0
	v_fma_mixhi_f16 v3, v11, s0, 0
	ds_write_b32 v2, v3 offset:13312
	s_waitcnt vmcnt(2)
	v_fma_mixlo_f16 v2, v12, s0, 0
	v_lshlrev_b32_e32 v3, 5, v19
	v_fma_mixhi_f16 v2, v13, s0, 0
	v_add_lshl_u32 v3, v3, v72, 2
	ds_write_b32 v3, v2 offset:13312
	s_waitcnt vmcnt(1)
	v_fma_mixlo_f16 v2, v14, s0, 0
	v_lshlrev_b32_e32 v3, 5, v20
	v_fma_mixhi_f16 v2, v15, s0, 0
	v_add_lshl_u32 v3, v3, v72, 2
	ds_write_b32 v3, v2 offset:13312
	s_waitcnt vmcnt(0)
	v_fma_mixlo_f16 v0, v0, s0, 0
	v_fma_mixhi_f16 v0, v1, s0, 0
	v_lshlrev_b32_e32 v1, 5, v8
	v_add_lshl_u32 v1, v1, v72, 2
	ds_write_b32 v1, v0 offset:13312
	s_waitcnt lgkmcnt(0)
	s_barrier
	s_cbranch_scc1 .LBB5_4
; %bb.3:
	s_load_dword s0, s[4:5], 0xd0
	s_mov_b32 s1, 0
	s_waitcnt lgkmcnt(0)
	s_mul_i32 s0, s0, s33
	s_add_i32 s0, s0, s6
	s_lshl_b64 s[0:1], s[0:1], 2
	s_add_u32 s0, s54, s0
	s_addc_u32 s1, s55, s1
	s_load_dword s64, s[0:1], 0x0
.LBB5_4:
	s_lshl_b32 s60, s7, 6
	s_waitcnt lgkmcnt(0)
	s_cmp_lt_i32 s60, s64
	v_mbcnt_lo_u32_b32 v8, -1, 0
	s_cbranch_scc1 .LBB5_6
; %bb.5:
	v_mbcnt_hi_u32_b32 v79, -1, v8
	v_and_b32_e32 v0, 0x60, v79
	s_mov_b32 s2, 0
	v_add_u32_e32 v127, 32, v0
	v_xor_b32_e32 v130, 16, v79
	v_xor_b32_e32 v131, 8, v79
	;; [unrolled: 1-line block ×5, first 2 shown]
	s_mov_b64 s[0:1], 0
	s_mov_b32 s3, 0xfeffffff
	s_branch .LBB5_7
.LBB5_6:
	s_mov_b64 s[0:1], -1
                                        ; implicit-def: $sgpr3
                                        ; implicit-def: $sgpr2
                                        ; implicit-def: $vgpr79
                                        ; implicit-def: $vgpr127
                                        ; implicit-def: $vgpr130
                                        ; implicit-def: $vgpr131
                                        ; implicit-def: $vgpr132
                                        ; implicit-def: $vgpr129
                                        ; implicit-def: $vgpr128
.LBB5_7:
	s_andn2_b64 vcc, exec, s[0:1]
	v_mov_b32_e32 v3, s3
	v_mov_b32_e32 v75, s2
	;; [unrolled: 1-line block ×12, first 2 shown]
	s_cbranch_vccnz .LBB5_10
; %bb.8:
	s_sub_i32 s0, 0, s10
	s_mul_i32 s0, s0, s12
	s_mul_hi_u32 s0, s12, s0
	s_add_i32 s8, s12, s0
	s_load_dwordx2 s[12:13], s[4:5], 0x8c
	s_load_dwordx4 s[0:3], s[4:5], 0x98
	s_abs_i32 s6, s65
	s_mul_hi_u32 s8, s6, s8
	s_ashr_i32 s16, s65, 31
	s_waitcnt lgkmcnt(0)
	s_ashr_i32 s68, s12, 2
	s_ashr_i32 s61, s2, 2
	s_ashr_i32 s2, s9, 1
	s_ashr_i32 s9, s33, 31
	s_mul_i32 s1, s33, s1
	s_mul_hi_u32 s12, s33, s0
	s_add_i32 s1, s12, s1
	s_mul_i32 s12, s9, s0
	s_ashr_i32 s11, s11, 31
	s_add_i32 s1, s1, s12
	s_mul_i32 s0, s33, s0
	s_add_u32 s0, s46, s0
	s_mul_i32 s12, s8, s10
	s_addc_u32 s1, s47, s1
	s_sub_i32 s6, s6, s12
	s_xor_b32 s11, s16, s11
	s_add_i32 s12, s8, 1
	s_sub_i32 s16, s6, s10
	s_cmp_ge_u32 s6, s10
	s_cselect_b32 s8, s12, s8
	s_cselect_b32 s6, s16, s6
	s_add_i32 s12, s8, 1
	s_cmp_ge_u32 s6, s10
	s_cselect_b32 s6, s12, s8
	s_load_dwordx2 s[14:15], s[4:5], 0xa8
	s_xor_b32 s6, s6, s11
	s_sub_i32 s6, s6, s11
	s_mul_i32 s8, s6, s13
	s_ashr_i32 s10, s8, 31
	s_add_u32 s69, s0, s8
	s_addc_u32 s70, s1, s10
	s_waitcnt lgkmcnt(0)
	s_mul_i32 s0, s33, s15
	s_mul_hi_u32 s1, s33, s14
	s_add_i32 s0, s1, s0
	s_mul_i32 s9, s9, s14
	s_add_i32 s0, s0, s9
	s_mul_i32 s1, s33, s14
	s_add_u32 s1, s48, s1
	s_mul_i32 s6, s6, s3
	s_addc_u32 s0, s49, s0
	s_ashr_i32 s3, s6, 31
	v_lshlrev_b32_e32 v133, 2, v72
	s_add_u32 s71, s1, s6
	v_lshrrev_b32_e32 v0, 3, v72
	v_and_b32_e32 v2, 28, v133
	s_addc_u32 s72, s0, s3
	v_add_u32_e32 v0, v0, v7
	v_lshlrev_b32_e32 v1, 2, v2
	s_movk_i32 s0, 0x90
	v_mad_u32_u24 v134, v0, s0, v1
	v_mul_lo_u32 v10, s68, v0
	v_mad_u64_u32 v[78:79], s[0:1], v6, s2, v[72:73]
	v_mul_lo_u32 v6, s61, v0
	v_lshl_add_u32 v12, s68, 5, v10
	v_lshlrev_b32_e32 v3, 9, v5
	v_lshl_add_u32 v14, s61, 5, v6
	v_mbcnt_hi_u32_b32 v79, -1, v8
	v_mov_b32_e32 v26, 0
	v_ashrrev_i32_e32 v11, 31, v10
	v_ashrrev_i32_e32 v13, 31, v12
	v_add_u32_e32 v138, 0x2400, v3
	v_lshl_or_b32 v139, v0, 7, v1
	v_ashrrev_i32_e32 v7, 31, v6
	v_ashrrev_i32_e32 v15, 31, v14
	s_add_u32 s54, s4, 0xd0
	v_mov_b32_e32 v0, 0xfeffffff
	v_and_b32_e32 v1, 0x60, v79
	v_add_u32_e32 v135, 0x1200, v134
	v_mul_u32_u24_e32 v136, 0x90, v72
	v_add_u32_e32 v137, 0x3400, v3
	v_add_u32_e32 v140, 0x1000, v139
	s_addc_u32 s55, s5, 0
	v_lshlrev_b64 v[80:81], 2, v[10:11]
	v_lshlrev_b32_e32 v141, 2, v2
	v_lshlrev_b64 v[82:83], 2, v[12:13]
	v_add_u32_e32 v127, 32, v1
	v_xor_b32_e32 v130, 16, v79
	v_xor_b32_e32 v131, 8, v79
	v_xor_b32_e32 v132, 4, v79
	v_xor_b32_e32 v129, 2, v79
	v_xor_b32_e32 v128, 1, v79
	v_mov_b32_e32 v142, s67
	s_mov_b32 s6, 0x40051340
	s_mov_b32 s67, 0x3fb8aa3b
	;; [unrolled: 1-line block ×4, first 2 shown]
	v_mov_b32_e32 v143, 0x7f800000
	v_add_u32_e32 v144, v138, v4
	v_lshlrev_b64 v[84:85], 2, v[6:7]
	v_lshlrev_b64 v[86:87], 2, v[14:15]
	v_add_u32_e32 v145, 0x400, v133
	v_add_u32_e32 v146, 0x800, v133
	;; [unrolled: 1-line block ×7, first 2 shown]
	v_mov_b32_e32 v30, 0
	v_mov_b32_e32 v28, 0
	;; [unrolled: 1-line block ×10, first 2 shown]
.LBB5_9:                                ; =>This Inner Loop Header: Depth=1
	s_mul_hi_i32 s13, s60, s68
	s_mul_i32 s12, s60, s68
	v_add_u32_e32 v4, s60, v78
	v_cmp_lt_i32_e64 s[0:1], v131, v127
	v_cmp_lt_i32_e64 s[2:3], v132, v127
	v_cndmask_b32_e64 v7, v79, v131, s[0:1]
	s_lshl_b64 s[0:1], s[12:13], 2
	v_ashrrev_i32_e32 v5, 31, v4
	v_cmp_lt_i32_e32 vcc, v130, v127
	v_cmp_lt_i32_e64 s[10:11], v129, v127
	v_cmp_lt_i32_e64 s[8:9], v128, v127
	v_cndmask_b32_e64 v8, v79, v132, s[2:3]
	s_add_u32 s2, s69, s0
	v_lshlrev_b64 v[4:5], 1, v[4:5]
	s_mul_hi_i32 s15, s60, s61
	s_mul_i32 s14, s60, s61
	v_cndmask_b32_e32 v6, v79, v130, vcc
	v_cndmask_b32_e64 v9, v79, v129, s[10:11]
	v_cndmask_b32_e64 v10, v79, v128, s[8:9]
	s_addc_u32 s8, s70, s1
	v_add_co_u32_e32 v4, vcc, s66, v4
	v_lshlrev_b32_e32 v52, 2, v6
	v_lshlrev_b32_e32 v53, 2, v7
	;; [unrolled: 1-line block ×4, first 2 shown]
	s_lshl_b64 s[10:11], s[14:15], 2
	v_add_co_u32_e64 v6, s[0:1], s2, v82
	v_add_co_u32_e64 v7, s[2:3], s2, v80
	v_addc_co_u32_e32 v5, vcc, v142, v5, vcc
	v_mov_b32_e32 v8, s8
	v_mov_b32_e32 v9, s8
	v_lshlrev_b32_e32 v56, 2, v10
	s_add_u32 s10, s71, s10
	v_add_co_u32_e32 v10, vcc, v6, v141
	v_add_co_u32_e64 v36, s[8:9], v7, v141
	v_addc_co_u32_e64 v6, s[2:3], v8, v81, s[2:3]
	v_addc_co_u32_e64 v7, s[0:1], v9, v83, s[0:1]
	v_add_co_u32_e64 v8, s[0:1], s10, v84
	v_add_co_u32_e64 v9, s[2:3], s10, v86
	v_addc_co_u32_e64 v37, s[8:9], 0, v6, s[8:9]
	v_addc_co_u32_e32 v11, vcc, 0, v7, vcc
	v_add_co_u32_e32 v24, vcc, v9, v141
	v_add_co_u32_e64 v22, s[8:9], v8, v141
	global_load_dwordx4 v[6:9], v[36:37], off
	global_load_dwordx4 v[32:35], v[10:11], off
	v_mov_b32_e32 v12, 0
	v_mov_b32_e32 v13, 0
	;; [unrolled: 1-line block ×8, first 2 shown]
	s_addc_u32 s11, s72, s11
	v_mov_b32_e32 v23, s11
	v_mov_b32_e32 v25, s11
	v_addc_co_u32_e64 v10, s[0:1], v23, v85, s[0:1]
	v_addc_co_u32_e64 v11, s[0:1], v25, v87, s[2:3]
	;; [unrolled: 1-line block ×3, first 2 shown]
	v_addc_co_u32_e32 v25, vcc, 0, v11, vcc
	v_mov_b32_e32 v18, v2
	v_mov_b32_e32 v19, v3
	;; [unrolled: 1-line block ×4, first 2 shown]
	s_waitcnt vmcnt(1)
	ds_write_b128 v134, v[6:9]
	s_waitcnt vmcnt(0)
	ds_write_b128 v135, v[32:35]
	s_waitcnt lgkmcnt(0)
	s_barrier
	ds_read_b128 v[6:9], v137
	ds_read_b128 v[32:35], v136
	ds_read_b128 v[36:39], v136 offset:4608
	ds_read_b128 v[40:43], v137 offset:128
	;; [unrolled: 1-line block ×4, first 2 shown]
	s_waitcnt lgkmcnt(4)
	;;#ASMSTART
	v_dot2_f32_f16 v12, v32, v6, v12
	;;#ASMEND
	;;#ASMSTART
	v_dot2_f32_f16 v12, v33, v7, v12
	;;#ASMEND
	;;#ASMSTART
	v_dot2_f32_f16 v12, v34, v8, v12
	;;#ASMEND
	;;#ASMSTART
	v_dot2_f32_f16 v12, v35, v9, v12
	;;#ASMEND
	s_waitcnt lgkmcnt(2)
	;;#ASMSTART
	v_dot2_f32_f16 v13, v32, v40, v13
	;;#ASMEND
	;;#ASMSTART
	v_dot2_f32_f16 v13, v33, v41, v13
	;;#ASMEND
	;;#ASMSTART
	v_dot2_f32_f16 v13, v34, v42, v13
	;;#ASMEND
	;;#ASMSTART
	v_dot2_f32_f16 v13, v35, v43, v13
	;;#ASMEND
	;; [unrolled: 13-line block ×4, first 2 shown]
	;;#ASMSTART
	v_dot2_f32_f16 v16, v36, v6, v16
	;;#ASMEND
	;;#ASMSTART
	v_dot2_f32_f16 v16, v37, v7, v16
	;;#ASMEND
	;; [unrolled: 3-line block ×16, first 2 shown]
	ds_read_b128 v[6:9], v137 offset:16
	ds_read_b128 v[32:35], v136 offset:16
	;; [unrolled: 1-line block ×6, first 2 shown]
	s_waitcnt lgkmcnt(4)
	;;#ASMSTART
	v_dot2_f32_f16 v12, v32, v6, v12
	;;#ASMEND
	;;#ASMSTART
	v_dot2_f32_f16 v12, v33, v7, v12
	;;#ASMEND
	;;#ASMSTART
	v_dot2_f32_f16 v12, v34, v8, v12
	;;#ASMEND
	;;#ASMSTART
	v_dot2_f32_f16 v12, v35, v9, v12
	;;#ASMEND
	s_waitcnt lgkmcnt(2)
	;;#ASMSTART
	v_dot2_f32_f16 v13, v32, v40, v13
	;;#ASMEND
	;;#ASMSTART
	v_dot2_f32_f16 v13, v33, v41, v13
	;;#ASMEND
	;;#ASMSTART
	v_dot2_f32_f16 v13, v34, v42, v13
	;;#ASMEND
	;;#ASMSTART
	v_dot2_f32_f16 v13, v35, v43, v13
	;;#ASMEND
	;; [unrolled: 13-line block ×4, first 2 shown]
	;;#ASMSTART
	v_dot2_f32_f16 v16, v36, v6, v16
	;;#ASMEND
	;;#ASMSTART
	v_dot2_f32_f16 v16, v37, v7, v16
	;;#ASMEND
	;; [unrolled: 3-line block ×16, first 2 shown]
	ds_read_b128 v[6:9], v137 offset:32
	ds_read_b128 v[32:35], v136 offset:32
	;; [unrolled: 1-line block ×6, first 2 shown]
	s_waitcnt lgkmcnt(4)
	;;#ASMSTART
	v_dot2_f32_f16 v12, v32, v6, v12
	;;#ASMEND
	;;#ASMSTART
	v_dot2_f32_f16 v12, v33, v7, v12
	;;#ASMEND
	;;#ASMSTART
	v_dot2_f32_f16 v12, v34, v8, v12
	;;#ASMEND
	;;#ASMSTART
	v_dot2_f32_f16 v12, v35, v9, v12
	;;#ASMEND
	s_waitcnt lgkmcnt(2)
	;;#ASMSTART
	v_dot2_f32_f16 v13, v32, v40, v13
	;;#ASMEND
	;;#ASMSTART
	v_dot2_f32_f16 v13, v33, v41, v13
	;;#ASMEND
	;;#ASMSTART
	v_dot2_f32_f16 v13, v34, v42, v13
	;;#ASMEND
	;;#ASMSTART
	v_dot2_f32_f16 v13, v35, v43, v13
	;;#ASMEND
	;; [unrolled: 13-line block ×4, first 2 shown]
	;;#ASMSTART
	v_dot2_f32_f16 v16, v36, v6, v16
	;;#ASMEND
	;;#ASMSTART
	v_dot2_f32_f16 v16, v37, v7, v16
	;;#ASMEND
	;; [unrolled: 3-line block ×16, first 2 shown]
	ds_read_b128 v[6:9], v137 offset:48
	ds_read_b128 v[32:35], v136 offset:48
	;; [unrolled: 1-line block ×6, first 2 shown]
	s_waitcnt lgkmcnt(4)
	;;#ASMSTART
	v_dot2_f32_f16 v12, v32, v6, v12
	;;#ASMEND
	;;#ASMSTART
	v_dot2_f32_f16 v12, v33, v7, v12
	;;#ASMEND
	;;#ASMSTART
	v_dot2_f32_f16 v12, v34, v8, v12
	;;#ASMEND
	;;#ASMSTART
	v_dot2_f32_f16 v12, v35, v9, v12
	;;#ASMEND
	s_waitcnt lgkmcnt(2)
	;;#ASMSTART
	v_dot2_f32_f16 v13, v32, v40, v13
	;;#ASMEND
	;;#ASMSTART
	v_dot2_f32_f16 v13, v33, v41, v13
	;;#ASMEND
	;;#ASMSTART
	v_dot2_f32_f16 v13, v34, v42, v13
	;;#ASMEND
	;;#ASMSTART
	v_dot2_f32_f16 v13, v35, v43, v13
	;;#ASMEND
	;; [unrolled: 13-line block ×4, first 2 shown]
	;;#ASMSTART
	v_dot2_f32_f16 v16, v36, v6, v16
	;;#ASMEND
	;;#ASMSTART
	v_dot2_f32_f16 v16, v37, v7, v16
	;;#ASMEND
	;; [unrolled: 3-line block ×16, first 2 shown]
	ds_read_b128 v[6:9], v137 offset:64
	ds_read_b128 v[32:35], v136 offset:64
	;; [unrolled: 1-line block ×6, first 2 shown]
	s_waitcnt lgkmcnt(4)
	;;#ASMSTART
	v_dot2_f32_f16 v12, v32, v6, v12
	;;#ASMEND
	;;#ASMSTART
	v_dot2_f32_f16 v12, v33, v7, v12
	;;#ASMEND
	;;#ASMSTART
	v_dot2_f32_f16 v12, v34, v8, v12
	;;#ASMEND
	;;#ASMSTART
	v_dot2_f32_f16 v12, v35, v9, v12
	;;#ASMEND
	s_waitcnt lgkmcnt(2)
	;;#ASMSTART
	v_dot2_f32_f16 v13, v32, v40, v13
	;;#ASMEND
	;;#ASMSTART
	v_dot2_f32_f16 v13, v33, v41, v13
	;;#ASMEND
	;;#ASMSTART
	v_dot2_f32_f16 v13, v34, v42, v13
	;;#ASMEND
	;;#ASMSTART
	v_dot2_f32_f16 v13, v35, v43, v13
	;;#ASMEND
	;; [unrolled: 13-line block ×4, first 2 shown]
	;;#ASMSTART
	v_dot2_f32_f16 v16, v36, v6, v16
	;;#ASMEND
	;;#ASMSTART
	v_dot2_f32_f16 v16, v37, v7, v16
	;;#ASMEND
	;; [unrolled: 3-line block ×16, first 2 shown]
	ds_read_b128 v[6:9], v137 offset:80
	ds_read_b128 v[32:35], v136 offset:80
	ds_read_b128 v[36:39], v136 offset:4688
	ds_read_b128 v[40:43], v137 offset:208
	ds_read_b128 v[44:47], v137 offset:336
	ds_read_b128 v[48:51], v137 offset:464
	s_waitcnt lgkmcnt(4)
	;;#ASMSTART
	v_dot2_f32_f16 v12, v32, v6, v12
	;;#ASMEND
	;;#ASMSTART
	v_dot2_f32_f16 v12, v33, v7, v12
	;;#ASMEND
	;;#ASMSTART
	v_dot2_f32_f16 v12, v34, v8, v12
	;;#ASMEND
	;;#ASMSTART
	v_dot2_f32_f16 v12, v35, v9, v12
	;;#ASMEND
	s_waitcnt lgkmcnt(2)
	;;#ASMSTART
	v_dot2_f32_f16 v13, v32, v40, v13
	;;#ASMEND
	;;#ASMSTART
	v_dot2_f32_f16 v13, v33, v41, v13
	;;#ASMEND
	;;#ASMSTART
	v_dot2_f32_f16 v13, v34, v42, v13
	;;#ASMEND
	;;#ASMSTART
	v_dot2_f32_f16 v13, v35, v43, v13
	;;#ASMEND
	;; [unrolled: 13-line block ×4, first 2 shown]
	;;#ASMSTART
	v_dot2_f32_f16 v16, v36, v6, v16
	;;#ASMEND
	;;#ASMSTART
	v_dot2_f32_f16 v16, v37, v7, v16
	;;#ASMEND
	;; [unrolled: 3-line block ×16, first 2 shown]
	ds_read_b128 v[6:9], v137 offset:96
	ds_read_b128 v[32:35], v136 offset:96
	;; [unrolled: 1-line block ×6, first 2 shown]
	s_waitcnt lgkmcnt(4)
	;;#ASMSTART
	v_dot2_f32_f16 v12, v32, v6, v12
	;;#ASMEND
	;;#ASMSTART
	v_dot2_f32_f16 v12, v33, v7, v12
	;;#ASMEND
	;;#ASMSTART
	v_dot2_f32_f16 v12, v34, v8, v12
	;;#ASMEND
	;;#ASMSTART
	v_dot2_f32_f16 v12, v35, v9, v12
	;;#ASMEND
	s_waitcnt lgkmcnt(2)
	;;#ASMSTART
	v_dot2_f32_f16 v13, v32, v40, v13
	;;#ASMEND
	;;#ASMSTART
	v_dot2_f32_f16 v13, v33, v41, v13
	;;#ASMEND
	;;#ASMSTART
	v_dot2_f32_f16 v13, v34, v42, v13
	;;#ASMEND
	;;#ASMSTART
	v_dot2_f32_f16 v13, v35, v43, v13
	;;#ASMEND
	;; [unrolled: 13-line block ×4, first 2 shown]
	;;#ASMSTART
	v_dot2_f32_f16 v16, v36, v6, v16
	;;#ASMEND
	;;#ASMSTART
	v_dot2_f32_f16 v16, v37, v7, v16
	;;#ASMEND
	;; [unrolled: 3-line block ×16, first 2 shown]
	ds_read_b128 v[6:9], v137 offset:112
	ds_read_b128 v[32:35], v136 offset:112
	;; [unrolled: 1-line block ×6, first 2 shown]
	s_waitcnt lgkmcnt(4)
	;;#ASMSTART
	v_dot2_f32_f16 v12, v32, v6, v12
	;;#ASMEND
	;;#ASMSTART
	v_dot2_f32_f16 v12, v33, v7, v12
	;;#ASMEND
	;;#ASMSTART
	v_dot2_f32_f16 v12, v34, v8, v12
	;;#ASMEND
	;;#ASMSTART
	v_dot2_f32_f16 v12, v35, v9, v12
	;;#ASMEND
	s_waitcnt lgkmcnt(2)
	;;#ASMSTART
	v_dot2_f32_f16 v13, v32, v40, v13
	;;#ASMEND
	;;#ASMSTART
	v_dot2_f32_f16 v13, v33, v41, v13
	;;#ASMEND
	;;#ASMSTART
	v_dot2_f32_f16 v13, v34, v42, v13
	;;#ASMEND
	;;#ASMSTART
	v_dot2_f32_f16 v13, v35, v43, v13
	;;#ASMEND
	;; [unrolled: 13-line block ×4, first 2 shown]
	;;#ASMSTART
	v_dot2_f32_f16 v16, v36, v6, v16
	;;#ASMEND
	;;#ASMSTART
	v_dot2_f32_f16 v16, v37, v7, v16
	;;#ASMEND
	;; [unrolled: 3-line block ×16, first 2 shown]
	flat_load_ushort v32, v[4:5]
	flat_load_ushort v33, v[4:5] offset:64
	s_waitcnt lgkmcnt(0)
	s_barrier
	global_load_dwordx4 v[4:7], v[22:23], off
	global_load_dwordx4 v[8:11], v[24:25], off
	s_waitcnt vmcnt(0)
	v_cvt_f32_f16_e32 v22, v32
	v_cvt_f32_f16_e32 v23, v33
	v_add_f32_e32 v24, v27, v22
	v_pk_add_f32 v[14:15], v[14:15], v[22:23]
	v_add_f32_e32 v32, v31, v23
	v_pk_add_f32 v[12:13], v[12:13], v[22:23] op_sel_hi:[1,0]
	v_mov_b32_e32 v22, v23
	v_mov_b32_e32 v25, v14
	;; [unrolled: 1-line block ×3, first 2 shown]
	v_pk_add_f32 v[16:17], v[16:17], v[22:23] op_sel_hi:[1,0]
	v_pk_add_f32 v[22:23], v[24:25], s[6:7] op_sel_hi:[1,0]
	;; [unrolled: 1-line block ×5, first 2 shown]
	v_max3_f32 v3, v3, v23, v37
	v_max3_f32 v2, v2, v22, v36
	;; [unrolled: 1-line block ×4, first 2 shown]
	ds_bpermute_b32 v22, v52, v3
	ds_bpermute_b32 v23, v52, v2
	ds_bpermute_b32 v25, v52, v1
	ds_bpermute_b32 v27, v52, v0
	s_waitcnt lgkmcnt(3)
	v_max_f32_e32 v22, v22, v22
	s_waitcnt lgkmcnt(2)
	v_max_f32_e32 v23, v23, v23
	s_waitcnt lgkmcnt(1)
	v_max_f32_e32 v25, v25, v25
	s_waitcnt lgkmcnt(0)
	v_max_f32_e32 v27, v27, v27
	v_max_f32_e32 v3, v3, v22
	v_max_f32_e32 v2, v2, v23
	v_max_f32_e32 v1, v1, v25
	v_max_f32_e32 v0, v0, v27
	ds_bpermute_b32 v22, v53, v3
	ds_bpermute_b32 v23, v53, v2
	ds_bpermute_b32 v25, v53, v1
	ds_bpermute_b32 v27, v53, v0
	s_waitcnt lgkmcnt(3)
	v_max_f32_e32 v22, v22, v22
	s_waitcnt lgkmcnt(2)
	v_max_f32_e32 v23, v23, v23
	s_waitcnt lgkmcnt(1)
	v_max_f32_e32 v25, v25, v25
	s_waitcnt lgkmcnt(0)
	v_max_f32_e32 v27, v27, v27
	v_max_f32_e32 v3, v3, v22
	v_max_f32_e32 v2, v2, v23
	v_max_f32_e32 v1, v1, v25
	v_max_f32_e32 v0, v0, v27
	;; [unrolled: 16-line block ×5, first 2 shown]
	v_sub_f32_e32 v23, v24, v2
	v_sub_f32_e32 v24, v32, v2
	v_pk_add_f32 v[18:19], v[18:19], v[2:3] neg_lo:[0,1] neg_hi:[0,1]
	v_mov_b32_e32 v22, v3
	v_pk_add_f32 v[12:13], v[12:13], v[0:1] neg_lo:[0,1] neg_hi:[0,1]
	v_pk_add_f32 v[16:17], v[16:17], v[0:1] neg_lo:[0,1] neg_hi:[0,1]
	v_mul_f32_e32 v25, 0x3fb8aa3b, v23
	v_mul_f32_e32 v27, 0x3fb8aa3b, v24
	;; [unrolled: 1-line block ×4, first 2 shown]
	v_pk_add_f32 v[14:15], v[14:15], v[22:23] op_sel_hi:[1,0] neg_lo:[0,1] neg_hi:[0,1]
	v_pk_add_f32 v[20:21], v[20:21], v[0:1] neg_lo:[0,1] neg_hi:[0,1]
	v_mul_f32_e32 v22, 0x3fb8aa3b, v13
	v_mul_f32_e32 v33, 0x3fb8aa3b, v12
	;; [unrolled: 1-line block ×4, first 2 shown]
	v_fma_f32 v38, v23, s67, -v25
	v_rndne_f32_e32 v39, v25
	v_fma_f32 v40, v24, s67, -v27
	v_rndne_f32_e32 v41, v27
	;; [unrolled: 2-line block ×4, first 2 shown]
	v_mul_f32_e32 v46, 0x3fb8aa3b, v15
	v_mul_f32_e32 v47, 0x3fb8aa3b, v14
	;; [unrolled: 1-line block ×4, first 2 shown]
	v_cmp_ngt_f32_e32 vcc, s73, v24
	v_cmp_ngt_f32_e64 s[0:1], s73, v19
	v_cmp_ngt_f32_e64 s[50:51], s73, v18
	;; [unrolled: 1-line block ×3, first 2 shown]
	v_cmp_nlt_f32_e64 s[18:19], s74, v24
	v_cmp_nlt_f32_e64 s[20:21], s74, v19
	;; [unrolled: 1-line block ×4, first 2 shown]
	v_fma_f32 v48, v13, s67, -v22
	v_rndne_f32_e32 v49, v22
	v_fma_f32 v50, v12, s67, -v33
	v_rndne_f32_e32 v51, v33
	;; [unrolled: 2-line block ×4, first 2 shown]
	v_fmac_f32_e32 v38, 0x32a5705f, v23
	v_sub_f32_e32 v23, v25, v39
	v_cvt_i32_f32_e32 v25, v39
	v_fmac_f32_e32 v40, 0x32a5705f, v24
	v_sub_f32_e32 v24, v27, v41
	v_cvt_i32_f32_e32 v27, v41
	;; [unrolled: 3-line block ×4, first 2 shown]
	v_fma_f32 v39, v15, s67, -v46
	v_rndne_f32_e32 v41, v46
	v_fma_f32 v43, v14, s67, -v47
	v_rndne_f32_e32 v45, v47
	v_cmp_ngt_f32_e64 s[2:3], s73, v13
	v_cmp_ngt_f32_e64 s[8:9], s73, v12
	;; [unrolled: 1-line block ×4, first 2 shown]
	v_cmp_nlt_f32_e64 s[24:25], s74, v13
	v_cmp_nlt_f32_e64 s[26:27], s74, v12
	;; [unrolled: 1-line block ×4, first 2 shown]
	v_fma_f32 v56, v21, s67, -v36
	v_rndne_f32_e32 v57, v36
	v_fma_f32 v58, v20, s67, -v37
	v_rndne_f32_e32 v59, v37
	v_cmp_ngt_f32_e64 s[44:45], s73, v15
	v_cmp_ngt_f32_e64 s[46:47], s73, v14
	v_cmp_nlt_f32_e64 s[42:43], s74, v14
	v_cmp_nlt_f32_e64 s[48:49], s74, v15
	v_fmac_f32_e32 v48, 0x32a5705f, v13
	v_sub_f32_e32 v13, v22, v49
	v_fmac_f32_e32 v50, 0x32a5705f, v12
	v_sub_f32_e32 v12, v33, v51
	;; [unrolled: 2-line block ×4, first 2 shown]
	v_add_f32_e32 v23, v23, v38
	v_add_f32_e32 v24, v24, v40
	v_fmac_f32_e32 v39, 0x32a5705f, v15
	v_sub_f32_e32 v15, v46, v41
	v_fmac_f32_e32 v43, 0x32a5705f, v14
	v_sub_f32_e32 v14, v47, v45
	v_cmp_ngt_f32_e64 s[14:15], s73, v21
	v_cmp_ngt_f32_e64 s[16:17], s73, v20
	v_cmp_nlt_f32_e64 s[34:35], s74, v21
	v_cmp_nlt_f32_e64 s[38:39], s74, v20
	v_fmac_f32_e32 v56, 0x32a5705f, v21
	v_sub_f32_e32 v21, v36, v57
	v_fmac_f32_e32 v58, 0x32a5705f, v20
	v_sub_f32_e32 v20, v37, v59
	v_add_f32_e32 v19, v19, v42
	v_add_f32_e32 v18, v18, v44
	;; [unrolled: 1-line block ×6, first 2 shown]
	v_exp_f32_e32 v23, v23
	v_exp_f32_e32 v24, v24
	v_add_f32_e32 v15, v15, v39
	v_add_f32_e32 v14, v14, v43
	v_cvt_i32_f32_e32 v22, v49
	v_cvt_i32_f32_e32 v33, v51
	;; [unrolled: 1-line block ×6, first 2 shown]
	v_add_f32_e32 v21, v21, v56
	v_add_f32_e32 v20, v20, v58
	v_exp_f32_e32 v19, v19
	v_exp_f32_e32 v18, v18
	;; [unrolled: 1-line block ×8, first 2 shown]
	v_cvt_i32_f32_e32 v36, v57
	v_cvt_i32_f32_e32 v37, v59
	v_exp_f32_e32 v21, v21
	v_exp_f32_e32 v20, v20
	v_ldexp_f32 v23, v23, v25
	v_ldexp_f32 v24, v24, v27
	;; [unrolled: 1-line block ×8, first 2 shown]
	v_cndmask_b32_e64 v22, 0, v23, s[36:37]
	v_cndmask_b32_e32 v23, 0, v24, vcc
	v_ldexp_f32 v15, v15, v38
	v_ldexp_f32 v24, v14, v40
	;; [unrolled: 1-line block ×4, first 2 shown]
	v_cndmask_b32_e64 v19, 0, v19, s[0:1]
	v_cndmask_b32_e64 v18, 0, v18, s[50:51]
	;; [unrolled: 1-line block ×22, first 2 shown]
	v_cvt_f16_f32_e32 v25, v12
	v_cvt_f16_f32_e32 v27, v14
	;; [unrolled: 1-line block ×6, first 2 shown]
	v_pk_add_f32 v[18:19], v[18:19], v[20:21]
	v_cvt_f16_f32_e32 v20, v13
	v_cvt_f16_f32_e32 v21, v15
	;; [unrolled: 1-line block ×6, first 2 shown]
	v_pk_add_f32 v[12:13], v[12:13], v[14:15]
	v_pk_fma_f32 v[74:75], v[74:75], v[16:17], v[12:13]
	v_pack_b32_f16 v12, v33, v32
	v_pack_b32_f16 v14, v34, v35
	;; [unrolled: 1-line block ×4, first 2 shown]
	v_pk_fma_f32 v[76:77], v[76:77], v[22:23], v[18:19]
	v_pk_mul_f16 v156, v24, v26 op_sel_hi:[0,1]
	ds_write2_b64 v144, v[12:13], v[14:15] offset1:32
	ds_write_b128 v139, v[4:7]
	ds_write_b128 v140, v[8:11]
	s_waitcnt lgkmcnt(0)
	s_barrier
	ds_read2_b32 v[100:101], v133 offset1:32
	ds_read_b128 v[32:35], v138
	ds_read_b128 v[44:47], v138 offset:16
	ds_read_b128 v[60:63], v138 offset:32
	;; [unrolled: 1-line block ×3, first 2 shown]
	ds_read2_b32 v[110:111], v133 offset0:64 offset1:96
	ds_read2_b32 v[112:113], v133 offset0:128 offset1:160
	;; [unrolled: 1-line block ×3, first 2 shown]
	ds_read2_b32 v[122:123], v145 offset1:32
	ds_read2_b32 v[124:125], v145 offset0:64 offset1:96
	ds_read_b128 v[152:155], v138 offset:64
	ds_read_b128 v[68:71], v138 offset:80
	ds_read2_b32 v[120:121], v145 offset0:128 offset1:160
	ds_read2_b32 v[116:117], v145 offset0:192 offset1:224
	ds_read_b128 v[64:67], v138 offset:96
	ds_read_b128 v[56:59], v138 offset:112
	ds_read2_b32 v[114:115], v146 offset1:32
	ds_read2_b32 v[108:109], v146 offset0:64 offset1:96
	ds_read_b128 v[52:55], v138 offset:128
	ds_read_b128 v[40:43], v138 offset:144
	ds_read2_b32 v[106:107], v146 offset0:128 offset1:160
	ds_read2_b32 v[102:103], v146 offset0:192 offset1:224
	ds_read_b128 v[36:39], v138 offset:160
	ds_read_b128 v[24:27], v138 offset:176
	;; [unrolled: 8-line block ×3, first 2 shown]
	ds_read2_b32 v[92:93], v148 offset1:32
	ds_read2_b32 v[96:97], v148 offset0:64 offset1:96
	ds_read_b128 v[16:19], v138 offset:256
	s_waitcnt lgkmcnt(14)
	v_pk_mul_f16 v157, v100, v32 op_sel:[0,1]
	v_pk_fma_f16 v105, v105, v28, v157 op_sel_hi:[0,1,1]
	v_pk_mul_f16 v28, v100, v32 op_sel_hi:[1,0]
	v_pk_mul_f16 v32, v100, v33 op_sel_hi:[1,0]
	v_pk_fma_f16 v104, v104, v30, v28 op_sel_hi:[0,1,1]
	v_pk_fma_f16 v32, v31, v29, v32 op_sel_hi:[0,1,1]
	v_pk_fma_f16 v33, v100, v33, v156 op_sel:[0,1,0]
	v_pk_fma_f16 v33, v101, v35, v33 op_sel:[0,1,0]
	v_pk_fma_f16 v156, v101, v34, v104 op_sel_hi:[1,0,1]
	v_pk_fma_f16 v34, v101, v34, v105 op_sel:[0,1,0]
	v_pk_fma_f16 v32, v101, v35, v32 op_sel_hi:[1,0,1]
	;; [unrolled: 2-line block ×38, first 2 shown]
	s_waitcnt lgkmcnt(12)
	v_pk_fma_f16 v108, v106, v37, v108 op_sel:[0,1,0]
	v_pk_fma_f16 v156, v106, v36, v156 op_sel_hi:[1,0,1]
	v_pk_fma_f16 v36, v106, v36, v157 op_sel:[0,1,0]
	v_pk_fma_f16 v37, v106, v37, v109 op_sel_hi:[1,0,1]
	v_pk_fma_f16 v157, v107, v39, v108 op_sel:[0,1,0]
	v_pk_fma_f16 v156, v107, v38, v156 op_sel_hi:[1,0,1]
	v_pk_fma_f16 v36, v107, v38, v36 op_sel:[0,1,0]
	v_pk_fma_f16 v37, v107, v39, v37 op_sel_hi:[1,0,1]
	s_waitcnt lgkmcnt(11)
	v_pk_fma_f16 v38, v102, v25, v157 op_sel:[0,1,0]
	v_pk_fma_f16 v39, v102, v24, v156 op_sel_hi:[1,0,1]
	v_pk_fma_f16 v24, v102, v24, v36 op_sel:[0,1,0]
	v_pk_fma_f16 v25, v102, v25, v37 op_sel_hi:[1,0,1]
	v_pk_fma_f16 v102, v103, v27, v38 op_sel:[0,1,0]
	v_pk_fma_f16 v156, v103, v26, v39 op_sel_hi:[1,0,1]
	v_pk_fma_f16 v157, v103, v26, v24 op_sel:[0,1,0]
	v_pk_fma_f16 v103, v103, v27, v25 op_sel_hi:[1,0,1]
	;; [unrolled: 9-line block ×4, first 2 shown]
	s_waitcnt lgkmcnt(4)
	v_pk_fma_f16 v94, v88, v13, v94 op_sel:[0,1,0]
	v_pk_fma_f16 v156, v88, v12, v156 op_sel_hi:[1,0,1]
	v_pk_fma_f16 v12, v88, v12, v157 op_sel:[0,1,0]
	v_pk_fma_f16 v13, v88, v13, v95 op_sel_hi:[1,0,1]
	ds_read_b128 v[28:31], v138 offset:272
	v_pk_fma_f16 v88, v89, v15, v94 op_sel:[0,1,0]
	v_pk_fma_f16 v94, v89, v14, v156 op_sel_hi:[1,0,1]
	v_pk_fma_f16 v12, v89, v14, v12 op_sel:[0,1,0]
	v_pk_fma_f16 v13, v89, v15, v13 op_sel_hi:[1,0,1]
	s_waitcnt lgkmcnt(4)
	v_pk_fma_f16 v14, v90, v5, v88 op_sel:[0,1,0]
	v_pk_fma_f16 v15, v90, v4, v94 op_sel_hi:[1,0,1]
	v_pk_fma_f16 v4, v90, v4, v12 op_sel:[0,1,0]
	v_pk_fma_f16 v5, v90, v5, v13 op_sel_hi:[1,0,1]
	v_pk_fma_f16 v12, v91, v7, v14 op_sel:[0,1,0]
	v_pk_fma_f16 v13, v91, v6, v15 op_sel_hi:[1,0,1]
	v_pk_fma_f16 v4, v91, v6, v4 op_sel:[0,1,0]
	v_pk_fma_f16 v5, v91, v7, v5 op_sel_hi:[1,0,1]
	ds_read2_b32 v[104:105], v148 offset0:128 offset1:160
	ds_read2_b32 v[100:101], v148 offset0:192 offset1:224
	ds_read_b128 v[44:47], v138 offset:288
	ds_read_b128 v[32:35], v138 offset:304
	s_waitcnt lgkmcnt(5)
	v_pk_fma_f16 v6, v92, v17, v12 op_sel:[0,1,0]
	v_pk_fma_f16 v7, v92, v16, v13 op_sel_hi:[1,0,1]
	v_pk_fma_f16 v4, v92, v16, v4 op_sel:[0,1,0]
	v_pk_fma_f16 v5, v92, v17, v5 op_sel_hi:[1,0,1]
	v_pk_fma_f16 v6, v93, v19, v6 op_sel:[0,1,0]
	v_pk_fma_f16 v7, v93, v18, v7 op_sel_hi:[1,0,1]
	v_pk_fma_f16 v4, v93, v18, v4 op_sel:[0,1,0]
	v_pk_fma_f16 v5, v93, v19, v5 op_sel_hi:[1,0,1]
	s_waitcnt lgkmcnt(4)
	v_pk_fma_f16 v6, v96, v29, v6 op_sel:[0,1,0]
	v_pk_fma_f16 v7, v96, v28, v7 op_sel_hi:[1,0,1]
	v_pk_fma_f16 v4, v96, v28, v4 op_sel:[0,1,0]
	v_pk_fma_f16 v5, v96, v29, v5 op_sel_hi:[1,0,1]
	v_pk_fma_f16 v6, v97, v31, v6 op_sel:[0,1,0]
	v_pk_fma_f16 v7, v97, v30, v7 op_sel_hi:[1,0,1]
	v_pk_fma_f16 v4, v97, v30, v4 op_sel:[0,1,0]
	v_pk_fma_f16 v5, v97, v31, v5 op_sel_hi:[1,0,1]
	ds_read2_b32 v[112:113], v149 offset1:32
	ds_read2_b32 v[110:111], v149 offset0:64 offset1:96
	ds_read_b128 v[60:63], v138 offset:320
	ds_read_b128 v[48:51], v138 offset:336
	s_waitcnt lgkmcnt(5)
	v_pk_fma_f16 v6, v104, v45, v6 op_sel:[0,1,0]
	v_pk_fma_f16 v7, v104, v44, v7 op_sel_hi:[1,0,1]
	v_pk_fma_f16 v4, v104, v44, v4 op_sel:[0,1,0]
	v_pk_fma_f16 v5, v104, v45, v5 op_sel_hi:[1,0,1]
	v_pk_fma_f16 v6, v105, v47, v6 op_sel:[0,1,0]
	v_pk_fma_f16 v7, v105, v46, v7 op_sel_hi:[1,0,1]
	v_pk_fma_f16 v4, v105, v46, v4 op_sel:[0,1,0]
	v_pk_fma_f16 v5, v105, v47, v5 op_sel_hi:[1,0,1]
	s_waitcnt lgkmcnt(4)
	v_pk_fma_f16 v6, v100, v33, v6 op_sel:[0,1,0]
	v_pk_fma_f16 v7, v100, v32, v7 op_sel_hi:[1,0,1]
	v_pk_fma_f16 v4, v100, v32, v4 op_sel:[0,1,0]
	v_pk_fma_f16 v5, v100, v33, v5 op_sel_hi:[1,0,1]
	v_pk_fma_f16 v6, v101, v35, v6 op_sel:[0,1,0]
	v_pk_fma_f16 v7, v101, v34, v7 op_sel_hi:[1,0,1]
	v_pk_fma_f16 v4, v101, v34, v4 op_sel:[0,1,0]
	v_pk_fma_f16 v5, v101, v35, v5 op_sel_hi:[1,0,1]
	ds_read2_b32 v[122:123], v149 offset0:128 offset1:160
	ds_read2_b32 v[118:119], v149 offset0:192 offset1:224
	ds_read_b128 v[152:155], v138 offset:352
	ds_read_b128 v[68:71], v138 offset:368
	s_waitcnt lgkmcnt(5)
	v_pk_fma_f16 v6, v112, v61, v6 op_sel:[0,1,0]
	v_pk_fma_f16 v7, v112, v60, v7 op_sel_hi:[1,0,1]
	v_pk_fma_f16 v4, v112, v60, v4 op_sel:[0,1,0]
	v_pk_fma_f16 v5, v112, v61, v5 op_sel_hi:[1,0,1]
	v_pk_fma_f16 v6, v113, v63, v6 op_sel:[0,1,0]
	v_pk_fma_f16 v7, v113, v62, v7 op_sel_hi:[1,0,1]
	v_pk_fma_f16 v4, v113, v62, v4 op_sel:[0,1,0]
	v_pk_fma_f16 v5, v113, v63, v5 op_sel_hi:[1,0,1]
	s_waitcnt lgkmcnt(4)
	v_pk_fma_f16 v6, v110, v49, v6 op_sel:[0,1,0]
	v_pk_fma_f16 v7, v110, v48, v7 op_sel_hi:[1,0,1]
	v_pk_fma_f16 v4, v110, v48, v4 op_sel:[0,1,0]
	v_pk_fma_f16 v5, v110, v49, v5 op_sel_hi:[1,0,1]
	v_pk_fma_f16 v6, v111, v51, v6 op_sel:[0,1,0]
	v_pk_fma_f16 v7, v111, v50, v7 op_sel_hi:[1,0,1]
	v_pk_fma_f16 v4, v111, v50, v4 op_sel:[0,1,0]
	v_pk_fma_f16 v5, v111, v51, v5 op_sel_hi:[1,0,1]
	ds_read2_b32 v[120:121], v150 offset1:32
	ds_read2_b32 v[124:125], v150 offset0:64 offset1:96
	ds_read_b128 v[56:59], v138 offset:384
	ds_read_b128 v[64:67], v138 offset:400
	s_waitcnt lgkmcnt(5)
	v_pk_fma_f16 v6, v122, v153, v6 op_sel:[0,1,0]
	v_pk_fma_f16 v7, v122, v152, v7 op_sel_hi:[1,0,1]
	v_pk_fma_f16 v4, v122, v152, v4 op_sel:[0,1,0]
	v_pk_fma_f16 v5, v122, v153, v5 op_sel_hi:[1,0,1]
	v_pk_fma_f16 v6, v123, v155, v6 op_sel:[0,1,0]
	v_pk_fma_f16 v7, v123, v154, v7 op_sel_hi:[1,0,1]
	v_pk_fma_f16 v4, v123, v154, v4 op_sel:[0,1,0]
	v_pk_fma_f16 v5, v123, v155, v5 op_sel_hi:[1,0,1]
	s_waitcnt lgkmcnt(4)
	v_pk_fma_f16 v6, v118, v69, v6 op_sel:[0,1,0]
	v_pk_fma_f16 v7, v118, v68, v7 op_sel_hi:[1,0,1]
	v_pk_fma_f16 v4, v118, v68, v4 op_sel:[0,1,0]
	v_pk_fma_f16 v5, v118, v69, v5 op_sel_hi:[1,0,1]
	v_pk_fma_f16 v6, v119, v71, v6 op_sel:[0,1,0]
	v_pk_fma_f16 v7, v119, v70, v7 op_sel_hi:[1,0,1]
	v_pk_fma_f16 v4, v119, v70, v4 op_sel:[0,1,0]
	v_pk_fma_f16 v5, v119, v71, v5 op_sel_hi:[1,0,1]
	ds_read2_b32 v[114:115], v150 offset0:128 offset1:160
	ds_read2_b32 v[116:117], v150 offset0:192 offset1:224
	ds_read_b128 v[40:43], v138 offset:416
	ds_read_b128 v[52:55], v138 offset:432
	s_waitcnt lgkmcnt(5)
	v_pk_fma_f16 v6, v120, v57, v6 op_sel:[0,1,0]
	v_pk_fma_f16 v7, v120, v56, v7 op_sel_hi:[1,0,1]
	v_pk_fma_f16 v4, v120, v56, v4 op_sel:[0,1,0]
	v_pk_fma_f16 v5, v120, v57, v5 op_sel_hi:[1,0,1]
	v_pk_fma_f16 v6, v121, v59, v6 op_sel:[0,1,0]
	v_pk_fma_f16 v7, v121, v58, v7 op_sel_hi:[1,0,1]
	v_pk_fma_f16 v4, v121, v58, v4 op_sel:[0,1,0]
	v_pk_fma_f16 v5, v121, v59, v5 op_sel_hi:[1,0,1]
	s_waitcnt lgkmcnt(4)
	v_pk_fma_f16 v6, v124, v65, v6 op_sel:[0,1,0]
	v_pk_fma_f16 v7, v124, v64, v7 op_sel_hi:[1,0,1]
	v_pk_fma_f16 v4, v124, v64, v4 op_sel:[0,1,0]
	v_pk_fma_f16 v5, v124, v65, v5 op_sel_hi:[1,0,1]
	v_pk_fma_f16 v6, v125, v67, v6 op_sel:[0,1,0]
	v_pk_fma_f16 v7, v125, v66, v7 op_sel_hi:[1,0,1]
	v_pk_fma_f16 v4, v125, v66, v4 op_sel:[0,1,0]
	v_pk_fma_f16 v5, v125, v67, v5 op_sel_hi:[1,0,1]
	ds_read2_b32 v[106:107], v151 offset1:32
	ds_read2_b32 v[108:109], v151 offset0:64 offset1:96
	ds_read_b128 v[24:27], v138 offset:448
	ds_read_b128 v[36:39], v138 offset:464
	s_waitcnt lgkmcnt(5)
	v_pk_fma_f16 v6, v114, v41, v6 op_sel:[0,1,0]
	v_pk_fma_f16 v7, v114, v40, v7 op_sel_hi:[1,0,1]
	v_pk_fma_f16 v4, v114, v40, v4 op_sel:[0,1,0]
	v_pk_fma_f16 v5, v114, v41, v5 op_sel_hi:[1,0,1]
	v_pk_fma_f16 v6, v115, v43, v6 op_sel:[0,1,0]
	v_pk_fma_f16 v7, v115, v42, v7 op_sel_hi:[1,0,1]
	v_pk_fma_f16 v4, v115, v42, v4 op_sel:[0,1,0]
	v_pk_fma_f16 v5, v115, v43, v5 op_sel_hi:[1,0,1]
	s_waitcnt lgkmcnt(4)
	v_pk_fma_f16 v6, v116, v53, v6 op_sel:[0,1,0]
	v_pk_fma_f16 v7, v116, v52, v7 op_sel_hi:[1,0,1]
	v_pk_fma_f16 v4, v116, v52, v4 op_sel:[0,1,0]
	v_pk_fma_f16 v5, v116, v53, v5 op_sel_hi:[1,0,1]
	;; [unrolled: 2-line block ×4, first 2 shown]
	ds_read2_b32 v[98:99], v151 offset0:128 offset1:160
	ds_read2_b32 v[102:103], v151 offset0:192 offset1:224
	ds_read_b128 v[8:11], v138 offset:480
	ds_read_b128 v[20:23], v138 offset:496
	s_waitcnt lgkmcnt(0)
	s_barrier
	s_load_dword s0, s[54:55], 0x4
	v_pk_fma_f16 v6, v106, v25, v6 op_sel:[0,1,0]
	v_pk_fma_f16 v7, v106, v24, v7 op_sel_hi:[1,0,1]
	v_pk_fma_f16 v4, v106, v24, v4 op_sel:[0,1,0]
	v_pk_fma_f16 v5, v106, v25, v5 op_sel_hi:[1,0,1]
	;; [unrolled: 2-line block ×10, first 2 shown]
	s_waitcnt lgkmcnt(0)
	s_lshl_b32 s0, s0, 6
	v_pk_fma_f16 v6, v99, v11, v6 op_sel:[0,1,0]
	v_pk_fma_f16 v7, v99, v10, v7 op_sel_hi:[1,0,1]
	v_pk_fma_f16 v4, v99, v10, v4 op_sel:[0,1,0]
	v_pk_fma_f16 v5, v99, v11, v5 op_sel_hi:[1,0,1]
	s_add_i32 s60, s0, s60
	v_pk_fma_f16 v6, v102, v21, v6 op_sel:[0,1,0]
	v_pk_fma_f16 v7, v102, v20, v7 op_sel_hi:[1,0,1]
	v_pk_fma_f16 v4, v102, v20, v4 op_sel:[0,1,0]
	v_pk_fma_f16 v5, v102, v21, v5 op_sel_hi:[1,0,1]
	s_cmp_ge_i32 s60, s64
	v_pk_fma_f16 v26, v103, v23, v6 op_sel:[0,1,0]
	v_pk_fma_f16 v30, v103, v22, v7 op_sel_hi:[1,0,1]
	v_pk_fma_f16 v28, v103, v22, v4 op_sel:[0,1,0]
	v_pk_fma_f16 v29, v103, v23, v5 op_sel_hi:[1,0,1]
	s_cbranch_scc0 .LBB5_9
.LBB5_10:
	v_cmp_lt_i32_e32 vcc, v130, v127
	v_cndmask_b32_e32 v4, v79, v130, vcc
	v_cmp_lt_i32_e32 vcc, v131, v127
	v_lshlrev_b32_e32 v7, 2, v4
	v_cndmask_b32_e32 v4, v79, v131, vcc
	v_cmp_lt_i32_e32 vcc, v132, v127
	v_lshlrev_b32_e32 v10, 2, v4
	v_cndmask_b32_e32 v4, v79, v132, vcc
	v_lshlrev_b32_e32 v14, 2, v4
	ds_bpermute_b32 v4, v7, v76
	ds_bpermute_b32 v5, v7, v77
	;; [unrolled: 1-line block ×4, first 2 shown]
	v_cmp_lt_i32_e32 vcc, v129, v127
	v_cndmask_b32_e32 v15, v79, v129, vcc
	s_waitcnt lgkmcnt(2)
	v_pk_add_f32 v[4:5], v[76:77], v[4:5]
	ds_bpermute_b32 v8, v10, v4
	s_waitcnt lgkmcnt(1)
	v_pk_add_f32 v[6:7], v[74:75], v[6:7]
	ds_bpermute_b32 v9, v10, v5
	ds_bpermute_b32 v12, v10, v6
	;; [unrolled: 1-line block ×3, first 2 shown]
	v_lshlrev_b32_e32 v10, 2, v15
	v_cmp_lt_i32_e32 vcc, v128, v127
	s_waitcnt lgkmcnt(2)
	v_pk_add_f32 v[4:5], v[4:5], v[8:9]
	ds_bpermute_b32 v8, v14, v4
	s_waitcnt lgkmcnt(1)
	v_pk_add_f32 v[6:7], v[6:7], v[12:13]
	ds_bpermute_b32 v9, v14, v5
	ds_bpermute_b32 v12, v14, v6
	;; [unrolled: 1-line block ×3, first 2 shown]
	v_cndmask_b32_e32 v14, v79, v128, vcc
	s_cmp_lg_u64 s[52:53], 0
	s_waitcnt lgkmcnt(2)
	v_pk_add_f32 v[4:5], v[4:5], v[8:9]
	ds_bpermute_b32 v8, v10, v4
	s_waitcnt lgkmcnt(1)
	v_pk_add_f32 v[6:7], v[6:7], v[12:13]
	ds_bpermute_b32 v9, v10, v5
	ds_bpermute_b32 v12, v10, v6
	;; [unrolled: 1-line block ×3, first 2 shown]
	v_lshlrev_b32_e32 v10, 2, v14
	s_cselect_b64 s[0:1], -1, 0
	s_waitcnt lgkmcnt(2)
	v_pk_add_f32 v[4:5], v[4:5], v[8:9]
	ds_bpermute_b32 v8, v10, v4
	s_waitcnt lgkmcnt(1)
	v_pk_add_f32 v[12:13], v[6:7], v[12:13]
	ds_bpermute_b32 v9, v10, v5
	ds_bpermute_b32 v14, v10, v12
	ds_bpermute_b32 v15, v10, v13
	s_cmp_eq_u32 s7, 0
	s_cselect_b64 s[2:3], -1, 0
	s_and_b64 s[0:1], s[2:3], s[0:1]
	v_lshlrev_b32_e32 v11, 1, v72
	s_waitcnt lgkmcnt(2)
	v_pk_add_f32 v[6:7], v[4:5], v[8:9]
	s_waitcnt lgkmcnt(0)
	v_pk_add_f32 v[4:5], v[12:13], v[14:15]
	s_and_b64 vcc, exec, s[0:1]
	s_cbranch_vccz .LBB5_12
; %bb.11:
	v_add_u32_e32 v8, s65, v126
	v_ashrrev_i32_e32 v9, 31, v8
	v_lshlrev_b64 v[8:9], 2, v[8:9]
	v_mov_b32_e32 v10, s53
	v_add_co_u32_e32 v8, vcc, s52, v8
	v_addc_co_u32_e32 v9, vcc, v10, v9, vcc
	global_load_dwordx4 v[12:15], v[8:9], off
	v_max_f32_e32 v8, v1, v1
	v_max_f32_e32 v9, v0, v0
	;; [unrolled: 1-line block ×4, first 2 shown]
	s_mov_b32 s2, 0x3fb8aa3b
	s_mov_b32 s1, 0xc2ce8ed0
	;; [unrolled: 1-line block ×3, first 2 shown]
	v_mov_b32_e32 v10, 0x7f800000
	s_waitcnt vmcnt(0)
	v_max_f32_e32 v16, v13, v13
	v_max_f32_e32 v19, v12, v12
	;; [unrolled: 1-line block ×8, first 2 shown]
	v_pk_add_f32 v[0:1], v[0:1], v[16:17] neg_lo:[0,1] neg_hi:[0,1]
	v_pk_add_f32 v[8:9], v[12:13], v[16:17] neg_lo:[0,1] neg_hi:[0,1]
	;; [unrolled: 1-line block ×3, first 2 shown]
	v_mul_f32_e32 v14, 0x3fb8aa3b, v1
	v_pk_add_f32 v[2:3], v[2:3], v[18:19] neg_lo:[0,1] neg_hi:[0,1]
	v_mul_f32_e32 v15, 0x3fb8aa3b, v0
	v_fma_f32 v24, v1, s2, -v14
	v_rndne_f32_e32 v25, v14
	v_mul_f32_e32 v20, 0x3fb8aa3b, v3
	v_fma_f32 v27, v0, s2, -v15
	v_rndne_f32_e32 v31, v15
	v_fmac_f32_e32 v24, 0x32a5705f, v1
	v_sub_f32_e32 v14, v14, v25
	v_mul_f32_e32 v21, 0x3fb8aa3b, v2
	v_fma_f32 v32, v3, s2, -v20
	v_rndne_f32_e32 v33, v20
	v_fmac_f32_e32 v27, 0x32a5705f, v0
	v_sub_f32_e32 v15, v15, v31
	v_add_f32_e32 v14, v14, v24
	v_fma_f32 v34, v2, s2, -v21
	v_rndne_f32_e32 v35, v21
	v_cvt_i32_f32_e32 v25, v25
	v_fmac_f32_e32 v32, 0x32a5705f, v3
	v_sub_f32_e32 v20, v20, v33
	v_add_f32_e32 v15, v15, v27
	v_exp_f32_e32 v14, v14
	v_cvt_i32_f32_e32 v31, v31
	v_fmac_f32_e32 v34, 0x32a5705f, v2
	v_sub_f32_e32 v21, v21, v35
	v_add_f32_e32 v20, v20, v32
	v_exp_f32_e32 v15, v15
	v_cvt_i32_f32_e32 v33, v33
	v_add_f32_e32 v21, v21, v34
	v_exp_f32_e32 v20, v20
	v_cvt_i32_f32_e32 v35, v35
	v_exp_f32_e32 v21, v21
	v_ldexp_f32 v14, v14, v25
	v_cmp_ngt_f32_e32 vcc, s1, v1
	v_mul_f32_e32 v22, 0x3fb8aa3b, v13
	v_ldexp_f32 v15, v15, v31
	v_cndmask_b32_e32 v14, 0, v14, vcc
	v_cmp_ngt_f32_e32 vcc, s1, v0
	v_fma_f32 v36, v13, s2, -v22
	v_rndne_f32_e32 v37, v22
	v_ldexp_f32 v20, v20, v33
	v_cndmask_b32_e32 v15, 0, v15, vcc
	v_cmp_ngt_f32_e32 vcc, s1, v3
	v_fmac_f32_e32 v36, 0x32a5705f, v13
	v_sub_f32_e32 v22, v22, v37
	v_ldexp_f32 v21, v21, v35
	v_cndmask_b32_e32 v20, 0, v20, vcc
	v_cmp_ngt_f32_e32 vcc, s1, v2
	v_add_f32_e32 v22, v22, v36
	v_cndmask_b32_e32 v21, 0, v21, vcc
	v_cmp_nlt_f32_e32 vcc, s0, v1
	v_cvt_i32_f32_e32 v37, v37
	v_exp_f32_e32 v22, v22
	v_cndmask_b32_e32 v1, v10, v14, vcc
	v_cmp_nlt_f32_e32 vcc, s0, v0
	v_cndmask_b32_e32 v0, v10, v15, vcc
	v_cmp_nlt_f32_e32 vcc, s0, v2
	v_cvt_f16_f32_e32 v15, v1
	v_cndmask_b32_e32 v2, v10, v21, vcc
	v_cvt_f16_f32_e32 v21, v2
	v_cmp_nlt_f32_e32 vcc, s0, v3
	v_mul_f32_e32 v23, 0x3fb8aa3b, v12
	v_ldexp_f32 v22, v22, v37
	v_cvt_f16_f32_e32 v14, v0
	v_cndmask_b32_e32 v3, v10, v20, vcc
	v_cmp_ngt_f32_e32 vcc, s1, v13
	v_fma_f32 v38, v12, s2, -v23
	v_rndne_f32_e32 v39, v23
	v_pk_mul_f16 v28, v15, v28 op_sel_hi:[0,1]
	v_cndmask_b32_e32 v15, 0, v22, vcc
	v_cmp_nlt_f32_e32 vcc, s0, v13
	v_fmac_f32_e32 v38, 0x32a5705f, v12
	v_sub_f32_e32 v23, v23, v39
	v_cndmask_b32_e32 v13, v10, v15, vcc
	v_mul_f32_e32 v15, 0x3fb8aa3b, v9
	v_add_f32_e32 v23, v23, v38
	v_pk_mul_f16 v29, v21, v29 op_sel_hi:[0,1]
	v_fma_f32 v20, v9, s2, -v15
	v_rndne_f32_e32 v21, v15
	v_exp_f32_e32 v23, v23
	v_pk_mul_f16 v30, v30, v14 op_sel_hi:[1,0]
	v_cvt_i32_f32_e32 v14, v39
	v_fmac_f32_e32 v20, 0x32a5705f, v9
	v_sub_f32_e32 v15, v15, v21
	v_add_f32_e32 v15, v15, v20
	v_exp_f32_e32 v15, v15
	v_cvt_i32_f32_e32 v20, v21
	v_ldexp_f32 v14, v23, v14
	v_cmp_ngt_f32_e32 vcc, s1, v12
	v_cndmask_b32_e32 v14, 0, v14, vcc
	v_cmp_nlt_f32_e32 vcc, s0, v12
	v_cndmask_b32_e32 v12, v10, v14, vcc
	v_ldexp_f32 v14, v15, v20
	v_mul_f32_e32 v15, 0x3fb8aa3b, v8
	v_fma_f32 v20, v8, s2, -v15
	v_rndne_f32_e32 v21, v15
	v_fmac_f32_e32 v20, 0x32a5705f, v8
	v_sub_f32_e32 v15, v15, v21
	v_add_f32_e32 v15, v15, v20
	v_exp_f32_e32 v15, v15
	v_cvt_i32_f32_e32 v20, v21
	v_cmp_ngt_f32_e32 vcc, s1, v9
	v_cndmask_b32_e32 v14, 0, v14, vcc
	v_cmp_nlt_f32_e32 vcc, s0, v9
	v_cndmask_b32_e32 v9, v10, v14, vcc
	v_ldexp_f32 v14, v15, v20
	v_cmp_ngt_f32_e32 vcc, s1, v8
	v_cvt_f16_f32_e32 v15, v3
	v_cndmask_b32_e32 v14, 0, v14, vcc
	v_cmp_nlt_f32_e32 vcc, s0, v8
	v_cndmask_b32_e32 v8, v10, v14, vcc
	v_pk_fma_f32 v[4:5], v[4:5], v[2:3], v[12:13]
	v_pk_fma_f32 v[6:7], v[6:7], v[0:1], v[8:9]
	v_pk_mov_b32 v[0:1], v[16:17], v[16:17] op_sel:[0,1]
	v_pk_mul_f16 v26, v26, v15 op_sel_hi:[1,0]
	v_pk_mov_b32 v[2:3], v[18:19], v[18:19] op_sel:[0,1]
.LBB5_12:
	v_cmp_gt_i32_e32 vcc, s62, v73
	s_and_saveexec_b64 s[0:1], vcc
	s_cbranch_execz .LBB5_29
; %bb.13:
	s_load_dword s6, s[4:5], 0xd4
	v_mov_b32_e32 v10, 1.0
	s_waitcnt lgkmcnt(0)
	s_cmp_lg_u32 s6, 1
	s_cselect_b64 s[0:1], -1, 0
	s_cmp_eq_u32 s6, 1
	s_cselect_b64 s[4:5], -1, 0
	s_and_b64 vcc, exec, s[0:1]
	s_cbranch_vccnz .LBB5_15
; %bb.14:
	v_div_scale_f32 v8, s[2:3], v6, v6, 1.0
	v_rcp_f32_e32 v9, v8
	v_div_scale_f32 v10, vcc, 1.0, v6, 1.0
	v_fma_f32 v12, -v8, v9, 1.0
	v_fmac_f32_e32 v9, v12, v9
	v_mul_f32_e32 v12, v10, v9
	v_fma_f32 v13, -v8, v12, v10
	v_fmac_f32_e32 v12, v13, v9
	v_fma_f32 v8, -v8, v12, v10
	v_div_fmas_f32 v8, v8, v9, v12
	v_div_fixup_f32 v10, v8, v6, 1.0
.LBB5_15:
	s_mul_i32 s33, s33, s62
	v_add_u32_e32 v8, s33, v73
	v_mul_lo_u32 v8, v8, s63
	v_add3_u32 v8, s65, v126, v8
	v_mul_lo_u32 v8, s6, v8
	v_add_u32_e32 v8, s7, v8
	v_cvt_f32_f16_sdwa v15, v30 dst_sel:DWORD dst_unused:UNUSED_PAD src0_sel:WORD_1
	v_cvt_f32_f16_e32 v14, v30
	v_lshl_add_u32 v12, v8, 6, v11
	v_mov_b32_e32 v13, 0
	v_cmp_eq_u32_e32 vcc, 0, v72
	v_lshlrev_b64 v[12:13], 2, v[12:13]
	s_and_b64 s[2:3], vcc, s[0:1]
	v_mov_b32_e32 v9, s57
	v_add_co_u32_e32 v12, vcc, s56, v12
	v_addc_co_u32_e32 v13, vcc, v9, v13, vcc
	v_pk_mul_f32 v[14:15], v[10:11], v[14:15] op_sel_hi:[0,1]
	global_store_dwordx2 v[12:13], v[14:15], off
	s_and_saveexec_b64 s[0:1], s[2:3]
	s_cbranch_execz .LBB5_17
; %bb.16:
	v_ashrrev_i32_e32 v9, 31, v8
	v_lshlrev_b64 v[12:13], 3, v[8:9]
	v_mov_b32_e32 v9, s59
	v_add_co_u32_e32 v12, vcc, s58, v12
	v_addc_co_u32_e32 v13, vcc, v9, v13, vcc
	v_mov_b32_e32 v14, v0
	v_mov_b32_e32 v15, v6
	global_store_dwordx2 v[12:13], v[14:15], off
.LBB5_17:
	s_or_b64 exec, exec, s[0:1]
	v_cndmask_b32_e64 v0, 0, 1, s[4:5]
	v_cmp_ne_u32_e64 s[0:1], 1, v0
	s_andn2_b64 vcc, exec, s[4:5]
	v_mov_b32_e32 v0, 1.0
	s_cbranch_vccnz .LBB5_19
; %bb.18:
	v_div_scale_f32 v0, s[4:5], v7, v7, 1.0
	v_rcp_f32_e32 v6, v0
	v_div_scale_f32 v9, vcc, 1.0, v7, 1.0
	v_fma_f32 v10, -v0, v6, 1.0
	v_fmac_f32_e32 v6, v10, v6
	v_mul_f32_e32 v10, v9, v6
	v_fma_f32 v12, -v0, v10, v9
	v_fmac_f32_e32 v10, v12, v6
	v_fma_f32 v0, -v0, v10, v9
	v_div_fmas_f32 v0, v0, v6, v10
	v_div_fixup_f32 v0, v0, v7, 1.0
.LBB5_19:
	v_add_u32_e32 v8, s6, v8
	v_cvt_f32_f16_sdwa v15, v28 dst_sel:DWORD dst_unused:UNUSED_PAD src0_sel:WORD_1
	v_cvt_f32_f16_e32 v14, v28
	v_lshl_add_u32 v12, v8, 6, v11
	v_mov_b32_e32 v13, 0
	v_lshlrev_b64 v[12:13], 2, v[12:13]
	v_mov_b32_e32 v6, s57
	v_add_co_u32_e32 v12, vcc, s56, v12
	v_addc_co_u32_e32 v13, vcc, v6, v13, vcc
	v_pk_mul_f32 v[14:15], v[0:1], v[14:15] op_sel_hi:[0,1]
	global_store_dwordx2 v[12:13], v[14:15], off
	s_and_saveexec_b64 s[4:5], s[2:3]
	s_cbranch_execz .LBB5_21
; %bb.20:
	v_ashrrev_i32_e32 v9, 31, v8
	v_lshlrev_b64 v[12:13], 3, v[8:9]
	v_mov_b32_e32 v0, s59
	v_add_co_u32_e32 v12, vcc, s58, v12
	v_addc_co_u32_e32 v13, vcc, v0, v13, vcc
	v_mov_b32_e32 v6, v1
	global_store_dwordx2 v[12:13], v[6:7], off
.LBB5_21:
	s_or_b64 exec, exec, s[4:5]
	s_and_b64 vcc, exec, s[0:1]
	v_mov_b32_e32 v6, 1.0
	s_cbranch_vccnz .LBB5_23
; %bb.22:
	v_div_scale_f32 v0, s[4:5], v4, v4, 1.0
	v_rcp_f32_e32 v1, v0
	v_div_scale_f32 v6, vcc, 1.0, v4, 1.0
	v_fma_f32 v7, -v0, v1, 1.0
	v_fmac_f32_e32 v1, v7, v1
	v_mul_f32_e32 v7, v6, v1
	v_fma_f32 v9, -v0, v7, v6
	v_fmac_f32_e32 v7, v9, v1
	v_fma_f32 v0, -v0, v7, v6
	v_div_fmas_f32 v0, v0, v1, v7
	v_div_fixup_f32 v6, v0, v4, 1.0
.LBB5_23:
	v_add_u32_e32 v0, s6, v8
	v_cvt_f32_f16_sdwa v13, v29 dst_sel:DWORD dst_unused:UNUSED_PAD src0_sel:WORD_1
	v_cvt_f32_f16_e32 v12, v29
	v_lshl_add_u32 v8, v0, 6, v11
	v_mov_b32_e32 v9, 0
	v_lshlrev_b64 v[8:9], 2, v[8:9]
	v_mov_b32_e32 v1, s57
	v_add_co_u32_e32 v8, vcc, s56, v8
	v_addc_co_u32_e32 v9, vcc, v1, v9, vcc
	v_pk_mul_f32 v[6:7], v[6:7], v[12:13] op_sel_hi:[0,1]
	global_store_dwordx2 v[8:9], v[6:7], off
	s_and_saveexec_b64 s[4:5], s[2:3]
	s_cbranch_execz .LBB5_25
; %bb.24:
	v_ashrrev_i32_e32 v1, 31, v0
	v_lshlrev_b64 v[6:7], 3, v[0:1]
	v_mov_b32_e32 v1, s59
	v_add_co_u32_e32 v6, vcc, s58, v6
	v_addc_co_u32_e32 v7, vcc, v1, v7, vcc
	v_mov_b32_e32 v8, v2
	v_mov_b32_e32 v9, v4
	global_store_dwordx2 v[6:7], v[8:9], off
.LBB5_25:
	s_or_b64 exec, exec, s[4:5]
	s_and_b64 vcc, exec, s[0:1]
	v_mov_b32_e32 v2, 1.0
	s_cbranch_vccnz .LBB5_27
; %bb.26:
	v_div_scale_f32 v1, s[0:1], v5, v5, 1.0
	v_rcp_f32_e32 v2, v1
	v_div_scale_f32 v4, vcc, 1.0, v5, 1.0
	v_fma_f32 v6, -v1, v2, 1.0
	v_fmac_f32_e32 v2, v6, v2
	v_mul_f32_e32 v6, v4, v2
	v_fma_f32 v7, -v1, v6, v4
	v_fmac_f32_e32 v6, v7, v2
	v_fma_f32 v1, -v1, v6, v4
	v_div_fmas_f32 v1, v1, v2, v6
	v_div_fixup_f32 v2, v1, v5, 1.0
.LBB5_27:
	v_add_u32_e32 v0, s6, v0
	v_cvt_f32_f16_sdwa v9, v26 dst_sel:DWORD dst_unused:UNUSED_PAD src0_sel:WORD_1
	v_cvt_f32_f16_e32 v8, v26
	v_lshl_add_u32 v6, v0, 6, v11
	v_mov_b32_e32 v7, 0
	v_lshlrev_b64 v[6:7], 2, v[6:7]
	v_mov_b32_e32 v1, s57
	v_add_co_u32_e32 v6, vcc, s56, v6
	v_addc_co_u32_e32 v7, vcc, v1, v7, vcc
	v_pk_mul_f32 v[8:9], v[2:3], v[8:9] op_sel_hi:[0,1]
	global_store_dwordx2 v[6:7], v[8:9], off
	s_and_b64 exec, exec, s[2:3]
	s_cbranch_execz .LBB5_29
; %bb.28:
	v_ashrrev_i32_e32 v1, 31, v0
	v_lshlrev_b64 v[0:1], 3, v[0:1]
	v_mov_b32_e32 v2, s59
	v_add_co_u32_e32 v0, vcc, s58, v0
	v_addc_co_u32_e32 v1, vcc, v2, v1, vcc
	v_mov_b32_e32 v4, v3
	global_store_dwordx2 v[0:1], v[4:5], off
.LBB5_29:
	s_endpgm
	.section	.rodata,"a",@progbits
	.p2align	6, 0x0
	.amdhsa_kernel _ZL15flash_attn_tileILi64ELi64ELi4ELi8ELb0EEvPKcS1_S1_S1_S1_PKiPfP15HIP_vector_typeIfLj2EEffffjfiS5_IjLj3EEiiiiiiiiiiiliiliiiiil
		.amdhsa_group_segment_fixed_size 17408
		.amdhsa_private_segment_fixed_size 0
		.amdhsa_kernarg_size 464
		.amdhsa_user_sgpr_count 6
		.amdhsa_user_sgpr_private_segment_buffer 1
		.amdhsa_user_sgpr_dispatch_ptr 0
		.amdhsa_user_sgpr_queue_ptr 0
		.amdhsa_user_sgpr_kernarg_segment_ptr 1
		.amdhsa_user_sgpr_dispatch_id 0
		.amdhsa_user_sgpr_flat_scratch_init 0
		.amdhsa_user_sgpr_kernarg_preload_length 0
		.amdhsa_user_sgpr_kernarg_preload_offset 0
		.amdhsa_user_sgpr_private_segment_size 0
		.amdhsa_uses_dynamic_stack 0
		.amdhsa_system_sgpr_private_segment_wavefront_offset 0
		.amdhsa_system_sgpr_workgroup_id_x 1
		.amdhsa_system_sgpr_workgroup_id_y 1
		.amdhsa_system_sgpr_workgroup_id_z 1
		.amdhsa_system_sgpr_workgroup_info 0
		.amdhsa_system_vgpr_workitem_id 1
		.amdhsa_next_free_vgpr 158
		.amdhsa_next_free_sgpr 75
		.amdhsa_accum_offset 160
		.amdhsa_reserve_vcc 1
		.amdhsa_reserve_flat_scratch 0
		.amdhsa_float_round_mode_32 0
		.amdhsa_float_round_mode_16_64 0
		.amdhsa_float_denorm_mode_32 3
		.amdhsa_float_denorm_mode_16_64 3
		.amdhsa_dx10_clamp 1
		.amdhsa_ieee_mode 1
		.amdhsa_fp16_overflow 0
		.amdhsa_tg_split 0
		.amdhsa_exception_fp_ieee_invalid_op 0
		.amdhsa_exception_fp_denorm_src 0
		.amdhsa_exception_fp_ieee_div_zero 0
		.amdhsa_exception_fp_ieee_overflow 0
		.amdhsa_exception_fp_ieee_underflow 0
		.amdhsa_exception_fp_ieee_inexact 0
		.amdhsa_exception_int_div_zero 0
	.end_amdhsa_kernel
	.section	.text._ZL15flash_attn_tileILi64ELi64ELi4ELi8ELb0EEvPKcS1_S1_S1_S1_PKiPfP15HIP_vector_typeIfLj2EEffffjfiS5_IjLj3EEiiiiiiiiiiiliiliiiiil,"axG",@progbits,_ZL15flash_attn_tileILi64ELi64ELi4ELi8ELb0EEvPKcS1_S1_S1_S1_PKiPfP15HIP_vector_typeIfLj2EEffffjfiS5_IjLj3EEiiiiiiiiiiiliiliiiiil,comdat
.Lfunc_end5:
	.size	_ZL15flash_attn_tileILi64ELi64ELi4ELi8ELb0EEvPKcS1_S1_S1_S1_PKiPfP15HIP_vector_typeIfLj2EEffffjfiS5_IjLj3EEiiiiiiiiiiiliiliiiiil, .Lfunc_end5-_ZL15flash_attn_tileILi64ELi64ELi4ELi8ELb0EEvPKcS1_S1_S1_S1_PKiPfP15HIP_vector_typeIfLj2EEffffjfiS5_IjLj3EEiiiiiiiiiiiliiliiiiil
                                        ; -- End function
	.section	.AMDGPU.csdata,"",@progbits
; Kernel info:
; codeLenInByte = 11280
; NumSgprs: 79
; NumVgprs: 158
; NumAgprs: 0
; TotalNumVgprs: 158
; ScratchSize: 0
; MemoryBound: 0
; FloatMode: 240
; IeeeMode: 1
; LDSByteSize: 17408 bytes/workgroup (compile time only)
; SGPRBlocks: 9
; VGPRBlocks: 19
; NumSGPRsForWavesPerEU: 79
; NumVGPRsForWavesPerEU: 158
; AccumOffset: 160
; Occupancy: 3
; WaveLimiterHint : 1
; COMPUTE_PGM_RSRC2:SCRATCH_EN: 0
; COMPUTE_PGM_RSRC2:USER_SGPR: 6
; COMPUTE_PGM_RSRC2:TRAP_HANDLER: 0
; COMPUTE_PGM_RSRC2:TGID_X_EN: 1
; COMPUTE_PGM_RSRC2:TGID_Y_EN: 1
; COMPUTE_PGM_RSRC2:TGID_Z_EN: 1
; COMPUTE_PGM_RSRC2:TIDIG_COMP_CNT: 1
; COMPUTE_PGM_RSRC3_GFX90A:ACCUM_OFFSET: 39
; COMPUTE_PGM_RSRC3_GFX90A:TG_SPLIT: 0
	.section	.text._ZL25flash_attn_mask_to_KV_maxILi4EEvPK7__half2Piiii,"axG",@progbits,_ZL25flash_attn_mask_to_KV_maxILi4EEvPK7__half2Piiii,comdat
	.globl	_ZL25flash_attn_mask_to_KV_maxILi4EEvPK7__half2Piiii ; -- Begin function _ZL25flash_attn_mask_to_KV_maxILi4EEvPK7__half2Piiii
	.p2align	8
	.type	_ZL25flash_attn_mask_to_KV_maxILi4EEvPK7__half2Piiii,@function
_ZL25flash_attn_mask_to_KV_maxILi4EEvPK7__half2Piiii: ; @_ZL25flash_attn_mask_to_KV_maxILi4EEvPK7__half2Piiii
; %bb.0:
	s_load_dwordx4 s[8:11], s[4:5], 0x0
	v_cmp_gt_u32_e32 vcc, 32, v0
	s_and_saveexec_b64 s[0:1], vcc
	s_cbranch_execz .LBB6_2
; %bb.1:
	v_lshlrev_b32_e32 v1, 2, v0
	v_mov_b32_e32 v2, 1
	ds_write_b32 v1, v2
.LBB6_2:
	s_or_b64 exec, exec, s[0:1]
	s_load_dwordx4 s[12:15], s[4:5], 0x10
	s_load_dword s24, s[4:5], 0x20
	v_and_b32_e32 v2, 31, v0
	v_lshlrev_b32_e32 v6, 2, v2
	v_lshrrev_b32_e32 v1, 3, v0
	s_waitcnt lgkmcnt(0)
	s_mul_i32 s1, s6, s13
	s_mul_i32 s0, s7, s14
	s_lshl_b32 s1, s1, 2
	s_add_i32 s0, s0, s1
	s_ashr_i32 s1, s0, 31
	s_lshl_b64 s[0:1], s[0:1], 2
	s_add_u32 s25, s8, s0
	s_addc_u32 s26, s9, s1
	v_cmp_eq_u32_e64 s[0:1], 0, v2
	v_mbcnt_lo_u32_b32 v2, -1, 0
	v_mbcnt_hi_u32_b32 v7, -1, v2
	v_and_b32_e32 v2, 0x60, v7
	s_lshl_b32 s12, s12, 8
	s_mov_b64 s[4:5], 0
	v_mov_b32_e32 v3, 0
	s_movk_i32 s27, 0x204
	s_movk_i32 s28, 0x7fff
	;; [unrolled: 1-line block ×3, first 2 shown]
	v_add_u32_e32 v8, 32, v2
	v_xor_b32_e32 v9, 16, v7
	v_xor_b32_e32 v10, 8, v7
	;; [unrolled: 1-line block ×5, first 2 shown]
	s_barrier
	s_waitcnt lgkmcnt(0)
                                        ; implicit-def: $sgpr2_sgpr3
	s_branch .LBB6_5
.LBB6_3:                                ;   in Loop: Header=BB6_5 Depth=1
	s_or_b64 exec, exec, s[8:9]
	s_waitcnt lgkmcnt(0)
	s_barrier
	ds_read_b32 v16, v6
	s_waitcnt lgkmcnt(0)
	s_barrier
	ds_bpermute_b32 v2, v2, v16
	v_cmp_ne_u32_e32 vcc, 0, v16
	s_waitcnt lgkmcnt(0)
	v_cmp_ne_u32_e64 s[2:3], 0, v2
	s_and_b64 s[2:3], vcc, s[2:3]
	v_cndmask_b32_e64 v2, 0, 1, s[2:3]
	ds_bpermute_b32 v2, v4, v2
	s_waitcnt lgkmcnt(0)
	v_cmp_ne_u32_e32 vcc, 0, v2
	s_and_b64 s[2:3], vcc, s[2:3]
	v_cndmask_b32_e64 v2, 0, 1, s[2:3]
	ds_bpermute_b32 v2, v5, v2
	s_waitcnt lgkmcnt(0)
	v_cmp_ne_u32_e32 vcc, 0, v2
	;; [unrolled: 5-line block ×3, first 2 shown]
	s_and_b64 s[2:3], vcc, s[2:3]
	v_cndmask_b32_e64 v2, 0, 1, s[2:3]
	ds_bpermute_b32 v2, v15, v2
	s_xor_b64 s[2:3], s[2:3], -1
	s_waitcnt lgkmcnt(0)
	v_cmp_eq_u32_e32 vcc, 0, v2
	s_or_b64 s[2:3], vcc, s[2:3]
.LBB6_4:                                ;   in Loop: Header=BB6_5 Depth=1
	s_and_b64 s[8:9], exec, s[2:3]
	s_or_b64 s[4:5], s[8:9], s[4:5]
	v_mov_b32_e32 v2, s12
	s_mov_b32 s12, s30
	s_andn2_b64 exec, exec, s[4:5]
	s_cbranch_execz .LBB6_20
.LBB6_5:                                ; =>This Inner Loop Header: Depth=1
	s_add_i32 s30, s12, 0xffffff00
	s_or_b64 s[2:3], s[2:3], exec
	s_cmp_lt_i32 s30, 0
	s_cbranch_scc1 .LBB6_4
; %bb.6:                                ;   in Loop: Header=BB6_5 Depth=1
	s_lshr_b32 s2, s30, 1
	v_add_u32_e32 v2, s2, v0
	v_lshlrev_b64 v[4:5], 2, v[2:3]
	v_mov_b32_e32 v14, s26
	v_add_co_u32_e32 v4, vcc, s25, v4
	v_addc_co_u32_e32 v5, vcc, v14, v5, vcc
	global_load_dword v4, v[4:5], off
	s_mov_b64 s[8:9], 0
	s_waitcnt vmcnt(0)
	v_cmp_class_f16_e64 s[2:3], v4, s27
	v_and_b32_sdwa v4, s28, v4 dst_sel:DWORD dst_unused:UNUSED_PAD src0_sel:DWORD src1_sel:WORD_1
	v_cmp_eq_f16_e32 vcc, s29, v4
	s_and_b64 s[14:15], s[2:3], vcc
	s_and_saveexec_b64 s[2:3], s[14:15]
	s_cbranch_execz .LBB6_18
; %bb.7:                                ;   in Loop: Header=BB6_5 Depth=1
	v_add_u32_e32 v4, s13, v2
	v_ashrrev_i32_e32 v5, 31, v4
	v_lshlrev_b64 v[14:15], 2, v[4:5]
	v_mov_b32_e32 v2, s26
	v_add_co_u32_e32 v14, vcc, s25, v14
	v_addc_co_u32_e32 v15, vcc, v2, v15, vcc
	global_load_dword v2, v[14:15], off
	s_mov_b64 s[14:15], 0
	s_waitcnt vmcnt(0)
	v_cmp_class_f16_e64 s[16:17], v2, s27
	s_and_saveexec_b64 s[8:9], s[16:17]
	s_cbranch_execz .LBB6_17
; %bb.8:                                ;   in Loop: Header=BB6_5 Depth=1
	v_cmp_class_f16_sdwa s[18:19], v2, s27 src0_sel:WORD_1 src1_sel:DWORD
	s_mov_b64 s[16:17], 0
	s_and_saveexec_b64 s[14:15], s[18:19]
	s_cbranch_execz .LBB6_16
; %bb.9:                                ;   in Loop: Header=BB6_5 Depth=1
	v_add_u32_e32 v4, s13, v4
	v_ashrrev_i32_e32 v5, 31, v4
	v_lshlrev_b64 v[14:15], 2, v[4:5]
	v_mov_b32_e32 v2, s26
	v_add_co_u32_e32 v14, vcc, s25, v14
	v_addc_co_u32_e32 v15, vcc, v2, v15, vcc
	global_load_dword v2, v[14:15], off
	s_mov_b64 s[18:19], 0
	s_waitcnt vmcnt(0)
	v_cmp_class_f16_e64 s[20:21], v2, s27
	s_and_saveexec_b64 s[16:17], s[20:21]
	s_cbranch_execz .LBB6_15
; %bb.10:                               ;   in Loop: Header=BB6_5 Depth=1
	v_cmp_class_f16_sdwa s[22:23], v2, s27 src0_sel:WORD_1 src1_sel:DWORD
	s_mov_b64 s[20:21], 0
	s_and_saveexec_b64 s[18:19], s[22:23]
	s_cbranch_execz .LBB6_14
; %bb.11:                               ;   in Loop: Header=BB6_5 Depth=1
	v_add_u32_e32 v4, s13, v4
	v_ashrrev_i32_e32 v5, 31, v4
	v_lshlrev_b64 v[4:5], 2, v[4:5]
	v_mov_b32_e32 v2, s26
	v_add_co_u32_e32 v4, vcc, s25, v4
	v_addc_co_u32_e32 v5, vcc, v2, v5, vcc
	global_load_dword v2, v[4:5], off
	s_waitcnt vmcnt(0)
	v_cmp_class_f16_e64 s[34:35], v2, s27
	s_and_saveexec_b64 s[22:23], s[34:35]
; %bb.12:                               ;   in Loop: Header=BB6_5 Depth=1
	v_cmp_class_f16_sdwa s[20:21], v2, s27 src0_sel:WORD_1 src1_sel:DWORD
	s_and_b64 s[20:21], s[20:21], exec
; %bb.13:                               ;   in Loop: Header=BB6_5 Depth=1
	s_or_b64 exec, exec, s[22:23]
	s_and_b64 s[20:21], s[20:21], exec
.LBB6_14:                               ;   in Loop: Header=BB6_5 Depth=1
	s_or_b64 exec, exec, s[18:19]
	s_and_b64 s[18:19], s[20:21], exec
.LBB6_15:                               ;   in Loop: Header=BB6_5 Depth=1
	s_or_b64 exec, exec, s[16:17]
	s_and_b64 s[16:17], s[18:19], exec
.LBB6_16:                               ;   in Loop: Header=BB6_5 Depth=1
	s_or_b64 exec, exec, s[14:15]
	s_and_b64 s[14:15], s[16:17], exec
.LBB6_17:                               ;   in Loop: Header=BB6_5 Depth=1
	s_or_b64 exec, exec, s[8:9]
	s_and_b64 s[8:9], s[14:15], exec
.LBB6_18:                               ;   in Loop: Header=BB6_5 Depth=1
	s_or_b64 exec, exec, s[2:3]
	v_cmp_lt_i32_e32 vcc, v9, v8
	v_cndmask_b32_e32 v2, v7, v9, vcc
	v_cndmask_b32_e64 v4, 0, 1, s[8:9]
	v_lshlrev_b32_e32 v2, 2, v2
	ds_bpermute_b32 v4, v2, v4
	s_waitcnt lgkmcnt(0)
	v_cmp_ne_u32_e32 vcc, 0, v4
	s_and_b64 s[2:3], s[8:9], vcc
	v_cmp_lt_i32_e32 vcc, v10, v8
	v_cndmask_b32_e32 v4, v7, v10, vcc
	v_cndmask_b32_e64 v5, 0, 1, s[2:3]
	v_lshlrev_b32_e32 v4, 2, v4
	ds_bpermute_b32 v5, v4, v5
	s_waitcnt lgkmcnt(0)
	v_cmp_ne_u32_e32 vcc, 0, v5
	s_and_b64 s[2:3], vcc, s[2:3]
	v_cmp_lt_i32_e32 vcc, v11, v8
	v_cndmask_b32_e32 v5, v7, v11, vcc
	v_cndmask_b32_e64 v14, 0, 1, s[2:3]
	v_lshlrev_b32_e32 v5, 2, v5
	ds_bpermute_b32 v14, v5, v14
	s_waitcnt lgkmcnt(0)
	v_cmp_ne_u32_e32 vcc, 0, v14
	s_and_b64 s[2:3], vcc, s[2:3]
	;; [unrolled: 8-line block ×3, first 2 shown]
	v_cmp_lt_i32_e32 vcc, v13, v8
	v_cndmask_b32_e32 v15, v7, v13, vcc
	v_cndmask_b32_e64 v16, 0, 1, s[2:3]
	v_lshlrev_b32_e32 v15, 2, v15
	ds_bpermute_b32 v16, v15, v16
	s_and_saveexec_b64 s[8:9], s[0:1]
	s_cbranch_execz .LBB6_3
; %bb.19:                               ;   in Loop: Header=BB6_5 Depth=1
	s_waitcnt lgkmcnt(0)
	v_cmp_ne_u32_e32 vcc, 0, v16
	s_and_b64 s[2:3], vcc, s[2:3]
	v_cndmask_b32_e64 v16, 0, 1, s[2:3]
	ds_write_b32 v1, v16
	s_branch .LBB6_3
.LBB6_20:
	s_or_b64 exec, exec, s[4:5]
	v_cmp_eq_u32_e32 vcc, 0, v0
	s_and_saveexec_b64 s[0:1], vcc
	s_cbranch_execz .LBB6_22
; %bb.21:
	s_mul_i32 s0, s24, s7
	s_add_i32 s0, s0, s6
	s_ashr_i32 s1, s0, 31
	s_lshl_b64 s[0:1], s[0:1], 2
	s_add_u32 s0, s10, s0
	s_addc_u32 s1, s11, s1
	v_mov_b32_e32 v0, 0
	global_store_dword v0, v2, s[0:1]
.LBB6_22:
	s_endpgm
	.section	.rodata,"a",@progbits
	.p2align	6, 0x0
	.amdhsa_kernel _ZL25flash_attn_mask_to_KV_maxILi4EEvPK7__half2Piiii
		.amdhsa_group_segment_fixed_size 128
		.amdhsa_private_segment_fixed_size 0
		.amdhsa_kernarg_size 288
		.amdhsa_user_sgpr_count 6
		.amdhsa_user_sgpr_private_segment_buffer 1
		.amdhsa_user_sgpr_dispatch_ptr 0
		.amdhsa_user_sgpr_queue_ptr 0
		.amdhsa_user_sgpr_kernarg_segment_ptr 1
		.amdhsa_user_sgpr_dispatch_id 0
		.amdhsa_user_sgpr_flat_scratch_init 0
		.amdhsa_user_sgpr_kernarg_preload_length 0
		.amdhsa_user_sgpr_kernarg_preload_offset 0
		.amdhsa_user_sgpr_private_segment_size 0
		.amdhsa_uses_dynamic_stack 0
		.amdhsa_system_sgpr_private_segment_wavefront_offset 0
		.amdhsa_system_sgpr_workgroup_id_x 1
		.amdhsa_system_sgpr_workgroup_id_y 1
		.amdhsa_system_sgpr_workgroup_id_z 0
		.amdhsa_system_sgpr_workgroup_info 0
		.amdhsa_system_vgpr_workitem_id 0
		.amdhsa_next_free_vgpr 17
		.amdhsa_next_free_sgpr 36
		.amdhsa_accum_offset 20
		.amdhsa_reserve_vcc 1
		.amdhsa_reserve_flat_scratch 0
		.amdhsa_float_round_mode_32 0
		.amdhsa_float_round_mode_16_64 0
		.amdhsa_float_denorm_mode_32 3
		.amdhsa_float_denorm_mode_16_64 3
		.amdhsa_dx10_clamp 1
		.amdhsa_ieee_mode 1
		.amdhsa_fp16_overflow 0
		.amdhsa_tg_split 0
		.amdhsa_exception_fp_ieee_invalid_op 0
		.amdhsa_exception_fp_denorm_src 0
		.amdhsa_exception_fp_ieee_div_zero 0
		.amdhsa_exception_fp_ieee_overflow 0
		.amdhsa_exception_fp_ieee_underflow 0
		.amdhsa_exception_fp_ieee_inexact 0
		.amdhsa_exception_int_div_zero 0
	.end_amdhsa_kernel
	.section	.text._ZL25flash_attn_mask_to_KV_maxILi4EEvPK7__half2Piiii,"axG",@progbits,_ZL25flash_attn_mask_to_KV_maxILi4EEvPK7__half2Piiii,comdat
.Lfunc_end6:
	.size	_ZL25flash_attn_mask_to_KV_maxILi4EEvPK7__half2Piiii, .Lfunc_end6-_ZL25flash_attn_mask_to_KV_maxILi4EEvPK7__half2Piiii
                                        ; -- End function
	.section	.AMDGPU.csdata,"",@progbits
; Kernel info:
; codeLenInByte = 1040
; NumSgprs: 40
; NumVgprs: 17
; NumAgprs: 0
; TotalNumVgprs: 17
; ScratchSize: 0
; MemoryBound: 0
; FloatMode: 240
; IeeeMode: 1
; LDSByteSize: 128 bytes/workgroup (compile time only)
; SGPRBlocks: 4
; VGPRBlocks: 2
; NumSGPRsForWavesPerEU: 40
; NumVGPRsForWavesPerEU: 17
; AccumOffset: 20
; Occupancy: 8
; WaveLimiterHint : 0
; COMPUTE_PGM_RSRC2:SCRATCH_EN: 0
; COMPUTE_PGM_RSRC2:USER_SGPR: 6
; COMPUTE_PGM_RSRC2:TRAP_HANDLER: 0
; COMPUTE_PGM_RSRC2:TGID_X_EN: 1
; COMPUTE_PGM_RSRC2:TGID_Y_EN: 1
; COMPUTE_PGM_RSRC2:TGID_Z_EN: 0
; COMPUTE_PGM_RSRC2:TIDIG_COMP_CNT: 0
; COMPUTE_PGM_RSRC3_GFX90A:ACCUM_OFFSET: 4
; COMPUTE_PGM_RSRC3_GFX90A:TG_SPLIT: 0
	.section	.text._ZL33flash_attn_stream_k_fixup_uniformILi64ELi4ELi8EEvPfPK15HIP_vector_typeIfLj2EEiiiiiiS1_IjLj3EES5_S5_,"axG",@progbits,_ZL33flash_attn_stream_k_fixup_uniformILi64ELi4ELi8EEvPfPK15HIP_vector_typeIfLj2EEiiiiiiS1_IjLj3EES5_S5_,comdat
	.globl	_ZL33flash_attn_stream_k_fixup_uniformILi64ELi4ELi8EEvPfPK15HIP_vector_typeIfLj2EEiiiiiiS1_IjLj3EES5_S5_ ; -- Begin function _ZL33flash_attn_stream_k_fixup_uniformILi64ELi4ELi8EEvPfPK15HIP_vector_typeIfLj2EEiiiiiiS1_IjLj3EES5_S5_
	.p2align	8
	.type	_ZL33flash_attn_stream_k_fixup_uniformILi64ELi4ELi8EEvPfPK15HIP_vector_typeIfLj2EEiiiiiiS1_IjLj3EES5_S5_,@function
_ZL33flash_attn_stream_k_fixup_uniformILi64ELi4ELi8EEvPfPK15HIP_vector_typeIfLj2EEiiiiiiS1_IjLj3EES5_S5_: ; @_ZL33flash_attn_stream_k_fixup_uniformILi64ELi4ELi8EEvPfPK15HIP_vector_typeIfLj2EEiiiiiiS1_IjLj3EES5_S5_
; %bb.0:
	s_load_dwordx8 s[12:19], s[4:5], 0x1c
	s_load_dwordx2 s[10:11], s[4:5], 0x10
	s_load_dwordx4 s[0:3], s[4:5], 0x3c
	s_waitcnt lgkmcnt(0)
	s_mul_hi_u32 s9, s15, s6
	s_add_i32 s9, s6, s9
	s_lshr_b32 s9, s9, s16
	s_mul_i32 s15, s9, s17
	s_sub_i32 s15, s6, s15
	s_mul_hi_u32 s16, s15, s18
	s_add_i32 s16, s15, s16
	s_lshr_b32 s16, s16, s19
	s_mul_i32 s0, s16, s0
	s_sub_i32 s0, s15, s0
	;; [unrolled: 5-line block ×3, first 2 shown]
	s_lshl_b32 s0, s17, 2
	s_lshl_b32 s15, s1, 3
	s_add_i32 s0, s0, s7
	s_cmp_lt_i32 s0, s10
	s_cselect_b64 s[0:1], -1, 0
	s_add_i32 s2, s15, s8
	s_cmp_lt_i32 s2, s13
	s_cselect_b64 s[2:3], -1, 0
	s_and_b64 s[0:1], s[0:1], s[2:3]
	s_andn2_b64 vcc, exec, s[0:1]
	s_cbranch_vccnz .LBB7_6
; %bb.1:
	s_load_dwordx4 s[0:3], s[4:5], 0x0
	s_mul_i32 s4, s9, s10
	s_add_i32 s4, s4, s7
	s_mul_i32 s4, s4, s11
	s_mul_i32 s16, s16, s13
	s_add_i32 s4, s4, s8
	s_add_i32 s4, s4, s16
	s_mul_i32 s5, s11, s17
	s_add_i32 s4, s4, s15
	s_lshl_b32 s5, s5, 8
	s_lshl_b32 s4, s4, 6
	s_add_i32 s5, s5, s4
	v_or_b32_e32 v2, s5, v0
	v_ashrrev_i32_e32 v3, 31, v2
	v_lshlrev_b64 v[2:3], 2, v[2:3]
	s_waitcnt lgkmcnt(0)
	v_mov_b32_e32 v1, s1
	v_add_co_u32_e32 v2, vcc, s0, v2
	v_addc_co_u32_e32 v3, vcc, v1, v3, vcc
	global_load_dword v8, v[2:3], off
	s_mul_i32 s9, s6, s14
	s_lshl_b32 s4, s7, 3
	s_add_i32 s11, s9, s14
	s_add_i32 s0, s4, s8
	s_lshl_b32 s1, s11, 5
	s_add_i32 s0, s0, s1
	s_sub_i32 s0, s0, 32
	s_ashr_i32 s1, s0, 31
	s_lshl_b64 s[0:1], s[0:1], 3
	s_add_u32 s0, s2, s0
	s_addc_u32 s1, s3, s1
	s_load_dword s5, s[0:1], 0x4
	s_add_i32 s10, s11, -2
	s_cmp_lt_i32 s10, s9
	s_cbranch_scc1 .LBB7_4
; %bb.2:
	s_lshl_b32 s16, s12, 7
	s_ashr_i32 s17, s16, 31
	s_lshl_b64 s[16:17], s[16:17], 2
	s_add_u32 s10, s2, s16
	s_addc_u32 s13, s3, s17
	s_add_i32 s6, s6, 1
	s_load_dword s0, s[0:1], 0x0
	s_mul_i32 s1, s14, s6
	s_lshl_b32 s7, s7, 9
	s_lshl_b32 s14, s8, 6
	;; [unrolled: 1-line block ×3, first 2 shown]
	s_add_i32 s7, s14, s7
	s_lshl_b32 s1, s1, 5
	s_add_i32 s7, s7, s6
	s_add_i32 s1, s8, s1
	s_lshl_b32 s6, s12, 5
	s_add_i32 s1, s1, s6
	v_or_b32_e32 v0, s7, v0
	s_add_i32 s1, s1, s4
	s_add_i32 s11, s11, -1
	v_add_u32_e32 v0, 0xfffff000, v0
	s_sub_i32 s4, s1, 64
	s_waitcnt lgkmcnt(0)
	v_mov_b32_e32 v7, s5
	v_mov_b32_e32 v6, s0
	;; [unrolled: 1-line block ×3, first 2 shown]
	s_mov_b32 s6, 0x3fb8aa3b
	s_mov_b32 s7, 0xc2ce8ed0
	s_mov_b32 s8, 0x42b17218
	v_mov_b32_e32 v5, 0x7f800000
	s_mov_b32 s12, 0xc1a00000
.LBB7_3:                                ; =>This Inner Loop Header: Depth=1
	v_ashrrev_i32_e32 v1, 31, v0
	v_lshlrev_b64 v[10:11], 2, v[0:1]
	v_add_co_u32_e32 v10, vcc, s10, v10
	v_addc_co_u32_e32 v11, vcc, v4, v11, vcc
	global_load_dword v1, v[10:11], off
	s_ashr_i32 s5, s4, 31
	s_lshl_b64 s[0:1], s[4:5], 3
	s_add_u32 s0, s2, s0
	s_addc_u32 s1, s3, s1
	s_load_dwordx2 s[14:15], s[0:1], 0x0
	s_waitcnt vmcnt(1)
	v_mov_b32_e32 v9, v8
	v_max_f32_e32 v8, v6, v6
	v_mov_b32_e32 v10, v7
	s_add_i32 s11, s11, -1
	s_waitcnt lgkmcnt(0)
	v_max_f32_e64 v7, s14, s14
	v_max_f32_e32 v7, v8, v7
	v_sub_f32_e32 v11, s14, v7
	v_sub_f32_e32 v8, v6, v7
	v_mul_f32_e32 v12, 0x3fb8aa3b, v11
	v_mov_b32_e32 v6, v7
	v_mul_f32_e32 v7, 0x3fb8aa3b, v8
	v_fma_f32 v15, v11, s6, -v12
	v_rndne_f32_e32 v16, v12
	v_fma_f32 v13, v8, s6, -v7
	v_rndne_f32_e32 v14, v7
	v_fmac_f32_e32 v15, 0x32a5705f, v11
	v_sub_f32_e32 v12, v12, v16
	v_fmac_f32_e32 v13, 0x32a5705f, v8
	v_sub_f32_e32 v7, v7, v14
	v_add_f32_e32 v12, v12, v15
	v_cvt_i32_f32_e32 v16, v16
	v_add_f32_e32 v7, v7, v13
	v_exp_f32_e32 v12, v12
	v_cvt_i32_f32_e32 v14, v14
	v_exp_f32_e32 v7, v7
	v_cmp_ngt_f32_e32 vcc, s7, v11
	v_ldexp_f32 v12, v12, v16
	v_cmp_ngt_f32_e64 s[0:1], s7, v8
	v_ldexp_f32 v7, v7, v14
	v_cndmask_b32_e32 v12, 0, v12, vcc
	v_cmp_nlt_f32_e32 vcc, s8, v11
	v_cndmask_b32_e64 v7, 0, v7, s[0:1]
	v_cmp_nlt_f32_e64 s[0:1], s8, v8
	v_cndmask_b32_e32 v12, v5, v12, vcc
	v_cmp_le_f32_e32 vcc, s12, v11
	v_cndmask_b32_e64 v7, v5, v7, s[0:1]
	v_cmp_le_f32_e64 s[0:1], s12, v8
	v_cndmask_b32_e32 v8, 0, v12, vcc
	s_sub_i32 s4, s4, 32
	v_cndmask_b32_e64 v11, 0, v7, s[0:1]
	v_mul_f32_e32 v7, s15, v8
	v_add_u32_e32 v0, 0xfffff800, v0
	s_cmp_le_i32 s11, s9
	v_fmac_f32_e32 v7, v10, v11
	s_waitcnt vmcnt(0)
	v_mul_f32_e32 v8, v1, v8
	v_fmac_f32_e32 v8, v9, v11
	s_cbranch_scc0 .LBB7_3
	s_branch .LBB7_5
.LBB7_4:
	s_waitcnt lgkmcnt(0)
	v_mov_b32_e32 v7, s5
.LBB7_5:
	s_waitcnt vmcnt(0)
	v_div_scale_f32 v0, s[0:1], v7, v7, v8
	v_rcp_f32_e32 v1, v0
	v_div_scale_f32 v4, vcc, v8, v7, v8
	v_fma_f32 v5, -v0, v1, 1.0
	v_fmac_f32_e32 v1, v5, v1
	v_mul_f32_e32 v5, v4, v1
	v_fma_f32 v6, -v0, v5, v4
	v_fmac_f32_e32 v5, v6, v1
	v_fma_f32 v0, -v0, v5, v4
	v_div_fmas_f32 v0, v0, v1, v5
	v_div_fixup_f32 v0, v0, v7, v8
	global_store_dword v[2:3], v0, off
.LBB7_6:
	s_endpgm
	.section	.rodata,"a",@progbits
	.p2align	6, 0x0
	.amdhsa_kernel _ZL33flash_attn_stream_k_fixup_uniformILi64ELi4ELi8EEvPfPK15HIP_vector_typeIfLj2EEiiiiiiS1_IjLj3EES5_S5_
		.amdhsa_group_segment_fixed_size 0
		.amdhsa_private_segment_fixed_size 0
		.amdhsa_kernarg_size 76
		.amdhsa_user_sgpr_count 6
		.amdhsa_user_sgpr_private_segment_buffer 1
		.amdhsa_user_sgpr_dispatch_ptr 0
		.amdhsa_user_sgpr_queue_ptr 0
		.amdhsa_user_sgpr_kernarg_segment_ptr 1
		.amdhsa_user_sgpr_dispatch_id 0
		.amdhsa_user_sgpr_flat_scratch_init 0
		.amdhsa_user_sgpr_kernarg_preload_length 0
		.amdhsa_user_sgpr_kernarg_preload_offset 0
		.amdhsa_user_sgpr_private_segment_size 0
		.amdhsa_uses_dynamic_stack 0
		.amdhsa_system_sgpr_private_segment_wavefront_offset 0
		.amdhsa_system_sgpr_workgroup_id_x 1
		.amdhsa_system_sgpr_workgroup_id_y 1
		.amdhsa_system_sgpr_workgroup_id_z 1
		.amdhsa_system_sgpr_workgroup_info 0
		.amdhsa_system_vgpr_workitem_id 0
		.amdhsa_next_free_vgpr 17
		.amdhsa_next_free_sgpr 20
		.amdhsa_accum_offset 20
		.amdhsa_reserve_vcc 1
		.amdhsa_reserve_flat_scratch 0
		.amdhsa_float_round_mode_32 0
		.amdhsa_float_round_mode_16_64 0
		.amdhsa_float_denorm_mode_32 3
		.amdhsa_float_denorm_mode_16_64 3
		.amdhsa_dx10_clamp 1
		.amdhsa_ieee_mode 1
		.amdhsa_fp16_overflow 0
		.amdhsa_tg_split 0
		.amdhsa_exception_fp_ieee_invalid_op 0
		.amdhsa_exception_fp_denorm_src 0
		.amdhsa_exception_fp_ieee_div_zero 0
		.amdhsa_exception_fp_ieee_overflow 0
		.amdhsa_exception_fp_ieee_underflow 0
		.amdhsa_exception_fp_ieee_inexact 0
		.amdhsa_exception_int_div_zero 0
	.end_amdhsa_kernel
	.section	.text._ZL33flash_attn_stream_k_fixup_uniformILi64ELi4ELi8EEvPfPK15HIP_vector_typeIfLj2EEiiiiiiS1_IjLj3EES5_S5_,"axG",@progbits,_ZL33flash_attn_stream_k_fixup_uniformILi64ELi4ELi8EEvPfPK15HIP_vector_typeIfLj2EEiiiiiiS1_IjLj3EES5_S5_,comdat
.Lfunc_end7:
	.size	_ZL33flash_attn_stream_k_fixup_uniformILi64ELi4ELi8EEvPfPK15HIP_vector_typeIfLj2EEiiiiiiS1_IjLj3EES5_S5_, .Lfunc_end7-_ZL33flash_attn_stream_k_fixup_uniformILi64ELi4ELi8EEvPfPK15HIP_vector_typeIfLj2EEiiiiiiS1_IjLj3EES5_S5_
                                        ; -- End function
	.section	.AMDGPU.csdata,"",@progbits
; Kernel info:
; codeLenInByte = 856
; NumSgprs: 24
; NumVgprs: 17
; NumAgprs: 0
; TotalNumVgprs: 17
; ScratchSize: 0
; MemoryBound: 0
; FloatMode: 240
; IeeeMode: 1
; LDSByteSize: 0 bytes/workgroup (compile time only)
; SGPRBlocks: 2
; VGPRBlocks: 2
; NumSGPRsForWavesPerEU: 24
; NumVGPRsForWavesPerEU: 17
; AccumOffset: 20
; Occupancy: 8
; WaveLimiterHint : 0
; COMPUTE_PGM_RSRC2:SCRATCH_EN: 0
; COMPUTE_PGM_RSRC2:USER_SGPR: 6
; COMPUTE_PGM_RSRC2:TRAP_HANDLER: 0
; COMPUTE_PGM_RSRC2:TGID_X_EN: 1
; COMPUTE_PGM_RSRC2:TGID_Y_EN: 1
; COMPUTE_PGM_RSRC2:TGID_Z_EN: 1
; COMPUTE_PGM_RSRC2:TIDIG_COMP_CNT: 0
; COMPUTE_PGM_RSRC3_GFX90A:ACCUM_OFFSET: 4
; COMPUTE_PGM_RSRC3_GFX90A:TG_SPLIT: 0
	.section	.text._ZL33flash_attn_stream_k_fixup_generalILi64ELi4ELi8EEvPfPK15HIP_vector_typeIfLj2EEiiiiS1_IjLj3EES5_S5_S5_,"axG",@progbits,_ZL33flash_attn_stream_k_fixup_generalILi64ELi4ELi8EEvPfPK15HIP_vector_typeIfLj2EEiiiiS1_IjLj3EES5_S5_S5_,comdat
	.globl	_ZL33flash_attn_stream_k_fixup_generalILi64ELi4ELi8EEvPfPK15HIP_vector_typeIfLj2EEiiiiS1_IjLj3EES5_S5_S5_ ; -- Begin function _ZL33flash_attn_stream_k_fixup_generalILi64ELi4ELi8EEvPfPK15HIP_vector_typeIfLj2EEiiiiS1_IjLj3EES5_S5_S5_
	.p2align	8
	.type	_ZL33flash_attn_stream_k_fixup_generalILi64ELi4ELi8EEvPfPK15HIP_vector_typeIfLj2EEiiiiS1_IjLj3EES5_S5_S5_,@function
_ZL33flash_attn_stream_k_fixup_generalILi64ELi4ELi8EEvPfPK15HIP_vector_typeIfLj2EEiiiiS1_IjLj3EES5_S5_S5_: ; @_ZL33flash_attn_stream_k_fixup_generalILi64ELi4ELi8EEvPfPK15HIP_vector_typeIfLj2EEiiiiS1_IjLj3EES5_S5_S5_
; %bb.0:
	s_load_dwordx4 s[12:15], s[4:5], 0x10
	s_load_dword s9, s[4:5], 0x50
	s_mov_b32 s2, 0
	s_waitcnt lgkmcnt(0)
	s_mul_hi_i32 s3, s15, s6
	s_cmp_lg_u64 s[2:3], 0
	s_mul_i32 s2, s15, s6
	s_cbranch_scc0 .LBB8_21
; %bb.1:
	v_cvt_f32_u32_e32 v1, s9
	v_cvt_f32_ubyte0_e32 v2, 0
	s_sub_u32 s10, 0, s9
	s_subb_u32 s11, 0, 0
	v_madmk_f32 v1, v2, 0x4f800000, v1
	v_rcp_f32_e32 v1, v1
	v_mul_f32_e32 v1, 0x5f7ffffc, v1
	v_mul_f32_e32 v2, 0x2f800000, v1
	v_trunc_f32_e32 v2, v2
	v_madmk_f32 v1, v2, 0xcf800000, v1
	v_cvt_u32_f32_e32 v2, v2
	v_cvt_u32_f32_e32 v1, v1
	v_readfirstlane_b32 s16, v2
	v_readfirstlane_b32 s17, v1
	s_mul_i32 s18, s10, s16
	s_mul_hi_u32 s20, s10, s17
	s_mul_i32 s19, s11, s17
	s_add_i32 s18, s20, s18
	s_add_i32 s18, s18, s19
	s_mul_i32 s21, s10, s17
	s_mul_hi_u32 s19, s17, s18
	s_mul_i32 s20, s17, s18
	s_mul_hi_u32 s17, s17, s21
	s_add_u32 s17, s17, s20
	s_addc_u32 s19, 0, s19
	s_mul_hi_u32 s22, s16, s21
	s_mul_i32 s21, s16, s21
	s_add_u32 s17, s17, s21
	s_mul_hi_u32 s20, s16, s18
	s_addc_u32 s17, s19, s22
	s_addc_u32 s19, s20, 0
	s_mul_i32 s18, s16, s18
	s_add_u32 s17, s17, s18
	s_addc_u32 s18, 0, s19
	v_add_co_u32_e32 v1, vcc, s17, v1
	s_cmp_lg_u64 vcc, 0
	s_addc_u32 s16, s16, s18
	v_readfirstlane_b32 s18, v1
	s_mul_i32 s17, s10, s16
	s_mul_hi_u32 s19, s10, s18
	s_add_i32 s17, s19, s17
	s_mul_i32 s11, s11, s18
	s_add_i32 s17, s17, s11
	s_mul_i32 s10, s10, s18
	s_mul_hi_u32 s19, s16, s10
	s_mul_i32 s20, s16, s10
	s_mul_i32 s22, s18, s17
	s_mul_hi_u32 s10, s18, s10
	s_mul_hi_u32 s21, s18, s17
	s_add_u32 s10, s10, s22
	s_addc_u32 s18, 0, s21
	s_add_u32 s10, s10, s20
	s_mul_hi_u32 s11, s16, s17
	s_addc_u32 s10, s18, s19
	s_addc_u32 s11, s11, 0
	s_mul_i32 s17, s16, s17
	s_add_u32 s10, s10, s17
	s_addc_u32 s11, 0, s11
	v_add_co_u32_e32 v1, vcc, s10, v1
	s_cmp_lg_u64 vcc, 0
	s_addc_u32 s18, s16, s11
	s_ashr_i32 s10, s3, 31
	s_add_u32 s16, s2, s10
	s_mov_b32 s11, s10
	s_addc_u32 s17, s3, s10
	s_xor_b64 s[16:17], s[16:17], s[10:11]
	v_readfirstlane_b32 s20, v1
	s_mul_i32 s19, s16, s18
	s_mul_hi_u32 s21, s16, s20
	s_mul_hi_u32 s3, s16, s18
	s_add_u32 s19, s21, s19
	s_addc_u32 s3, 0, s3
	s_mul_hi_u32 s22, s17, s20
	s_mul_i32 s20, s17, s20
	s_add_u32 s19, s19, s20
	s_mul_hi_u32 s21, s17, s18
	s_addc_u32 s3, s3, s22
	s_addc_u32 s19, s21, 0
	s_mul_i32 s18, s17, s18
	s_add_u32 s3, s3, s18
	s_addc_u32 s18, 0, s19
	s_add_u32 s19, s3, 1
	s_addc_u32 s20, s18, 0
	s_add_u32 s21, s3, 2
	s_mul_i32 s23, s9, s18
	s_mul_hi_u32 s24, s9, s3
	s_addc_u32 s22, s18, 0
	s_add_i32 s24, s24, s23
	s_mul_i32 s23, s9, s3
	v_mov_b32_e32 v1, s23
	v_sub_co_u32_e32 v1, vcc, s16, v1
	s_cmp_lg_u64 vcc, 0
	s_subb_u32 s16, s17, s24
	v_subrev_co_u32_e32 v2, vcc, s9, v1
	s_cmp_lg_u64 vcc, 0
	s_subb_u32 s17, s16, 0
	v_readfirstlane_b32 s23, v2
	s_cmp_ge_u32 s23, s9
	s_cselect_b32 s23, -1, 0
	s_cmp_eq_u32 s17, 0
	s_cselect_b32 s17, s23, -1
	s_cmp_lg_u32 s17, 0
	s_cselect_b32 s17, s22, s20
	v_readfirstlane_b32 s20, v1
	s_cselect_b32 s19, s21, s19
	s_cmp_ge_u32 s20, s9
	s_cselect_b32 s20, -1, 0
	s_cmp_eq_u32 s16, 0
	s_cselect_b32 s16, s20, -1
	s_cmp_lg_u32 s16, 0
	s_cselect_b32 s17, s17, s18
	s_cselect_b32 s16, s19, s3
	s_xor_b64 s[16:17], s[16:17], s[10:11]
	s_sub_u32 s20, s16, s10
	s_load_dwordx4 s[16:19], s[4:5], 0x44
	s_cbranch_execnz .LBB8_3
.LBB8_2:
	v_cvt_f32_u32_e32 v1, s9
	s_sub_i32 s0, 0, s9
	v_rcp_iflag_f32_e32 v1, v1
	v_mul_f32_e32 v1, 0x4f7ffffe, v1
	v_cvt_u32_f32_e32 v1, v1
	v_readfirstlane_b32 s1, v1
	s_mul_i32 s0, s0, s1
	s_mul_hi_u32 s0, s1, s0
	s_add_i32 s1, s1, s0
	s_mul_hi_u32 s0, s2, s1
	s_mul_i32 s3, s0, s9
	s_sub_i32 s2, s2, s3
	s_add_i32 s1, s0, 1
	s_sub_i32 s3, s2, s9
	s_cmp_ge_u32 s2, s9
	s_cselect_b32 s0, s1, s0
	s_cselect_b32 s2, s3, s2
	s_add_i32 s1, s0, 1
	s_cmp_ge_u32 s2, s9
	s_cselect_b32 s20, s1, s0
.LBB8_3:
	s_add_i32 s0, s6, 1
	s_mul_hi_i32 s3, s15, s0
	s_mov_b32 s2, 0
	s_cmp_lg_u64 s[2:3], 0
	s_mul_i32 s2, s15, s0
	s_cbranch_scc0 .LBB8_22
; %bb.4:
	v_cvt_f32_u32_e32 v1, s9
	v_cvt_f32_ubyte0_e32 v2, 0
	s_sub_u32 s10, 0, s9
	s_subb_u32 s11, 0, 0
	v_madmk_f32 v1, v2, 0x4f800000, v1
	v_rcp_f32_e32 v1, v1
	v_mul_f32_e32 v1, 0x5f7ffffc, v1
	v_mul_f32_e32 v2, 0x2f800000, v1
	v_trunc_f32_e32 v2, v2
	v_madmk_f32 v1, v2, 0xcf800000, v1
	v_cvt_u32_f32_e32 v2, v2
	v_cvt_u32_f32_e32 v1, v1
	s_waitcnt lgkmcnt(0)
	v_readfirstlane_b32 s19, v2
	v_readfirstlane_b32 s21, v1
	s_mul_i32 s22, s10, s19
	s_mul_hi_u32 s24, s10, s21
	s_mul_i32 s23, s11, s21
	s_add_i32 s22, s24, s22
	s_add_i32 s22, s22, s23
	s_mul_i32 s25, s10, s21
	s_mul_hi_u32 s23, s21, s22
	s_mul_i32 s24, s21, s22
	s_mul_hi_u32 s21, s21, s25
	s_add_u32 s21, s21, s24
	s_addc_u32 s23, 0, s23
	s_mul_hi_u32 s26, s19, s25
	s_mul_i32 s25, s19, s25
	s_add_u32 s21, s21, s25
	s_mul_hi_u32 s24, s19, s22
	s_addc_u32 s21, s23, s26
	s_addc_u32 s23, s24, 0
	s_mul_i32 s22, s19, s22
	s_add_u32 s21, s21, s22
	s_addc_u32 s22, 0, s23
	v_add_co_u32_e32 v1, vcc, s21, v1
	s_cmp_lg_u64 vcc, 0
	s_addc_u32 s19, s19, s22
	v_readfirstlane_b32 s22, v1
	s_mul_i32 s21, s10, s19
	s_mul_hi_u32 s23, s10, s22
	s_add_i32 s21, s23, s21
	s_mul_i32 s11, s11, s22
	s_add_i32 s21, s21, s11
	s_mul_i32 s10, s10, s22
	s_mul_hi_u32 s23, s19, s10
	s_mul_i32 s24, s19, s10
	s_mul_i32 s26, s22, s21
	s_mul_hi_u32 s10, s22, s10
	s_mul_hi_u32 s25, s22, s21
	s_add_u32 s10, s10, s26
	s_addc_u32 s22, 0, s25
	s_add_u32 s10, s10, s24
	s_mul_hi_u32 s11, s19, s21
	s_addc_u32 s10, s22, s23
	s_addc_u32 s11, s11, 0
	s_mul_i32 s21, s19, s21
	s_add_u32 s10, s10, s21
	s_addc_u32 s11, 0, s11
	v_add_co_u32_e32 v1, vcc, s10, v1
	s_cmp_lg_u64 vcc, 0
	s_addc_u32 s19, s19, s11
	s_ashr_i32 s10, s3, 31
	s_add_u32 s22, s2, s10
	s_mov_b32 s11, s10
	s_addc_u32 s23, s3, s10
	s_xor_b64 s[22:23], s[22:23], s[10:11]
	v_readfirstlane_b32 s21, v1
	s_mul_i32 s11, s22, s19
	s_mul_hi_u32 s24, s22, s21
	s_mul_hi_u32 s3, s22, s19
	s_add_u32 s11, s24, s11
	s_addc_u32 s3, 0, s3
	s_mul_hi_u32 s25, s23, s21
	s_mul_i32 s21, s23, s21
	s_add_u32 s11, s11, s21
	s_mul_hi_u32 s24, s23, s19
	s_addc_u32 s3, s3, s25
	s_addc_u32 s11, s24, 0
	s_mul_i32 s19, s23, s19
	s_add_u32 s3, s3, s19
	s_addc_u32 s11, 0, s11
	s_mul_i32 s11, s9, s11
	s_mul_hi_u32 s24, s9, s3
	s_add_i32 s24, s24, s11
	s_mul_i32 s11, s9, s3
	v_mov_b32_e32 v1, s11
	s_add_u32 s19, s3, 1
	s_add_u32 s21, s3, 2
	v_sub_co_u32_e32 v1, vcc, s22, v1
	s_cmp_lg_u64 vcc, 0
	s_subb_u32 s11, s23, s24
	v_subrev_co_u32_e32 v2, vcc, s9, v1
	s_cmp_lg_u64 vcc, 0
	s_subb_u32 s22, s11, 0
	v_cmp_le_u32_e32 vcc, s9, v2
	s_cmp_eq_u32 s22, 0
	v_cndmask_b32_e64 v2, 0, -1, vcc
	s_cselect_b64 vcc, -1, 0
	v_cndmask_b32_e32 v2, -1, v2, vcc
	v_mov_b32_e32 v3, s19
	v_mov_b32_e32 v4, s21
	v_cmp_ne_u32_e32 vcc, 0, v2
	v_cndmask_b32_e32 v2, v3, v4, vcc
	v_cmp_le_u32_e32 vcc, s9, v1
	s_cmp_eq_u32 s11, 0
	v_cndmask_b32_e64 v1, 0, -1, vcc
	s_cselect_b64 vcc, -1, 0
	v_cndmask_b32_e32 v1, -1, v1, vcc
	v_mov_b32_e32 v3, s3
	v_cmp_ne_u32_e32 vcc, 0, v1
	v_cndmask_b32_e32 v1, v3, v2, vcc
	v_xor_b32_e32 v1, s10, v1
	v_subrev_co_u32_e32 v2, vcc, s10, v1
	s_cbranch_execnz .LBB8_6
.LBB8_5:
	v_cvt_f32_u32_e32 v1, s9
	s_sub_i32 s0, 0, s9
	s_mov_b32 s1, 0
	v_rcp_iflag_f32_e32 v1, v1
	v_mul_f32_e32 v1, 0x4f7ffffe, v1
	v_cvt_u32_f32_e32 v1, v1
	v_readfirstlane_b32 s3, v1
	s_mul_i32 s0, s0, s3
	s_mul_hi_u32 s0, s3, s0
	s_add_i32 s3, s3, s0
	s_mul_hi_u32 s0, s2, s3
	s_mul_i32 s10, s0, s9
	s_sub_i32 s2, s2, s10
	s_add_i32 s3, s0, 1
	s_sub_i32 s10, s2, s9
	s_cmp_ge_u32 s2, s9
	s_cselect_b32 s0, s3, s0
	s_cselect_b32 s2, s10, s2
	s_add_i32 s3, s0, 1
	s_cmp_ge_u32 s2, s9
	s_cselect_b32 s0, s3, s0
	v_pk_mov_b32 v[2:3], s[0:1], s[0:1] op_sel:[0,1]
.LBB8_6:
	s_waitcnt lgkmcnt(0)
	s_mul_hi_u32 s0, s20, s16
	s_add_i32 s0, s0, s20
	v_mul_hi_u32 v1, v2, s16
	s_lshr_b32 s19, s0, s17
	v_add_u32_e32 v1, v1, v2
	s_mul_i32 s0, s19, s18
	v_lshrrev_b32_e32 v1, s17, v1
	s_cmp_eq_u32 s0, s20
	v_cmp_eq_u32_e64 s[0:1], s19, v1
	v_mul_lo_u32 v1, v1, s18
	v_cmp_eq_u32_e32 vcc, s20, v2
	s_cselect_b64 s[10:11], -1, 0
	v_cmp_ne_u32_e64 s[2:3], v1, v2
	s_and_b64 s[0:1], s[0:1], s[2:3]
	s_or_b64 s[2:3], vcc, s[10:11]
	s_or_b64 s[0:1], s[2:3], s[0:1]
	s_and_b64 vcc, exec, s[0:1]
	s_cbranch_vccnz .LBB8_24
; %bb.7:
	s_load_dwordx8 s[24:31], s[4:5], 0x20
	s_load_dword s0, s[4:5], 0x40
	s_mov_b32 s10, 0
	s_waitcnt lgkmcnt(0)
	s_mul_hi_u32 s1, s20, s24
	s_add_i32 s1, s1, s20
	s_lshr_b32 s11, s1, s25
	s_mul_i32 s1, s11, s26
	s_sub_i32 s1, s20, s1
	s_mul_hi_u32 s2, s1, s27
	s_add_i32 s2, s1, s2
	s_lshr_b32 s24, s2, s28
	s_mul_i32 s2, s24, s29
	s_sub_i32 s1, s1, s2
	;; [unrolled: 5-line block ×3, first 2 shown]
	s_mul_hi_u32 s1, s0, s16
	s_add_i32 s0, s0, s1
	s_lshr_b32 s26, s0, s17
	s_lshl_b32 s0, s26, 2
	s_lshl_b32 s25, s2, 3
	s_add_i32 s0, s0, s7
	s_cmp_lt_i32 s0, s12
	s_cselect_b64 s[0:1], -1, 0
	s_add_i32 s2, s25, s8
	s_cmp_lt_i32 s2, s14
	s_cselect_b64 s[2:3], -1, 0
	s_and_b64 s[0:1], s[0:1], s[2:3]
	s_andn2_b64 vcc, exec, s[0:1]
	s_cbranch_vccnz .LBB8_24
; %bb.8:
	s_load_dwordx4 s[0:3], s[4:5], 0x0
	s_lshl_b32 s21, s7, 3
	s_lshl_b32 s4, s9, 7
	s_mov_b32 s5, s10
	s_add_i32 s21, s21, s8
	s_lshl_b64 s[4:5], s[4:5], 2
	s_waitcnt lgkmcnt(0)
	s_add_u32 s22, s2, s4
	s_mul_i32 s4, s11, s12
	s_addc_u32 s23, s3, s5
	s_add_i32 s4, s4, s7
	s_mul_i32 s4, s4, s13
	s_mul_i32 s24, s24, s14
	s_add_i32 s4, s4, s8
	s_add_i32 s4, s4, s24
	s_mul_i32 s5, s13, s26
	s_add_i32 s4, s4, s25
	s_lshl_b32 s5, s5, 8
	s_lshl_b32 s4, s4, 6
	s_add_i32 s5, s5, s4
	v_or_b32_e32 v2, s5, v0
	v_ashrrev_i32_e32 v3, 31, v2
	v_lshlrev_b64 v[2:3], 2, v[2:3]
	v_mov_b32_e32 v1, s1
	v_add_co_u32_e32 v2, vcc, s0, v2
	v_addc_co_u32_e32 v3, vcc, v1, v3, vcc
	global_load_dword v5, v[2:3], off
	v_lshl_or_b32 v4, s21, 6, v0
	v_cvt_f32_u32_e32 v0, s9
	v_cvt_f32_ubyte0_e32 v1, 0
	s_lshl_b32 s0, s6, 5
	s_add_i32 s0, s21, s0
	v_mac_f32_e32 v0, 0x4f800000, v1
	v_rcp_f32_e32 v0, v0
	v_cvt_f32_u32_e32 v1, s9
	s_ashr_i32 s1, s0, 31
	s_lshl_b64 s[0:1], s[0:1], 3
	v_mul_f32_e32 v0, 0x5f7ffffc, v0
	v_rcp_iflag_f32_e32 v1, v1
	s_add_u32 s0, s2, s0
	v_mul_f32_e32 v9, 0x2f800000, v0
	s_addc_u32 s1, s3, s1
	v_trunc_f32_e32 v10, v9
	s_load_dwordx2 s[0:1], s[0:1], 0x0
	v_mac_f32_e32 v0, 0xcf800000, v10
	v_cvt_u32_f32_e32 v9, v0
	v_mul_f32_e32 v0, 0x4f7ffffe, v1
	v_cvt_u32_f32_e32 v10, v10
	v_cvt_u32_f32_e32 v11, v0
	s_add_i32 s8, s6, -1
	s_waitcnt lgkmcnt(0)
	v_mov_b32_e32 v6, s1
	v_mov_b32_e32 v7, s0
	;; [unrolled: 1-line block ×3, first 2 shown]
	s_mov_b32 s6, 0x3fb8aa3b
	s_mov_b32 s7, 0xc2ce8ed0
	;; [unrolled: 1-line block ×4, first 2 shown]
	v_mov_b32_e32 v12, 0x7f800000
	s_mul_hi_i32 s11, s8, s15
	s_cmp_lg_u64 s[10:11], 0
	s_mul_i32 s4, s8, s15
	s_cbranch_scc0 .LBB8_15
.LBB8_9:
	s_sub_u32 s0, 0, s9
	v_readfirstlane_b32 s5, v9
	v_readfirstlane_b32 s24, v10
	s_subb_u32 s1, 0, 0
	s_mul_hi_u32 s20, s0, s5
	s_mul_i32 s25, s0, s24
	s_mul_i32 s14, s1, s5
	s_add_i32 s20, s20, s25
	s_add_i32 s20, s20, s14
	s_mul_i32 s26, s0, s5
	s_mul_hi_u32 s14, s5, s20
	s_mul_i32 s25, s5, s20
	s_mul_hi_u32 s5, s5, s26
	s_add_u32 s5, s5, s25
	s_addc_u32 s14, 0, s14
	s_mul_hi_u32 s27, s24, s26
	s_mul_i32 s26, s24, s26
	s_add_u32 s5, s5, s26
	s_mul_hi_u32 s25, s24, s20
	s_addc_u32 s5, s14, s27
	s_addc_u32 s14, s25, 0
	s_mul_i32 s20, s24, s20
	s_add_u32 s5, s5, s20
	s_addc_u32 s14, 0, s14
	v_add_co_u32_e32 v0, vcc, s5, v9
	s_cmp_lg_u64 vcc, 0
	s_addc_u32 s5, s24, s14
	v_readfirstlane_b32 s20, v0
	s_mul_i32 s14, s0, s5
	s_mul_hi_u32 s24, s0, s20
	s_add_i32 s14, s24, s14
	s_mul_i32 s1, s1, s20
	s_add_i32 s14, s14, s1
	s_mul_i32 s0, s0, s20
	s_mul_hi_u32 s24, s5, s0
	s_mul_i32 s25, s5, s0
	s_mul_i32 s27, s20, s14
	s_mul_hi_u32 s0, s20, s0
	s_mul_hi_u32 s26, s20, s14
	s_add_u32 s0, s0, s27
	s_addc_u32 s20, 0, s26
	s_add_u32 s0, s0, s25
	s_mul_hi_u32 s1, s5, s14
	s_addc_u32 s0, s20, s24
	s_addc_u32 s1, s1, 0
	s_mul_i32 s14, s5, s14
	s_add_u32 s0, s0, s14
	s_addc_u32 s1, 0, s1
	v_add_co_u32_e32 v0, vcc, s0, v0
	s_cmp_lg_u64 vcc, 0
	s_addc_u32 s5, s5, s1
	s_ashr_i32 s0, s11, 31
	s_add_u32 s24, s4, s0
	s_mov_b32 s1, s0
	s_addc_u32 s25, s11, s0
	s_xor_b64 s[24:25], s[24:25], s[0:1]
	v_readfirstlane_b32 s14, v0
	s_mul_i32 s11, s24, s5
	s_mul_hi_u32 s20, s24, s14
	s_mul_hi_u32 s1, s24, s5
	s_add_u32 s11, s20, s11
	s_addc_u32 s1, 0, s1
	s_mul_hi_u32 s26, s25, s14
	s_mul_i32 s14, s25, s14
	s_add_u32 s11, s11, s14
	s_mul_hi_u32 s20, s25, s5
	s_addc_u32 s1, s1, s26
	s_addc_u32 s11, s20, 0
	s_mul_i32 s5, s25, s5
	s_add_u32 s1, s1, s5
	s_addc_u32 s5, 0, s11
	s_mul_i32 s5, s9, s5
	s_mul_hi_u32 s20, s9, s1
	s_add_i32 s20, s20, s5
	s_mul_i32 s5, s9, s1
	v_mov_b32_e32 v0, s5
	s_add_u32 s11, s1, 1
	s_add_u32 s14, s1, 2
	v_sub_co_u32_e32 v0, vcc, s24, v0
	s_cmp_lg_u64 vcc, 0
	s_subb_u32 s5, s25, s20
	v_subrev_co_u32_e32 v1, vcc, s9, v0
	s_cmp_lg_u64 vcc, 0
	s_subb_u32 s20, s5, 0
	v_cmp_le_u32_e32 vcc, s9, v1
	s_cmp_eq_u32 s20, 0
	v_cndmask_b32_e64 v1, 0, -1, vcc
	s_cselect_b64 vcc, -1, 0
	v_cndmask_b32_e32 v1, -1, v1, vcc
	v_mov_b32_e32 v13, s11
	v_mov_b32_e32 v14, s14
	v_cmp_ne_u32_e32 vcc, 0, v1
	v_cndmask_b32_e32 v1, v13, v14, vcc
	v_cmp_le_u32_e32 vcc, s9, v0
	s_cmp_eq_u32 s5, 0
	v_cndmask_b32_e64 v0, 0, -1, vcc
	s_cselect_b64 vcc, -1, 0
	v_cndmask_b32_e32 v0, -1, v0, vcc
	v_mov_b32_e32 v13, s1
	v_cmp_ne_u32_e32 vcc, 0, v0
	v_cndmask_b32_e32 v0, v13, v1, vcc
	v_xor_b32_e32 v0, s0, v0
	v_subrev_co_u32_e32 v0, vcc, s0, v0
	s_cbranch_execnz .LBB8_11
.LBB8_10:
	s_sub_i32 s0, 0, s9
	v_mul_lo_u32 v0, s0, v11
	v_mul_hi_u32 v0, v11, v0
	v_add_u32_e32 v0, v11, v0
	v_mul_hi_u32 v0, s4, v0
	v_mul_lo_u32 v13, v0, s9
	v_sub_u32_e32 v13, s4, v13
	v_add_u32_e32 v1, 1, v0
	v_subrev_u32_e32 v14, s9, v13
	v_cmp_le_u32_e32 vcc, s9, v13
	v_cndmask_b32_e32 v13, v13, v14, vcc
	v_cndmask_b32_e32 v0, v0, v1, vcc
	v_add_u32_e32 v1, 1, v0
	v_cmp_le_u32_e32 vcc, s9, v13
	v_cndmask_b32_e32 v0, v0, v1, vcc
.LBB8_11:
	v_cmp_ne_u32_e32 vcc, v8, v0
	s_cbranch_vccz .LBB8_14
; %bb.12:
	s_add_i32 s0, s8, s9
	s_lshl_b32 s0, s0, 5
	v_mul_hi_u32 v1, v0, s16
	s_add_i32 s0, s0, s21
	s_mov_b32 s1, s10
	v_add_u32_e32 v1, v1, v0
	s_lshl_b64 s[0:1], s[0:1], 3
	v_lshrrev_b32_e32 v1, s17, v1
	s_add_u32 s4, s2, s0
	v_mul_lo_u32 v13, v1, s18
	s_addc_u32 s5, s3, s1
	v_cmp_eq_u32_e32 vcc, v13, v0
	v_cmp_gt_u32_e64 s[0:1], s19, v1
	s_or_b64 s[0:1], s[0:1], vcc
	s_and_b64 vcc, exec, s[0:1]
	s_cbranch_vccnz .LBB8_16
; %bb.13:
	s_add_i32 s11, s8, -1
	s_mov_b64 s[0:1], 0
	s_branch .LBB8_17
.LBB8_14:
                                        ; implicit-def: $sgpr0_sgpr1
                                        ; implicit-def: $vgpr14
                                        ; implicit-def: $vgpr1
                                        ; implicit-def: $vgpr13
                                        ; implicit-def: $sgpr11
                                        ; implicit-def: $vgpr0
	s_branch .LBB8_18
.LBB8_15:
                                        ; implicit-def: $vgpr0_vgpr1
	s_branch .LBB8_10
.LBB8_16:
	s_mov_b64 s[0:1], -1
	s_mov_b32 s11, s8
	v_mov_b32_e32 v0, v8
.LBB8_17:
	v_lshl_add_u32 v14, s8, 11, v4
	v_ashrrev_i32_e32 v15, 31, v14
	v_lshlrev_b64 v[14:15], 2, v[14:15]
	v_mov_b32_e32 v1, s23
	v_add_co_u32_e32 v14, vcc, s22, v14
	v_addc_co_u32_e32 v15, vcc, v1, v15, vcc
	global_load_dword v14, v[14:15], off
	s_load_dwordx2 s[4:5], s[4:5], 0x0
	v_max_f32_e32 v1, v7, v7
	s_waitcnt lgkmcnt(0)
	v_max_f32_e64 v13, s4, s4
	v_max_f32_e32 v1, v1, v13
	v_sub_f32_e32 v13, v7, v1
	v_sub_f32_e32 v15, s4, v1
	v_mul_f32_e32 v16, 0x3fb8aa3b, v13
	v_mul_f32_e32 v17, 0x3fb8aa3b, v15
	v_fma_f32 v18, v13, s6, -v16
	v_rndne_f32_e32 v19, v16
	v_fma_f32 v20, v15, s6, -v17
	v_rndne_f32_e32 v21, v17
	v_fmac_f32_e32 v18, 0x32a5705f, v13
	v_sub_f32_e32 v16, v16, v19
	v_fmac_f32_e32 v20, 0x32a5705f, v15
	v_sub_f32_e32 v17, v17, v21
	v_add_f32_e32 v16, v16, v18
	v_cvt_i32_f32_e32 v19, v19
	v_add_f32_e32 v17, v17, v20
	v_exp_f32_e32 v16, v16
	v_cvt_i32_f32_e32 v21, v21
	v_exp_f32_e32 v17, v17
	v_cmp_ngt_f32_e32 vcc, s7, v13
	v_ldexp_f32 v16, v16, v19
	v_cndmask_b32_e32 v16, 0, v16, vcc
	v_ldexp_f32 v17, v17, v21
	v_cmp_ngt_f32_e32 vcc, s7, v15
	v_cndmask_b32_e32 v17, 0, v17, vcc
	v_cmp_nlt_f32_e32 vcc, s12, v13
	v_cndmask_b32_e32 v16, v12, v16, vcc
	v_cmp_nlt_f32_e32 vcc, s12, v15
	v_cndmask_b32_e32 v17, v12, v17, vcc
	v_cmp_le_f32_e32 vcc, s13, v13
	v_cndmask_b32_e32 v16, 0, v16, vcc
	v_cmp_le_f32_e32 vcc, s13, v15
	v_cndmask_b32_e32 v15, 0, v17, vcc
	v_mul_f32_e32 v13, s5, v15
	v_fmac_f32_e32 v13, v6, v16
	s_waitcnt vmcnt(0)
	v_mul_f32_e32 v14, v14, v15
	v_fmac_f32_e32 v14, v5, v16
	s_cbranch_execnz .LBB8_19
.LBB8_18:
	s_add_i32 s11, s8, -1
	s_mov_b64 s[0:1], 0
	v_mov_b32_e32 v0, v8
	v_mov_b32_e32 v13, v6
	;; [unrolled: 1-line block ×3, first 2 shown]
	s_waitcnt vmcnt(0)
	v_mov_b32_e32 v14, v5
.LBB8_19:
	s_andn2_b64 vcc, exec, s[0:1]
	s_cbranch_vccz .LBB8_23
; %bb.20:
	v_mov_b32_e32 v8, v0
	s_mov_b32 s8, s11
	v_mov_b32_e32 v6, v13
	v_mov_b32_e32 v7, v1
	s_waitcnt vmcnt(0)
	v_mov_b32_e32 v5, v14
	s_mul_hi_i32 s11, s8, s15
	s_cmp_lg_u64 s[10:11], 0
	s_mul_i32 s4, s8, s15
	s_cbranch_scc1 .LBB8_9
	s_branch .LBB8_15
.LBB8_21:
                                        ; implicit-def: $sgpr20_sgpr21
	s_load_dwordx4 s[16:19], s[4:5], 0x44
	s_branch .LBB8_2
.LBB8_22:
                                        ; implicit-def: $vgpr2_vgpr3
	s_branch .LBB8_5
.LBB8_23:
	v_div_scale_f32 v0, s[0:1], v13, v13, v14
	v_rcp_f32_e32 v1, v0
	v_div_scale_f32 v4, vcc, v14, v13, v14
	s_waitcnt vmcnt(0)
	v_fma_f32 v5, -v0, v1, 1.0
	v_fmac_f32_e32 v1, v5, v1
	v_mul_f32_e32 v5, v4, v1
	v_fma_f32 v6, -v0, v5, v4
	v_fmac_f32_e32 v5, v6, v1
	v_fma_f32 v0, -v0, v5, v4
	v_div_fmas_f32 v0, v0, v1, v5
	v_div_fixup_f32 v0, v0, v13, v14
	global_store_dword v[2:3], v0, off
.LBB8_24:
	s_endpgm
	.section	.rodata,"a",@progbits
	.p2align	6, 0x0
	.amdhsa_kernel _ZL33flash_attn_stream_k_fixup_generalILi64ELi4ELi8EEvPfPK15HIP_vector_typeIfLj2EEiiiiS1_IjLj3EES5_S5_S5_
		.amdhsa_group_segment_fixed_size 0
		.amdhsa_private_segment_fixed_size 0
		.amdhsa_kernarg_size 336
		.amdhsa_user_sgpr_count 6
		.amdhsa_user_sgpr_private_segment_buffer 1
		.amdhsa_user_sgpr_dispatch_ptr 0
		.amdhsa_user_sgpr_queue_ptr 0
		.amdhsa_user_sgpr_kernarg_segment_ptr 1
		.amdhsa_user_sgpr_dispatch_id 0
		.amdhsa_user_sgpr_flat_scratch_init 0
		.amdhsa_user_sgpr_kernarg_preload_length 0
		.amdhsa_user_sgpr_kernarg_preload_offset 0
		.amdhsa_user_sgpr_private_segment_size 0
		.amdhsa_uses_dynamic_stack 0
		.amdhsa_system_sgpr_private_segment_wavefront_offset 0
		.amdhsa_system_sgpr_workgroup_id_x 1
		.amdhsa_system_sgpr_workgroup_id_y 1
		.amdhsa_system_sgpr_workgroup_id_z 1
		.amdhsa_system_sgpr_workgroup_info 0
		.amdhsa_system_vgpr_workitem_id 0
		.amdhsa_next_free_vgpr 22
		.amdhsa_next_free_sgpr 32
		.amdhsa_accum_offset 24
		.amdhsa_reserve_vcc 1
		.amdhsa_reserve_flat_scratch 0
		.amdhsa_float_round_mode_32 0
		.amdhsa_float_round_mode_16_64 0
		.amdhsa_float_denorm_mode_32 3
		.amdhsa_float_denorm_mode_16_64 3
		.amdhsa_dx10_clamp 1
		.amdhsa_ieee_mode 1
		.amdhsa_fp16_overflow 0
		.amdhsa_tg_split 0
		.amdhsa_exception_fp_ieee_invalid_op 0
		.amdhsa_exception_fp_denorm_src 0
		.amdhsa_exception_fp_ieee_div_zero 0
		.amdhsa_exception_fp_ieee_overflow 0
		.amdhsa_exception_fp_ieee_underflow 0
		.amdhsa_exception_fp_ieee_inexact 0
		.amdhsa_exception_int_div_zero 0
	.end_amdhsa_kernel
	.section	.text._ZL33flash_attn_stream_k_fixup_generalILi64ELi4ELi8EEvPfPK15HIP_vector_typeIfLj2EEiiiiS1_IjLj3EES5_S5_S5_,"axG",@progbits,_ZL33flash_attn_stream_k_fixup_generalILi64ELi4ELi8EEvPfPK15HIP_vector_typeIfLj2EEiiiiS1_IjLj3EES5_S5_S5_,comdat
.Lfunc_end8:
	.size	_ZL33flash_attn_stream_k_fixup_generalILi64ELi4ELi8EEvPfPK15HIP_vector_typeIfLj2EEiiiiS1_IjLj3EES5_S5_S5_, .Lfunc_end8-_ZL33flash_attn_stream_k_fixup_generalILi64ELi4ELi8EEvPfPK15HIP_vector_typeIfLj2EEiiiiS1_IjLj3EES5_S5_S5_
                                        ; -- End function
	.section	.AMDGPU.csdata,"",@progbits
; Kernel info:
; codeLenInByte = 2824
; NumSgprs: 36
; NumVgprs: 22
; NumAgprs: 0
; TotalNumVgprs: 22
; ScratchSize: 0
; MemoryBound: 0
; FloatMode: 240
; IeeeMode: 1
; LDSByteSize: 0 bytes/workgroup (compile time only)
; SGPRBlocks: 4
; VGPRBlocks: 2
; NumSGPRsForWavesPerEU: 36
; NumVGPRsForWavesPerEU: 22
; AccumOffset: 24
; Occupancy: 8
; WaveLimiterHint : 0
; COMPUTE_PGM_RSRC2:SCRATCH_EN: 0
; COMPUTE_PGM_RSRC2:USER_SGPR: 6
; COMPUTE_PGM_RSRC2:TRAP_HANDLER: 0
; COMPUTE_PGM_RSRC2:TGID_X_EN: 1
; COMPUTE_PGM_RSRC2:TGID_Y_EN: 1
; COMPUTE_PGM_RSRC2:TGID_Z_EN: 1
; COMPUTE_PGM_RSRC2:TIDIG_COMP_CNT: 0
; COMPUTE_PGM_RSRC3_GFX90A:ACCUM_OFFSET: 5
; COMPUTE_PGM_RSRC3_GFX90A:TG_SPLIT: 0
	.section	.text._ZL15flash_attn_tileILi64ELi64ELi2ELi8ELb0EEvPKcS1_S1_S1_S1_PKiPfP15HIP_vector_typeIfLj2EEffffjfiS5_IjLj3EEiiiiiiiiiiiliiliiiiil,"axG",@progbits,_ZL15flash_attn_tileILi64ELi64ELi2ELi8ELb0EEvPKcS1_S1_S1_S1_PKiPfP15HIP_vector_typeIfLj2EEffffjfiS5_IjLj3EEiiiiiiiiiiiliiliiiiil,comdat
	.globl	_ZL15flash_attn_tileILi64ELi64ELi2ELi8ELb0EEvPKcS1_S1_S1_S1_PKiPfP15HIP_vector_typeIfLj2EEffffjfiS5_IjLj3EEiiiiiiiiiiiliiliiiiil ; -- Begin function _ZL15flash_attn_tileILi64ELi64ELi2ELi8ELb0EEvPKcS1_S1_S1_S1_PKiPfP15HIP_vector_typeIfLj2EEffffjfiS5_IjLj3EEiiiiiiiiiiiliiliiiiil
	.p2align	8
	.type	_ZL15flash_attn_tileILi64ELi64ELi2ELi8ELb0EEvPKcS1_S1_S1_S1_PKiPfP15HIP_vector_typeIfLj2EEffffjfiS5_IjLj3EEiiiiiiiiiiiliiliiiiil,@function
_ZL15flash_attn_tileILi64ELi64ELi2ELi8ELb0EEvPKcS1_S1_S1_S1_PKiPfP15HIP_vector_typeIfLj2EEffffjfiS5_IjLj3EEiiiiiiiiiiiliiliiiiil: ; @_ZL15flash_attn_tileILi64ELi64ELi2ELi8ELb0EEvPKcS1_S1_S1_S1_PKiPfP15HIP_vector_typeIfLj2EEffffjfiS5_IjLj3EEiiiiiiiiiiiliiliiiiil
; %bb.0:
	s_load_dwordx4 s[52:55], s[4:5], 0x5c
	s_load_dwordx2 s[56:57], s[4:5], 0x80
	s_load_dwordx16 s[36:51], s[4:5], 0x0
	s_mov_b64 s[58:59], 0
	s_waitcnt lgkmcnt(0)
	s_ashr_i32 s0, s55, 31
	s_lshr_b32 s0, s0, 29
	s_add_i32 s0, s55, s0
	s_ashr_i32 s0, s0, 3
	v_cvt_f32_u32_e32 v1, s0
	s_sub_i32 s1, 0, s0
	v_rcp_iflag_f32_e32 v1, v1
	v_mul_f32_e32 v1, 0x4f7ffffe, v1
	v_cvt_u32_f32_e32 v1, v1
	v_readfirstlane_b32 s2, v1
	s_mul_i32 s1, s1, s2
	s_mul_hi_u32 s1, s2, s1
	s_add_i32 s2, s2, s1
	s_mul_hi_u32 s1, s8, s2
	s_mul_i32 s2, s1, s0
	s_sub_i32 s2, s8, s2
	s_add_i32 s3, s1, 1
	s_sub_i32 s9, s2, s0
	s_cmp_ge_u32 s2, s0
	s_cselect_b32 s1, s3, s1
	s_cselect_b32 s2, s9, s2
	s_add_i32 s3, s1, 1
	s_cmp_ge_u32 s2, s0
	s_cselect_b32 s33, s3, s1
	s_abs_i32 s0, s57
	v_cvt_f32_u32_e32 v1, s0
	s_lshl_b32 s1, s8, 3
	s_mul_i32 s8, s33, s55
	s_xor_b32 s2, s55, s57
	v_rcp_iflag_f32_e32 v1, v1
	s_sub_i32 s9, 0, s0
	s_sub_i32 s57, s1, s8
	s_abs_i32 s3, s55
	v_mul_f32_e32 v1, 0x4f7ffffe, v1
	v_cvt_u32_f32_e32 v1, v1
	s_ashr_i32 s2, s2, 31
	v_readfirstlane_b32 s1, v1
	s_mul_i32 s9, s9, s1
	s_mul_hi_u32 s8, s1, s9
	s_add_i32 s1, s1, s8
	s_mul_hi_u32 s1, s3, s1
	s_mul_i32 s8, s1, s0
	s_sub_i32 s3, s3, s8
	s_add_i32 s9, s1, 1
	s_sub_i32 s8, s3, s0
	s_cmp_ge_u32 s3, s0
	s_cselect_b32 s1, s9, s1
	s_cselect_b32 s3, s8, s3
	s_add_i32 s8, s1, 1
	s_cmp_ge_u32 s3, s0
	s_cselect_b32 s0, s8, s1
	s_xor_b32 s0, s0, s2
	s_sub_i32 s11, s0, s2
	s_abs_i32 s10, s11
	v_cvt_f32_u32_e32 v1, s10
	s_load_dwordx2 s[0:1], s[4:5], 0xb8
	s_cmp_eq_u64 s[42:43], 0
	v_rcp_iflag_f32_e32 v1, v1
	v_mul_f32_e32 v1, 0x4f7ffffe, v1
	v_cvt_u32_f32_e32 v1, v1
	v_readfirstlane_b32 s12, v1
	s_cbranch_scc1 .LBB9_2
; %bb.1:
	s_waitcnt lgkmcnt(0)
	s_abs_i32 s0, s0
	v_cvt_f32_u32_e32 v1, s0
	s_sub_i32 s13, 0, s0
	s_abs_i32 s9, s33
	s_ashr_i32 s8, s33, 31
	v_rcp_iflag_f32_e32 v1, v1
	s_load_dwordx2 s[2:3], s[4:5], 0xc8
	v_mul_f32_e32 v1, 0x4f7ffffe, v1
	v_cvt_u32_f32_e32 v1, v1
	v_readfirstlane_b32 s14, v1
	s_mul_i32 s13, s13, s14
	s_mul_hi_u32 s13, s14, s13
	s_add_i32 s14, s14, s13
	s_mul_hi_u32 s13, s9, s14
	s_mul_i32 s13, s13, s0
	s_sub_i32 s9, s9, s13
	s_sub_i32 s13, s9, s0
	s_cmp_ge_u32 s9, s0
	s_cselect_b32 s9, s13, s9
	s_sub_i32 s13, s9, s0
	s_cmp_ge_u32 s9, s0
	s_cselect_b32 s0, s13, s9
	s_xor_b32 s0, s0, s8
	s_sub_i32 s0, s0, s8
	s_ashr_i32 s8, s0, 31
	s_waitcnt lgkmcnt(0)
	s_mul_i32 s3, s0, s3
	s_mul_hi_u32 s9, s0, s2
	s_add_i32 s3, s9, s3
	s_mul_i32 s8, s8, s2
	s_add_i32 s3, s3, s8
	s_mul_i32 s0, s0, s2
	s_add_u32 s58, s42, s0
	s_addc_u32 s59, s43, s3
.LBB9_2:
	s_load_dwordx4 s[16:19], s[4:5], 0x70
	v_bfe_u32 v1, v0, 10, 10
	v_lshrrev_b32_e32 v2, 2, v1
	v_lshl_add_u32 v17, s6, 1, v2
	v_mul_hi_u32 v2, s52, v17
	s_waitcnt lgkmcnt(0)
	s_mul_i32 s0, s33, s18
	s_ashr_i32 s3, s0, 31
	s_mul_i32 s2, s57, s17
	s_add_u32 s0, s36, s0
	s_addc_u32 s3, s37, s3
	s_ashr_i32 s8, s2, 31
	v_add_u32_e32 v2, v17, v2
	s_add_u32 s0, s0, s2
	v_lshrrev_b32_e32 v2, s53, v2
	s_addc_u32 s8, s3, s8
	v_mul_lo_u32 v2, v2, s54
	s_ashr_i32 s13, s16, 31
	v_mov_b32_e32 v4, s16
	v_sub_u32_e32 v2, v17, v2
	v_alignbit_b32 v4, s13, v4, 2
	v_mad_u64_u32 v[4:5], s[2:3], v4, v2, 0
	v_mov_b32_e32 v6, v5
	s_lshr_b32 s2, s13, 2
	v_mad_u64_u32 v[6:7], s[2:3], s2, v2, v[6:7]
	v_mov_b32_e32 v5, v6
	v_lshlrev_b64 v[4:5], 2, v[4:5]
	v_and_b32_e32 v16, 0x3ff, v0
	v_mov_b32_e32 v0, s8
	v_add_co_u32_e32 v4, vcc, s0, v4
	v_addc_co_u32_e32 v0, vcc, v0, v5, vcc
	v_lshlrev_b32_e32 v5, 3, v16
	v_add_co_u32_e32 v10, vcc, v4, v5
	v_lshlrev_b32_e32 v3, 1, v1
	s_ashr_i32 s9, s17, 31
	v_addc_co_u32_e32 v11, vcc, 0, v0, vcc
	v_mov_b32_e32 v0, s17
	v_and_b32_e32 v56, 6, v3
	v_alignbit_b32 v8, s9, v0, 2
	v_mad_u64_u32 v[4:5], s[2:3], v8, v56, 0
	v_mov_b32_e32 v0, v5
	s_lshr_b32 s0, s9, 2
	v_or_b32_e32 v3, 1, v3
	v_mad_u64_u32 v[6:7], s[2:3], s0, v56, v[0:1]
	v_and_b32_e32 v9, 7, v3
	v_mov_b32_e32 v5, v6
	v_mad_u64_u32 v[6:7], s[2:3], v8, v9, 0
	v_mov_b32_e32 v0, v7
	v_lshlrev_b64 v[4:5], 2, v[4:5]
	v_mad_u64_u32 v[8:9], s[2:3], s0, v9, v[0:1]
	v_add_co_u32_e32 v4, vcc, v10, v4
	v_mov_b32_e32 v7, v8
	v_addc_co_u32_e32 v5, vcc, v11, v5, vcc
	v_lshlrev_b64 v[6:7], 2, v[6:7]
	v_add_co_u32_e32 v6, vcc, v10, v6
	v_addc_co_u32_e32 v7, vcc, v11, v7, vcc
	global_load_dwordx2 v[8:9], v[4:5], off
	global_load_dwordx2 v[10:11], v[6:7], off
	s_load_dword s0, s[4:5], 0x40
	v_lshlrev_b32_e32 v0, 6, v1
	v_add_lshl_u32 v0, v0, v16, 2
	v_lshlrev_b32_e32 v3, 5, v3
	s_cmp_eq_u64 s[46:47], 0
	v_add_lshl_u32 v3, v3, v16, 2
	s_waitcnt vmcnt(1) lgkmcnt(0)
	v_fma_mixlo_f16 v4, v8, s0, 0
	s_waitcnt vmcnt(0)
	v_fma_mixlo_f16 v5, v10, s0, 0
	v_fma_mixhi_f16 v4, v9, s0, 0
	v_fma_mixhi_f16 v5, v11, s0, 0
	ds_write_b32 v0, v4 offset:22528
	ds_write_b32 v3, v5 offset:22528
	s_waitcnt lgkmcnt(0)
	s_barrier
	s_cbranch_scc1 .LBB9_4
; %bb.3:
	s_load_dword s0, s[4:5], 0xd0
	s_mov_b32 s3, 0
	s_waitcnt lgkmcnt(0)
	s_mul_i32 s0, s0, s33
	s_add_i32 s2, s0, s6
	s_lshl_b64 s[2:3], s[2:3], 2
	s_add_u32 s2, s46, s2
	s_addc_u32 s3, s47, s3
	s_load_dword s56, s[2:3], 0x0
.LBB9_4:
	s_lshl_b32 s52, s7, 7
	s_waitcnt lgkmcnt(0)
	s_cmp_lt_i32 s52, s56
	v_mbcnt_lo_u32_b32 v0, -1, 0
	s_cbranch_scc1 .LBB9_6
; %bb.5:
	v_mbcnt_hi_u32_b32 v19, -1, v0
	v_and_b32_e32 v3, 0x60, v19
	s_mov_b32 s2, 0xfeffffff
	s_mov_b32 s0, 0
	v_add_u32_e32 v57, 32, v3
	v_xor_b32_e32 v63, 16, v19
	v_xor_b32_e32 v62, 8, v19
	;; [unrolled: 1-line block ×5, first 2 shown]
	s_mov_b32 s3, s2
	s_mov_b64 s[8:9], 0
	s_branch .LBB9_7
.LBB9_6:
	s_mov_b64 s[8:9], -1
                                        ; implicit-def: $sgpr0
                                        ; implicit-def: $sgpr2_sgpr3
                                        ; implicit-def: $vgpr19
                                        ; implicit-def: $vgpr57
                                        ; implicit-def: $vgpr63
                                        ; implicit-def: $vgpr62
                                        ; implicit-def: $vgpr61
                                        ; implicit-def: $vgpr60
                                        ; implicit-def: $vgpr59
.LBB9_7:
	s_andn2_b64 vcc, exec, s[8:9]
	v_mov_b32_e32 v21, s0
	v_pk_mov_b32 v[40:41], s[2:3], s[2:3] op_sel:[0,1]
	v_mov_b32_e32 v88, s0
	v_mov_b32_e32 v20, s0
	;; [unrolled: 1-line block ×3, first 2 shown]
	s_cbranch_vccnz .LBB9_10
; %bb.8:
	s_sub_i32 s0, 0, s10
	s_mul_i32 s0, s0, s12
	s_mul_hi_u32 s0, s12, s0
	s_add_i32 s0, s12, s0
	s_load_dwordx2 s[2:3], s[4:5], 0x8c
	s_load_dwordx4 s[12:15], s[4:5], 0x98
	s_abs_i32 s6, s57
	s_mul_hi_u32 s0, s6, s0
	s_ashr_i32 s16, s57, 31
	s_waitcnt lgkmcnt(0)
	s_ashr_i32 s60, s2, 2
	s_ashr_i32 s53, s14, 2
	s_ashr_i32 s2, s33, 31
	s_mul_i32 s13, s33, s13
	s_mul_hi_u32 s14, s33, s12
	s_add_i32 s13, s14, s13
	s_mul_i32 s14, s2, s12
	s_ashr_i32 s11, s11, 31
	s_ashr_i32 s1, s1, 1
	s_add_i32 s13, s13, s14
	s_mul_i32 s12, s33, s12
	s_add_u32 s12, s38, s12
	s_mul_i32 s14, s0, s10
	s_addc_u32 s13, s39, s13
	s_sub_i32 s6, s6, s14
	s_xor_b32 s11, s16, s11
	s_add_i32 s14, s0, 1
	s_sub_i32 s16, s6, s10
	s_cmp_ge_u32 s6, s10
	s_cselect_b32 s0, s14, s0
	s_cselect_b32 s6, s16, s6
	s_add_i32 s14, s0, 1
	s_cmp_ge_u32 s6, s10
	s_cselect_b32 s0, s14, s0
	s_load_dwordx2 s[8:9], s[4:5], 0xa8
	s_xor_b32 s0, s0, s11
	s_sub_i32 s0, s0, s11
	s_mul_i32 s3, s0, s3
	s_ashr_i32 s6, s3, 31
	s_add_u32 s61, s12, s3
	s_addc_u32 s62, s13, s6
	s_waitcnt lgkmcnt(0)
	s_mul_i32 s3, s33, s9
	s_mul_hi_u32 s6, s33, s8
	s_add_i32 s3, s6, s3
	s_mul_i32 s2, s2, s8
	s_add_i32 s3, s3, s2
	s_mul_i32 s2, s33, s8
	s_add_u32 s2, s40, s2
	s_mul_i32 s0, s0, s15
	v_lshlrev_b32_e32 v64, 2, v16
	s_addc_u32 s3, s41, s3
	s_ashr_i32 s6, s0, 31
	v_lshrrev_b32_e32 v3, 3, v16
	v_and_b32_e32 v4, 28, v64
	s_add_u32 s63, s2, s0
	v_lshl_add_u32 v3, v1, 2, v3
	v_lshlrev_b32_e32 v5, 2, v4
	s_movk_i32 s0, 0x90
	s_addc_u32 s64, s3, s6
	v_mad_u32_u24 v65, v3, s0, v5
	v_mul_lo_u32 v6, s60, v3
	s_lshl_b32 s0, s60, 5
	v_add_u32_e32 v8, s0, v6
	v_add_u32_e32 v10, s0, v8
	;; [unrolled: 1-line block ×3, first 2 shown]
	v_mad_u64_u32 v[18:19], s[0:1], v2, s1, v[16:17]
	v_mov_b32_e32 v2, 0x4800
	v_mov_b32_e32 v14, 0x5800
	v_lshl_add_u32 v71, v1, 9, v2
	v_mul_lo_u32 v2, s53, v3
	s_lshl_b32 s0, s53, 5
	v_lshl_add_u32 v70, v1, 8, v14
	v_add_u32_e32 v14, s0, v2
	v_add_u32_e32 v20, s0, v14
	;; [unrolled: 1-line block ×3, first 2 shown]
	v_mbcnt_hi_u32_b32 v19, -1, v0
	v_mov_b32_e32 v58, 0
	v_ashrrev_i32_e32 v7, 31, v6
	v_ashrrev_i32_e32 v9, 31, v8
	;; [unrolled: 1-line block ×4, first 2 shown]
	v_lshl_or_b32 v72, v3, 7, v5
	v_ashrrev_i32_e32 v3, 31, v2
	v_ashrrev_i32_e32 v15, 31, v14
	;; [unrolled: 1-line block ×4, first 2 shown]
	s_add_u32 s46, s4, 0xd0
	v_mov_b32_e32 v38, 0xfeffffff
	v_and_b32_e32 v0, 0x60, v19
	v_add_u32_e32 v66, 0x1200, v65
	v_add_u32_e32 v67, 0x2400, v65
	v_add_u32_e32 v68, 0x3600, v65
	v_mul_u32_u24_e32 v69, 0x90, v16
	v_add_u32_e32 v73, 0x1000, v72
	v_add_u32_e32 v74, 0x2000, v72
	;; [unrolled: 1-line block ×3, first 2 shown]
	s_addc_u32 s47, s5, 0
	v_lshlrev_b64 v[22:23], 2, v[6:7]
	v_lshlrev_b32_e32 v76, 2, v4
	v_lshlrev_b64 v[24:25], 2, v[8:9]
	v_lshlrev_b64 v[26:27], 2, v[10:11]
	;; [unrolled: 1-line block ×3, first 2 shown]
	v_add_u32_e32 v57, 32, v0
	v_xor_b32_e32 v63, 16, v19
	v_xor_b32_e32 v62, 8, v19
	;; [unrolled: 1-line block ×5, first 2 shown]
	v_mov_b32_e32 v77, s59
	s_mov_b32 s6, 0x40051340
	s_mov_b32 s59, 0x3fb8aa3b
	;; [unrolled: 1-line block ×4, first 2 shown]
	v_mov_b32_e32 v78, 0x7f800000
	v_add_u32_e32 v79, v71, v64
	v_lshlrev_b64 v[30:31], 2, v[2:3]
	v_lshlrev_b64 v[32:33], 2, v[14:15]
	;; [unrolled: 1-line block ×4, first 2 shown]
	v_add_u32_e32 v80, 0x400, v64
	v_add_u32_e32 v81, 0x800, v64
	;; [unrolled: 1-line block ×15, first 2 shown]
	v_mov_b32_e32 v88, 0
	v_mov_b32_e32 v39, v38
	;; [unrolled: 1-line block ×4, first 2 shown]
.LBB9_9:                                ; =>This Inner Loop Header: Depth=1
	s_mul_hi_i32 s13, s52, s60
	s_mul_i32 s12, s52, s60
	v_add_u32_e32 v0, s52, v18
	v_cmp_lt_i32_e64 s[0:1], v62, v57
	v_cmp_lt_i32_e64 s[10:11], v60, v57
	v_cndmask_b32_e64 v3, v19, v62, s[0:1]
	s_lshl_b64 s[0:1], s[12:13], 2
	v_ashrrev_i32_e32 v1, 31, v0
	v_cmp_lt_i32_e32 vcc, v63, v57
	v_cmp_lt_i32_e64 s[2:3], v61, v57
	v_cmp_lt_i32_e64 s[8:9], v59, v57
	v_cndmask_b32_e64 v5, v19, v60, s[10:11]
	s_add_u32 s10, s61, s0
	v_lshlrev_b64 v[0:1], 1, v[0:1]
	s_mul_hi_i32 s15, s52, s53
	s_mul_i32 s14, s52, s53
	v_cndmask_b32_e32 v2, v19, v63, vcc
	v_cndmask_b32_e64 v4, v19, v61, s[2:3]
	v_cndmask_b32_e64 v6, v19, v59, s[8:9]
	s_addc_u32 s12, s62, s1
	v_add_co_u32_e32 v0, vcc, s58, v0
	v_lshlrev_b32_e32 v108, 2, v2
	v_lshlrev_b32_e32 v109, 2, v3
	;; [unrolled: 1-line block ×5, first 2 shown]
	s_lshl_b64 s[18:19], s[14:15], 2
	v_add_co_u32_e64 v2, s[0:1], s10, v24
	v_add_co_u32_e64 v3, s[2:3], s10, v26
	;; [unrolled: 1-line block ×4, first 2 shown]
	v_addc_co_u32_e32 v1, vcc, v77, v1, vcc
	v_mov_b32_e32 v6, s12
	v_mov_b32_e32 v7, s12
	;; [unrolled: 1-line block ×4, first 2 shown]
	s_add_u32 s18, s63, s18
	v_add_co_u32_e32 v14, vcc, v2, v76
	v_add_co_u32_e64 v100, s[12:13], v3, v76
	v_add_co_u32_e64 v102, s[14:15], v4, v76
	;; [unrolled: 1-line block ×3, first 2 shown]
	v_addc_co_u32_e64 v2, s[10:11], v6, v23, s[10:11]
	v_addc_co_u32_e64 v3, s[0:1], v7, v25, s[0:1]
	;; [unrolled: 1-line block ×4, first 2 shown]
	v_add_co_u32_e64 v6, s[0:1], s18, v30
	v_add_co_u32_e64 v7, s[2:3], s18, v32
	v_add_co_u32_e64 v8, s[8:9], s18, v34
	v_add_co_u32_e64 v9, s[10:11], s18, v36
	v_addc_co_u32_e64 v105, s[16:17], 0, v2, s[16:17]
	v_addc_co_u32_e32 v15, vcc, 0, v3, vcc
	v_addc_co_u32_e64 v101, vcc, 0, v4, s[12:13]
	v_addc_co_u32_e64 v103, vcc, 0, v5, s[14:15]
	v_add_co_u32_e32 v50, vcc, v7, v76
	v_add_co_u32_e64 v48, s[12:13], v8, v76
	v_add_co_u32_e64 v52, s[14:15], v9, v76
	;; [unrolled: 1-line block ×3, first 2 shown]
	global_load_dwordx4 v[2:5], v[104:105], off
	global_load_dwordx4 v[6:9], v[14:15], off
	;; [unrolled: 1-line block ×4, first 2 shown]
	v_mov_b32_e32 v40, 0
	v_mov_b32_e32 v42, 0
	v_mov_b32_e32 v41, 0
	s_waitcnt vmcnt(3)
	ds_write_b128 v65, v[2:5]
	s_waitcnt vmcnt(2)
	ds_write_b128 v66, v[6:9]
	;; [unrolled: 2-line block ×4, first 2 shown]
	s_waitcnt lgkmcnt(0)
	s_barrier
	ds_read_b128 v[2:5], v70
	ds_read_b128 v[6:9], v69
	ds_read_b128 v[10:13], v69 offset:4608
	ds_read_b128 v[96:99], v69 offset:9216
	;; [unrolled: 1-line block ×4, first 2 shown]
	s_waitcnt lgkmcnt(4)
	;;#ASMSTART
	v_dot2_f32_f16 v40, v6, v2, v40
	;;#ASMEND
	;;#ASMSTART
	v_dot2_f32_f16 v40, v7, v3, v40
	;;#ASMEND
	;; [unrolled: 3-line block ×4, first 2 shown]
	s_waitcnt lgkmcnt(0)
	;;#ASMSTART
	v_dot2_f32_f16 v42, v6, v104, v42
	;;#ASMEND
	;;#ASMSTART
	v_dot2_f32_f16 v42, v7, v105, v42
	;;#ASMEND
	;; [unrolled: 3-line block ×6, first 2 shown]
	v_mov_b32_e32 v43, 0
	;;#ASMSTART
	v_dot2_f32_f16 v41, v12, v4, v41
	;;#ASMEND
	;;#ASMSTART
	v_dot2_f32_f16 v41, v13, v5, v41
	;;#ASMEND
	;;#ASMSTART
	v_dot2_f32_f16 v43, v10, v104, v43
	;;#ASMEND
	;;#ASMSTART
	v_dot2_f32_f16 v43, v11, v105, v43
	;;#ASMEND
	v_mov_b32_e32 v44, 0
	;;#ASMSTART
	v_dot2_f32_f16 v43, v12, v106, v43
	;;#ASMEND
	;;#ASMSTART
	v_dot2_f32_f16 v43, v13, v107, v43
	;;#ASMEND
	;;#ASMSTART
	v_dot2_f32_f16 v44, v96, v2, v44
	;;#ASMEND
	;;#ASMSTART
	v_dot2_f32_f16 v44, v97, v3, v44
	;;#ASMEND
	v_mov_b32_e32 v45, 0
	;;#ASMSTART
	v_dot2_f32_f16 v44, v98, v4, v44
	;;#ASMEND
	;;#ASMSTART
	v_dot2_f32_f16 v44, v99, v5, v44
	;;#ASMEND
	;;#ASMSTART
	v_dot2_f32_f16 v45, v96, v104, v45
	;;#ASMEND
	;;#ASMSTART
	v_dot2_f32_f16 v45, v97, v105, v45
	;;#ASMEND
	v_mov_b32_e32 v46, 0
	;;#ASMSTART
	v_dot2_f32_f16 v45, v98, v106, v45
	;;#ASMEND
	;;#ASMSTART
	v_dot2_f32_f16 v45, v99, v107, v45
	;;#ASMEND
	;;#ASMSTART
	v_dot2_f32_f16 v46, v100, v2, v46
	;;#ASMEND
	;;#ASMSTART
	v_dot2_f32_f16 v46, v101, v3, v46
	;;#ASMEND
	v_mov_b32_e32 v47, 0
	;;#ASMSTART
	v_dot2_f32_f16 v46, v102, v4, v46
	;;#ASMEND
	;;#ASMSTART
	v_dot2_f32_f16 v46, v103, v5, v46
	;;#ASMEND
	;;#ASMSTART
	v_dot2_f32_f16 v47, v100, v104, v47
	;;#ASMEND
	;;#ASMSTART
	v_dot2_f32_f16 v47, v101, v105, v47
	;;#ASMEND
	;;#ASMSTART
	v_dot2_f32_f16 v47, v102, v106, v47
	;;#ASMEND
	;;#ASMSTART
	v_dot2_f32_f16 v47, v103, v107, v47
	;;#ASMEND
	ds_read_b128 v[2:5], v70 offset:16
	ds_read_b128 v[6:9], v69 offset:16
	;; [unrolled: 1-line block ×6, first 2 shown]
	s_waitcnt lgkmcnt(4)
	;;#ASMSTART
	v_dot2_f32_f16 v40, v6, v2, v40
	;;#ASMEND
	;;#ASMSTART
	v_dot2_f32_f16 v40, v7, v3, v40
	;;#ASMEND
	;; [unrolled: 3-line block ×4, first 2 shown]
	s_waitcnt lgkmcnt(0)
	;;#ASMSTART
	v_dot2_f32_f16 v42, v6, v104, v42
	;;#ASMEND
	;;#ASMSTART
	v_dot2_f32_f16 v42, v7, v105, v42
	;;#ASMEND
	;; [unrolled: 3-line block ×28, first 2 shown]
	ds_read_b128 v[2:5], v70 offset:32
	ds_read_b128 v[6:9], v69 offset:32
	;; [unrolled: 1-line block ×6, first 2 shown]
	s_waitcnt lgkmcnt(4)
	;;#ASMSTART
	v_dot2_f32_f16 v40, v6, v2, v40
	;;#ASMEND
	;;#ASMSTART
	v_dot2_f32_f16 v40, v7, v3, v40
	;;#ASMEND
	;; [unrolled: 3-line block ×4, first 2 shown]
	s_waitcnt lgkmcnt(0)
	;;#ASMSTART
	v_dot2_f32_f16 v42, v6, v104, v42
	;;#ASMEND
	;;#ASMSTART
	v_dot2_f32_f16 v42, v7, v105, v42
	;;#ASMEND
	;;#ASMSTART
	v_dot2_f32_f16 v42, v8, v106, v42
	;;#ASMEND
	;;#ASMSTART
	v_dot2_f32_f16 v42, v9, v107, v42
	;;#ASMEND
	;;#ASMSTART
	v_dot2_f32_f16 v41, v10, v2, v41
	;;#ASMEND
	;;#ASMSTART
	v_dot2_f32_f16 v41, v11, v3, v41
	;;#ASMEND
	;;#ASMSTART
	v_dot2_f32_f16 v41, v12, v4, v41
	;;#ASMEND
	;;#ASMSTART
	v_dot2_f32_f16 v41, v13, v5, v41
	;;#ASMEND
	;;#ASMSTART
	v_dot2_f32_f16 v43, v10, v104, v43
	;;#ASMEND
	;;#ASMSTART
	v_dot2_f32_f16 v43, v11, v105, v43
	;;#ASMEND
	;;#ASMSTART
	v_dot2_f32_f16 v43, v12, v106, v43
	;;#ASMEND
	;;#ASMSTART
	v_dot2_f32_f16 v43, v13, v107, v43
	;;#ASMEND
	;;#ASMSTART
	v_dot2_f32_f16 v44, v96, v2, v44
	;;#ASMEND
	;;#ASMSTART
	v_dot2_f32_f16 v44, v97, v3, v44
	;;#ASMEND
	;;#ASMSTART
	v_dot2_f32_f16 v44, v98, v4, v44
	;;#ASMEND
	;;#ASMSTART
	v_dot2_f32_f16 v44, v99, v5, v44
	;;#ASMEND
	;;#ASMSTART
	v_dot2_f32_f16 v45, v96, v104, v45
	;;#ASMEND
	;;#ASMSTART
	v_dot2_f32_f16 v45, v97, v105, v45
	;;#ASMEND
	;;#ASMSTART
	v_dot2_f32_f16 v45, v98, v106, v45
	;;#ASMEND
	;;#ASMSTART
	v_dot2_f32_f16 v45, v99, v107, v45
	;;#ASMEND
	;;#ASMSTART
	v_dot2_f32_f16 v46, v100, v2, v46
	;;#ASMEND
	;;#ASMSTART
	v_dot2_f32_f16 v46, v101, v3, v46
	;;#ASMEND
	;;#ASMSTART
	v_dot2_f32_f16 v46, v102, v4, v46
	;;#ASMEND
	;;#ASMSTART
	v_dot2_f32_f16 v46, v103, v5, v46
	;;#ASMEND
	;;#ASMSTART
	v_dot2_f32_f16 v47, v100, v104, v47
	;;#ASMEND
	;;#ASMSTART
	v_dot2_f32_f16 v47, v101, v105, v47
	;;#ASMEND
	;;#ASMSTART
	v_dot2_f32_f16 v47, v102, v106, v47
	;;#ASMEND
	;;#ASMSTART
	v_dot2_f32_f16 v47, v103, v107, v47
	;;#ASMEND
	ds_read_b128 v[2:5], v70 offset:48
	ds_read_b128 v[6:9], v69 offset:48
	;; [unrolled: 1-line block ×6, first 2 shown]
	s_waitcnt lgkmcnt(4)
	;;#ASMSTART
	v_dot2_f32_f16 v40, v6, v2, v40
	;;#ASMEND
	;;#ASMSTART
	v_dot2_f32_f16 v40, v7, v3, v40
	;;#ASMEND
	;; [unrolled: 3-line block ×4, first 2 shown]
	s_waitcnt lgkmcnt(0)
	;;#ASMSTART
	v_dot2_f32_f16 v42, v6, v104, v42
	;;#ASMEND
	;;#ASMSTART
	v_dot2_f32_f16 v42, v7, v105, v42
	;;#ASMEND
	;; [unrolled: 3-line block ×28, first 2 shown]
	ds_read_b128 v[2:5], v70 offset:64
	ds_read_b128 v[6:9], v69 offset:64
	;; [unrolled: 1-line block ×6, first 2 shown]
	s_waitcnt lgkmcnt(4)
	;;#ASMSTART
	v_dot2_f32_f16 v40, v6, v2, v40
	;;#ASMEND
	;;#ASMSTART
	v_dot2_f32_f16 v40, v7, v3, v40
	;;#ASMEND
	;; [unrolled: 3-line block ×4, first 2 shown]
	s_waitcnt lgkmcnt(0)
	;;#ASMSTART
	v_dot2_f32_f16 v42, v6, v104, v42
	;;#ASMEND
	;;#ASMSTART
	v_dot2_f32_f16 v42, v7, v105, v42
	;;#ASMEND
	;; [unrolled: 3-line block ×28, first 2 shown]
	ds_read_b128 v[2:5], v70 offset:80
	ds_read_b128 v[6:9], v69 offset:80
	;; [unrolled: 1-line block ×6, first 2 shown]
	s_waitcnt lgkmcnt(4)
	;;#ASMSTART
	v_dot2_f32_f16 v40, v6, v2, v40
	;;#ASMEND
	;;#ASMSTART
	v_dot2_f32_f16 v40, v7, v3, v40
	;;#ASMEND
	;; [unrolled: 3-line block ×4, first 2 shown]
	s_waitcnt lgkmcnt(0)
	;;#ASMSTART
	v_dot2_f32_f16 v42, v6, v104, v42
	;;#ASMEND
	;;#ASMSTART
	v_dot2_f32_f16 v42, v7, v105, v42
	;;#ASMEND
	;;#ASMSTART
	v_dot2_f32_f16 v42, v8, v106, v42
	;;#ASMEND
	;;#ASMSTART
	v_dot2_f32_f16 v42, v9, v107, v42
	;;#ASMEND
	;;#ASMSTART
	v_dot2_f32_f16 v41, v10, v2, v41
	;;#ASMEND
	;;#ASMSTART
	v_dot2_f32_f16 v41, v11, v3, v41
	;;#ASMEND
	;;#ASMSTART
	v_dot2_f32_f16 v41, v12, v4, v41
	;;#ASMEND
	;;#ASMSTART
	v_dot2_f32_f16 v41, v13, v5, v41
	;;#ASMEND
	;;#ASMSTART
	v_dot2_f32_f16 v43, v10, v104, v43
	;;#ASMEND
	;;#ASMSTART
	v_dot2_f32_f16 v43, v11, v105, v43
	;;#ASMEND
	;;#ASMSTART
	v_dot2_f32_f16 v43, v12, v106, v43
	;;#ASMEND
	;;#ASMSTART
	v_dot2_f32_f16 v43, v13, v107, v43
	;;#ASMEND
	;;#ASMSTART
	v_dot2_f32_f16 v44, v96, v2, v44
	;;#ASMEND
	;;#ASMSTART
	v_dot2_f32_f16 v44, v97, v3, v44
	;;#ASMEND
	;;#ASMSTART
	v_dot2_f32_f16 v44, v98, v4, v44
	;;#ASMEND
	;;#ASMSTART
	v_dot2_f32_f16 v44, v99, v5, v44
	;;#ASMEND
	;;#ASMSTART
	v_dot2_f32_f16 v45, v96, v104, v45
	;;#ASMEND
	;;#ASMSTART
	v_dot2_f32_f16 v45, v97, v105, v45
	;;#ASMEND
	;;#ASMSTART
	v_dot2_f32_f16 v45, v98, v106, v45
	;;#ASMEND
	;;#ASMSTART
	v_dot2_f32_f16 v45, v99, v107, v45
	;;#ASMEND
	;;#ASMSTART
	v_dot2_f32_f16 v46, v100, v2, v46
	;;#ASMEND
	;;#ASMSTART
	v_dot2_f32_f16 v46, v101, v3, v46
	;;#ASMEND
	;;#ASMSTART
	v_dot2_f32_f16 v46, v102, v4, v46
	;;#ASMEND
	;;#ASMSTART
	v_dot2_f32_f16 v46, v103, v5, v46
	;;#ASMEND
	;;#ASMSTART
	v_dot2_f32_f16 v47, v100, v104, v47
	;;#ASMEND
	;;#ASMSTART
	v_dot2_f32_f16 v47, v101, v105, v47
	;;#ASMEND
	;;#ASMSTART
	v_dot2_f32_f16 v47, v102, v106, v47
	;;#ASMEND
	;;#ASMSTART
	v_dot2_f32_f16 v47, v103, v107, v47
	;;#ASMEND
	ds_read_b128 v[2:5], v70 offset:96
	ds_read_b128 v[6:9], v69 offset:96
	;; [unrolled: 1-line block ×6, first 2 shown]
	s_waitcnt lgkmcnt(4)
	;;#ASMSTART
	v_dot2_f32_f16 v40, v6, v2, v40
	;;#ASMEND
	;;#ASMSTART
	v_dot2_f32_f16 v40, v7, v3, v40
	;;#ASMEND
	;; [unrolled: 3-line block ×4, first 2 shown]
	s_waitcnt lgkmcnt(0)
	;;#ASMSTART
	v_dot2_f32_f16 v42, v6, v104, v42
	;;#ASMEND
	;;#ASMSTART
	v_dot2_f32_f16 v42, v7, v105, v42
	;;#ASMEND
	;; [unrolled: 3-line block ×28, first 2 shown]
	ds_read_b128 v[2:5], v70 offset:112
	ds_read_b128 v[6:9], v69 offset:112
	;; [unrolled: 1-line block ×6, first 2 shown]
	s_waitcnt lgkmcnt(4)
	;;#ASMSTART
	v_dot2_f32_f16 v40, v6, v2, v40
	;;#ASMEND
	;;#ASMSTART
	v_dot2_f32_f16 v40, v7, v3, v40
	;;#ASMEND
	;; [unrolled: 3-line block ×4, first 2 shown]
	s_waitcnt lgkmcnt(0)
	;;#ASMSTART
	v_dot2_f32_f16 v42, v6, v104, v42
	;;#ASMEND
	;;#ASMSTART
	v_dot2_f32_f16 v42, v7, v105, v42
	;;#ASMEND
	;; [unrolled: 3-line block ×28, first 2 shown]
	flat_load_ushort v96, v[0:1] offset:64
	flat_load_ushort v97, v[0:1]
	flat_load_ushort v98, v[0:1] offset:128
	flat_load_ushort v99, v[0:1] offset:192
	s_addc_u32 s19, s64, s19
	v_mov_b32_e32 v49, s19
	v_mov_b32_e32 v51, s19
	v_mov_b32_e32 v53, s19
	v_mov_b32_e32 v55, s19
	v_addc_co_u32_e64 v14, s[0:1], v49, v31, s[0:1]
	v_addc_co_u32_e64 v15, s[0:1], v51, v33, s[2:3]
	;; [unrolled: 1-line block ×5, first 2 shown]
	v_addc_co_u32_e32 v51, vcc, 0, v15, vcc
	v_addc_co_u32_e64 v49, vcc, 0, v49, s[12:13]
	v_addc_co_u32_e64 v53, vcc, 0, v53, s[14:15]
	s_waitcnt lgkmcnt(0)
	s_barrier
	global_load_dwordx4 v[0:3], v[54:55], off
	global_load_dwordx4 v[4:7], v[50:51], off
	;; [unrolled: 1-line block ×4, first 2 shown]
	s_waitcnt vmcnt(0)
	v_cvt_f32_f16_e32 v49, v96
	v_cvt_f32_f16_e32 v48, v97
	;; [unrolled: 1-line block ×4, first 2 shown]
	v_pk_add_f32 v[50:51], v[42:43], v[48:49]
	v_pk_add_f32 v[42:43], v[44:45], v[52:53] op_sel_hi:[1,0]
	v_pk_add_f32 v[44:45], v[46:47], v[54:55] op_sel_hi:[1,0]
	v_pk_add_f32 v[46:47], v[40:41], v[48:49]
	v_mov_b32_e32 v52, v46
	v_mov_b32_e32 v53, v50
	;; [unrolled: 1-line block ×4, first 2 shown]
	v_pk_add_f32 v[52:53], v[52:53], s[6:7] op_sel_hi:[1,0]
	v_pk_add_f32 v[54:55], v[54:55], s[6:7] op_sel_hi:[1,0]
	;; [unrolled: 1-line block ×4, first 2 shown]
	v_max3_f32 v52, v38, v52, v54
	v_max3_f32 v53, v39, v53, v55
	;; [unrolled: 1-line block ×4, first 2 shown]
	ds_bpermute_b32 v48, v108, v41
	ds_bpermute_b32 v49, v108, v40
	s_waitcnt lgkmcnt(1)
	v_max_f32_e32 v48, v48, v48
	s_waitcnt lgkmcnt(0)
	v_max_f32_e32 v49, v49, v49
	v_max_f32_e32 v41, v41, v48
	v_max_f32_e32 v40, v40, v49
	ds_bpermute_b32 v48, v109, v41
	ds_bpermute_b32 v49, v109, v40
	s_waitcnt lgkmcnt(1)
	v_max_f32_e32 v48, v48, v48
	s_waitcnt lgkmcnt(0)
	v_max_f32_e32 v49, v49, v49
	v_max_f32_e32 v41, v41, v48
	v_max_f32_e32 v40, v40, v49
	;; [unrolled: 8-line block ×5, first 2 shown]
	v_pk_add_f32 v[48:49], v[46:47], v[40:41] op_sel_hi:[1,0] neg_lo:[0,1] neg_hi:[0,1]
	v_pk_add_f32 v[46:47], v[42:43], v[40:41] neg_lo:[0,1] neg_hi:[0,1]
	v_mov_b32_e32 v52, v41
	v_mul_f32_e32 v53, 0x3fb8aa3b, v49
	v_pk_add_f32 v[44:45], v[44:45], v[40:41] neg_lo:[0,1] neg_hi:[0,1]
	v_pk_add_f32 v[42:43], v[38:39], v[40:41] neg_lo:[0,1] neg_hi:[0,1]
	v_mul_f32_e32 v54, 0x3fb8aa3b, v48
	v_mul_f32_e32 v55, 0x3fb8aa3b, v47
	;; [unrolled: 1-line block ×3, first 2 shown]
	v_pk_add_f32 v[50:51], v[50:51], v[52:53] op_sel_hi:[1,0] neg_lo:[0,1] neg_hi:[0,1]
	v_mul_f32_e32 v52, 0x3fb8aa3b, v45
	v_mul_f32_e32 v97, 0x3fb8aa3b, v44
	;; [unrolled: 1-line block ×3, first 2 shown]
	v_fma_f32 v100, v49, s59, -v53
	v_rndne_f32_e32 v101, v53
	v_fma_f32 v102, v48, s59, -v54
	v_rndne_f32_e32 v103, v54
	;; [unrolled: 2-line block ×4, first 2 shown]
	v_mul_f32_e32 v108, 0x3fb8aa3b, v51
	v_mul_f32_e32 v109, 0x3fb8aa3b, v50
	;; [unrolled: 1-line block ×3, first 2 shown]
	v_cmp_ngt_f32_e32 vcc, s65, v48
	v_cmp_ngt_f32_e64 s[0:1], s65, v47
	v_cmp_ngt_f32_e64 s[34:35], s65, v46
	;; [unrolled: 1-line block ×3, first 2 shown]
	v_cmp_nlt_f32_e64 s[14:15], s66, v48
	v_cmp_nlt_f32_e64 s[16:17], s66, v47
	;; [unrolled: 1-line block ×4, first 2 shown]
	v_fma_f32 v110, v45, s59, -v52
	v_rndne_f32_e32 v111, v52
	v_fma_f32 v112, v44, s59, -v97
	v_rndne_f32_e32 v113, v97
	;; [unrolled: 2-line block ×3, first 2 shown]
	v_fmac_f32_e32 v100, 0x32a5705f, v49
	v_sub_f32_e32 v49, v53, v101
	v_cvt_i32_f32_e32 v53, v101
	v_fmac_f32_e32 v102, 0x32a5705f, v48
	v_sub_f32_e32 v48, v54, v103
	v_cvt_i32_f32_e32 v54, v103
	;; [unrolled: 3-line block ×4, first 2 shown]
	v_fma_f32 v101, v51, s59, -v108
	v_rndne_f32_e32 v103, v108
	v_fma_f32 v105, v50, s59, -v109
	v_rndne_f32_e32 v107, v109
	v_cmp_ngt_f32_e64 s[2:3], s65, v45
	v_cmp_ngt_f32_e64 s[8:9], s65, v44
	;; [unrolled: 1-line block ×3, first 2 shown]
	v_cmp_nlt_f32_e64 s[20:21], s66, v45
	v_cmp_nlt_f32_e64 s[22:23], s66, v44
	;; [unrolled: 1-line block ×3, first 2 shown]
	v_fma_f32 v116, v42, s59, -v99
	v_rndne_f32_e32 v117, v99
	v_cmp_ngt_f32_e64 s[36:37], s65, v51
	v_cmp_ngt_f32_e64 s[38:39], s65, v50
	v_cmp_nlt_f32_e64 s[40:41], s66, v50
	v_cmp_nlt_f32_e64 s[42:43], s66, v51
	v_fmac_f32_e32 v110, 0x32a5705f, v45
	v_sub_f32_e32 v45, v52, v111
	v_fmac_f32_e32 v112, 0x32a5705f, v44
	v_sub_f32_e32 v44, v97, v113
	;; [unrolled: 2-line block ×5, first 2 shown]
	v_cmp_ngt_f32_e64 s[12:13], s65, v42
	v_cmp_nlt_f32_e64 s[28:29], s66, v42
	v_fmac_f32_e32 v116, 0x32a5705f, v42
	v_sub_f32_e32 v42, v99, v117
	v_add_f32_e32 v49, v49, v100
	v_add_f32_e32 v48, v48, v102
	;; [unrolled: 1-line block ×9, first 2 shown]
	v_cvt_i32_f32_e32 v52, v111
	v_cvt_i32_f32_e32 v97, v113
	;; [unrolled: 1-line block ×5, first 2 shown]
	v_add_f32_e32 v42, v42, v116
	v_exp_f32_e32 v49, v49
	v_exp_f32_e32 v48, v48
	;; [unrolled: 1-line block ×9, first 2 shown]
	v_cvt_i32_f32_e32 v99, v117
	v_exp_f32_e32 v42, v42
	v_ldexp_f32 v49, v49, v53
	v_ldexp_f32 v48, v48, v54
	;; [unrolled: 1-line block ×10, first 2 shown]
	v_cndmask_b32_e64 v49, 0, v49, s[26:27]
	v_cndmask_b32_e32 v48, 0, v48, vcc
	v_cndmask_b32_e64 v47, 0, v47, s[0:1]
	v_cndmask_b32_e64 v46, 0, v46, s[34:35]
	;; [unrolled: 1-line block ×18, first 2 shown]
	v_cvt_f16_f32_e32 v52, v44
	v_cvt_f16_f32_e32 v53, v42
	;; [unrolled: 1-line block ×8, first 2 shown]
	v_pk_add_f32 v[42:43], v[44:45], v[42:43]
	v_pk_add_f32 v[42:43], v[46:47], v[42:43]
	v_cvt_f16_f32_e32 v244, v50
	v_cvt_f16_f32_e32 v245, v51
	v_pk_add_f32 v[42:43], v[48:49], v[42:43]
	v_pack_b32_f16 v44, v55, v54
	v_pk_fma_f32 v[20:21], v[20:21], v[50:51], v[42:43]
	v_pack_b32_f16 v42, v96, v97
	v_pack_b32_f16 v43, v52, v98
	;; [unrolled: 1-line block ×3, first 2 shown]
	ds_write2_b32 v79, v44, v42 offset0:64 offset1:96
	ds_write2_b32 v79, v43, v45 offset1:32
	ds_write_b128 v72, v[0:3]
	ds_write_b128 v73, v[4:7]
	;; [unrolled: 1-line block ×4, first 2 shown]
	s_waitcnt lgkmcnt(0)
	s_barrier
	ds_read2_b32 v[54:55], v64 offset1:32
	ds_read2_b32 v[156:157], v64 offset0:64 offset1:96
	ds_read2_b32 v[158:159], v64 offset0:128 offset1:160
	ds_read_b128 v[0:3], v71
	ds_read_b128 v[4:7], v71 offset:16
	ds_read2_b32 v[160:161], v64 offset0:192 offset1:224
	ds_read2_b32 v[162:163], v80 offset1:32
	ds_read2_b32 v[164:165], v80 offset0:64 offset1:96
	ds_read2_b32 v[166:167], v80 offset0:128 offset1:160
	ds_read_b128 v[8:11], v71 offset:32
	ds_read_b128 v[12:15], v71 offset:48
	ds_read2_b32 v[168:169], v80 offset0:192 offset1:224
	ds_read2_b32 v[170:171], v81 offset1:32
	ds_read2_b32 v[172:173], v81 offset0:64 offset1:96
	ds_read2_b32 v[174:175], v81 offset0:128 offset1:160
	ds_read_b128 v[42:45], v71 offset:64
	;; [unrolled: 6-line block ×10, first 2 shown]
	ds_read_b128 v[152:155], v71 offset:336
	ds_read2_b32 v[240:241], v90 offset0:192 offset1:224
	ds_read2_b32 v[242:243], v91 offset1:32
	s_waitcnt lgkmcnt(14)
	v_pk_mul_f16 v246, v54, v0 op_sel_hi:[1,0]
	v_pk_mul_f16 v0, v54, v0 op_sel:[0,1]
	v_pk_fma_f16 v88, v244, v88, v246 op_sel_hi:[0,1,1]
	v_pk_fma_f16 v0, v58, v245, v0 op_sel_hi:[1,0,1]
	;; [unrolled: 1-line block ×3, first 2 shown]
	v_pk_fma_f16 v0, v55, v1, v0 op_sel:[0,1,0]
	v_pk_fma_f16 v1, v156, v2, v58 op_sel_hi:[1,0,1]
	v_pk_fma_f16 v0, v156, v2, v0 op_sel:[0,1,0]
	v_pk_fma_f16 v58, v157, v3, v1 op_sel_hi:[1,0,1]
	;; [unrolled: 2-line block ×68, first 2 shown]
	v_pk_fma_f16 v88, v223, v137, v88 op_sel:[0,1,0]
	s_waitcnt lgkmcnt(13)
	v_pk_fma_f16 v58, v224, v138, v58 op_sel_hi:[1,0,1]
	v_pk_fma_f16 v88, v224, v138, v88 op_sel:[0,1,0]
	v_pk_fma_f16 v58, v225, v139, v58 op_sel_hi:[1,0,1]
	v_pk_fma_f16 v88, v225, v139, v88 op_sel:[0,1,0]
	s_waitcnt lgkmcnt(9)
	v_pk_fma_f16 v58, v226, v140, v58 op_sel_hi:[1,0,1]
	v_pk_fma_f16 v88, v226, v140, v88 op_sel:[0,1,0]
	v_pk_fma_f16 v58, v227, v141, v58 op_sel_hi:[1,0,1]
	v_pk_fma_f16 v88, v227, v141, v88 op_sel:[0,1,0]
	;; [unrolled: 2-line block ×4, first 2 shown]
	s_waitcnt lgkmcnt(8)
	v_pk_fma_f16 v58, v230, v144, v58 op_sel_hi:[1,0,1]
	v_pk_fma_f16 v88, v230, v144, v88 op_sel:[0,1,0]
	v_pk_fma_f16 v58, v231, v145, v58 op_sel_hi:[1,0,1]
	v_pk_fma_f16 v88, v231, v145, v88 op_sel:[0,1,0]
	s_waitcnt lgkmcnt(7)
	v_pk_fma_f16 v58, v232, v146, v58 op_sel_hi:[1,0,1]
	v_pk_fma_f16 v88, v232, v146, v88 op_sel:[0,1,0]
	v_pk_fma_f16 v58, v233, v147, v58 op_sel_hi:[1,0,1]
	v_pk_fma_f16 v88, v233, v147, v88 op_sel:[0,1,0]
	;; [unrolled: 5-line block ×3, first 2 shown]
	v_pk_fma_f16 v58, v236, v150, v58 op_sel_hi:[1,0,1]
	v_pk_fma_f16 v88, v236, v150, v88 op_sel:[0,1,0]
	ds_read_b128 v[0:3], v71 offset:352
	ds_read_b128 v[156:159], v71 offset:368
	v_pk_fma_f16 v58, v237, v151, v58 op_sel_hi:[1,0,1]
	v_pk_fma_f16 v88, v237, v151, v88 op_sel:[0,1,0]
	s_waitcnt lgkmcnt(4)
	v_pk_fma_f16 v58, v238, v152, v58 op_sel_hi:[1,0,1]
	v_pk_fma_f16 v88, v238, v152, v88 op_sel:[0,1,0]
	ds_read2_b32 v[244:245], v91 offset0:64 offset1:96
	v_pk_fma_f16 v58, v239, v153, v58 op_sel_hi:[1,0,1]
	v_pk_fma_f16 v88, v239, v153, v88 op_sel:[0,1,0]
	s_waitcnt lgkmcnt(4)
	v_pk_fma_f16 v58, v240, v154, v58 op_sel_hi:[1,0,1]
	v_pk_fma_f16 v88, v240, v154, v88 op_sel:[0,1,0]
	ds_read2_b32 v[54:55], v91 offset0:128 offset1:160
	v_pk_fma_f16 v58, v241, v155, v58 op_sel_hi:[1,0,1]
	v_pk_fma_f16 v88, v241, v155, v88 op_sel:[0,1,0]
	s_waitcnt lgkmcnt(3)
	v_pk_fma_f16 v58, v242, v0, v58 op_sel_hi:[1,0,1]
	v_pk_fma_f16 v0, v242, v0, v88 op_sel:[0,1,0]
	v_pk_fma_f16 v58, v243, v1, v58 op_sel_hi:[1,0,1]
	v_pk_fma_f16 v0, v243, v1, v0 op_sel:[0,1,0]
	s_waitcnt lgkmcnt(1)
	v_pk_fma_f16 v1, v244, v2, v58 op_sel_hi:[1,0,1]
	v_pk_fma_f16 v0, v244, v2, v0 op_sel:[0,1,0]
	ds_read2_b32 v[160:161], v91 offset0:192 offset1:224
	ds_read2_b32 v[246:247], v92 offset1:32
	ds_read2_b32 v[248:249], v92 offset0:64 offset1:96
	ds_read_b128 v[4:7], v71 offset:384
	ds_read_b128 v[8:11], v71 offset:400
	v_pk_fma_f16 v1, v245, v3, v1 op_sel_hi:[1,0,1]
	v_pk_fma_f16 v0, v245, v3, v0 op_sel:[0,1,0]
	s_waitcnt lgkmcnt(5)
	v_pk_fma_f16 v1, v54, v156, v1 op_sel_hi:[1,0,1]
	v_pk_fma_f16 v0, v54, v156, v0 op_sel:[0,1,0]
	v_pk_fma_f16 v1, v55, v157, v1 op_sel_hi:[1,0,1]
	v_pk_fma_f16 v0, v55, v157, v0 op_sel:[0,1,0]
	s_waitcnt lgkmcnt(4)
	v_pk_fma_f16 v1, v160, v158, v1 op_sel_hi:[1,0,1]
	v_pk_fma_f16 v0, v160, v158, v0 op_sel:[0,1,0]
	ds_read2_b32 v[162:163], v92 offset0:128 offset1:160
	v_pk_fma_f16 v1, v161, v159, v1 op_sel_hi:[1,0,1]
	v_pk_fma_f16 v0, v161, v159, v0 op_sel:[0,1,0]
	s_waitcnt lgkmcnt(2)
	v_pk_fma_f16 v1, v246, v4, v1 op_sel_hi:[1,0,1]
	v_pk_fma_f16 v0, v246, v4, v0 op_sel:[0,1,0]
	v_pk_fma_f16 v1, v247, v5, v1 op_sel_hi:[1,0,1]
	v_pk_fma_f16 v0, v247, v5, v0 op_sel:[0,1,0]
	v_pk_fma_f16 v1, v248, v6, v1 op_sel_hi:[1,0,1]
	v_pk_fma_f16 v0, v248, v6, v0 op_sel:[0,1,0]
	ds_read2_b32 v[164:165], v92 offset0:192 offset1:224
	ds_read2_b32 v[166:167], v93 offset1:32
	ds_read2_b32 v[168:169], v93 offset0:64 offset1:96
	ds_read_b128 v[12:15], v71 offset:416
	ds_read_b128 v[42:45], v71 offset:432
	v_pk_fma_f16 v1, v249, v7, v1 op_sel_hi:[1,0,1]
	v_pk_fma_f16 v0, v249, v7, v0 op_sel:[0,1,0]
	s_waitcnt lgkmcnt(5)
	v_pk_fma_f16 v1, v162, v8, v1 op_sel_hi:[1,0,1]
	v_pk_fma_f16 v0, v162, v8, v0 op_sel:[0,1,0]
	v_pk_fma_f16 v1, v163, v9, v1 op_sel_hi:[1,0,1]
	v_pk_fma_f16 v0, v163, v9, v0 op_sel:[0,1,0]
	s_waitcnt lgkmcnt(4)
	v_pk_fma_f16 v1, v164, v10, v1 op_sel_hi:[1,0,1]
	v_pk_fma_f16 v0, v164, v10, v0 op_sel:[0,1,0]
	ds_read2_b32 v[170:171], v93 offset0:128 offset1:160
	v_pk_fma_f16 v1, v165, v11, v1 op_sel_hi:[1,0,1]
	v_pk_fma_f16 v0, v165, v11, v0 op_sel:[0,1,0]
	s_waitcnt lgkmcnt(2)
	v_pk_fma_f16 v1, v166, v12, v1 op_sel_hi:[1,0,1]
	v_pk_fma_f16 v0, v166, v12, v0 op_sel:[0,1,0]
	v_pk_fma_f16 v1, v167, v13, v1 op_sel_hi:[1,0,1]
	v_pk_fma_f16 v0, v167, v13, v0 op_sel:[0,1,0]
	;; [unrolled: 25-line block ×3, first 2 shown]
	v_pk_fma_f16 v1, v176, v48, v1 op_sel_hi:[1,0,1]
	v_pk_fma_f16 v0, v176, v48, v0 op_sel:[0,1,0]
	ds_read2_b32 v[180:181], v94 offset0:192 offset1:224
	ds_read2_b32 v[182:183], v95 offset1:32
	ds_read2_b32 v[184:185], v95 offset0:64 offset1:96
	ds_read_b128 v[96:99], v71 offset:480
	ds_read_b128 v[100:103], v71 offset:496
	v_pk_fma_f16 v1, v177, v49, v1 op_sel_hi:[1,0,1]
	v_pk_fma_f16 v0, v177, v49, v0 op_sel:[0,1,0]
	s_waitcnt lgkmcnt(5)
	v_pk_fma_f16 v1, v178, v50, v1 op_sel_hi:[1,0,1]
	v_pk_fma_f16 v0, v178, v50, v0 op_sel:[0,1,0]
	v_pk_fma_f16 v1, v179, v51, v1 op_sel_hi:[1,0,1]
	v_pk_fma_f16 v0, v179, v51, v0 op_sel:[0,1,0]
	s_waitcnt lgkmcnt(4)
	v_pk_fma_f16 v1, v180, v52, v1 op_sel_hi:[1,0,1]
	v_pk_fma_f16 v0, v180, v52, v0 op_sel:[0,1,0]
	ds_read2_b32 v[186:187], v95 offset0:128 offset1:160
	v_pk_fma_f16 v1, v181, v53, v1 op_sel_hi:[1,0,1]
	v_pk_fma_f16 v0, v181, v53, v0 op_sel:[0,1,0]
	ds_read2_b32 v[104:105], v95 offset0:192 offset1:224
	s_waitcnt lgkmcnt(0)
	s_barrier
	s_load_dword s0, s[46:47], 0x4
	v_pk_fma_f16 v1, v182, v96, v1 op_sel_hi:[1,0,1]
	v_pk_fma_f16 v0, v182, v96, v0 op_sel:[0,1,0]
	v_pk_fma_f16 v1, v183, v97, v1 op_sel_hi:[1,0,1]
	v_pk_fma_f16 v0, v183, v97, v0 op_sel:[0,1,0]
	;; [unrolled: 2-line block ×5, first 2 shown]
	s_waitcnt lgkmcnt(0)
	s_lshl_b32 s0, s0, 7
	v_pk_fma_f16 v1, v187, v101, v1 op_sel_hi:[1,0,1]
	v_pk_fma_f16 v0, v187, v101, v0 op_sel:[0,1,0]
	s_add_i32 s52, s0, s52
	v_pk_fma_f16 v1, v104, v102, v1 op_sel_hi:[1,0,1]
	v_pk_fma_f16 v0, v104, v102, v0 op_sel:[0,1,0]
	v_mov_b32_e32 v38, v40
	v_mov_b32_e32 v39, v41
	s_cmp_ge_i32 s52, s56
	v_pk_fma_f16 v88, v105, v103, v1 op_sel_hi:[1,0,1]
	v_pk_fma_f16 v58, v105, v103, v0 op_sel:[0,1,0]
	s_cbranch_scc0 .LBB9_9
.LBB9_10:
	v_cmp_lt_i32_e32 vcc, v63, v57
	v_cndmask_b32_e32 v0, v19, v63, vcc
	v_lshlrev_b32_e32 v1, 2, v0
	ds_bpermute_b32 v0, v1, v20
	ds_bpermute_b32 v1, v1, v21
	v_cmp_lt_i32_e32 vcc, v62, v57
	v_cndmask_b32_e32 v2, v19, v62, vcc
	v_lshlrev_b32_e32 v3, 2, v2
	v_cmp_lt_i32_e32 vcc, v61, v57
	s_waitcnt lgkmcnt(0)
	v_pk_add_f32 v[0:1], v[20:21], v[0:1]
	ds_bpermute_b32 v2, v3, v0
	ds_bpermute_b32 v3, v3, v1
	v_cndmask_b32_e32 v4, v19, v61, vcc
	v_lshlrev_b32_e32 v4, 2, v4
	v_cmp_lt_i32_e32 vcc, v60, v57
	s_cmp_lg_u64 s[44:45], 0
	s_waitcnt lgkmcnt(0)
	v_pk_add_f32 v[0:1], v[0:1], v[2:3]
	ds_bpermute_b32 v2, v4, v0
	ds_bpermute_b32 v3, v4, v1
	v_cndmask_b32_e32 v4, v19, v60, vcc
	v_lshlrev_b32_e32 v4, 2, v4
	v_cmp_lt_i32_e32 vcc, v59, v57
	s_cselect_b64 s[0:1], -1, 0
	s_waitcnt lgkmcnt(0)
	v_pk_add_f32 v[0:1], v[0:1], v[2:3]
	ds_bpermute_b32 v2, v4, v0
	ds_bpermute_b32 v3, v4, v1
	v_cndmask_b32_e32 v4, v19, v59, vcc
	v_lshlrev_b32_e32 v4, 2, v4
	s_cmp_eq_u32 s7, 0
	s_cselect_b64 s[2:3], -1, 0
	s_waitcnt lgkmcnt(0)
	v_pk_add_f32 v[0:1], v[0:1], v[2:3]
	ds_bpermute_b32 v2, v4, v0
	ds_bpermute_b32 v3, v4, v1
	s_and_b64 s[0:1], s[2:3], s[0:1]
	v_lshlrev_b32_e32 v5, 1, v16
	s_and_b64 vcc, exec, s[0:1]
	s_waitcnt lgkmcnt(0)
	v_pk_add_f32 v[0:1], v[0:1], v[2:3]
	s_cbranch_vccz .LBB9_12
; %bb.11:
	v_add_u32_e32 v2, s57, v56
	v_ashrrev_i32_e32 v3, 31, v2
	v_lshlrev_b64 v[2:3], 2, v[2:3]
	v_mov_b32_e32 v4, s45
	v_add_co_u32_e32 v2, vcc, s44, v2
	v_addc_co_u32_e32 v3, vcc, v4, v3, vcc
	global_load_dwordx2 v[2:3], v[2:3], off
	v_max_f32_e32 v4, v41, v41
	v_max_f32_e32 v6, v40, v40
	s_mov_b32 s0, 0x3fb8aa3b
	s_mov_b32 s1, 0xc2ce8ed0
	;; [unrolled: 1-line block ×3, first 2 shown]
	v_mov_b32_e32 v10, 0x7f800000
	s_waitcnt vmcnt(0)
	v_max_f32_e32 v7, v3, v3
	v_max_f32_e32 v8, v2, v2
	;; [unrolled: 1-line block ×4, first 2 shown]
	v_pk_add_f32 v[8:9], v[40:41], v[6:7] neg_lo:[0,1] neg_hi:[0,1]
	v_mul_f32_e32 v4, 0x3fb8aa3b, v9
	v_pk_add_f32 v[2:3], v[2:3], v[6:7] neg_lo:[0,1] neg_hi:[0,1]
	v_mul_f32_e32 v11, 0x3fb8aa3b, v8
	v_fma_f32 v14, v9, s0, -v4
	v_rndne_f32_e32 v15, v4
	v_mul_f32_e32 v12, 0x3fb8aa3b, v3
	v_fma_f32 v18, v8, s0, -v11
	v_rndne_f32_e32 v19, v11
	v_fmac_f32_e32 v14, 0x32a5705f, v9
	v_sub_f32_e32 v4, v4, v15
	v_mul_f32_e32 v13, 0x3fb8aa3b, v2
	v_fma_f32 v20, v3, s0, -v12
	v_rndne_f32_e32 v21, v12
	v_fmac_f32_e32 v18, 0x32a5705f, v8
	v_sub_f32_e32 v11, v11, v19
	v_add_f32_e32 v4, v4, v14
	v_fma_f32 v22, v2, s0, -v13
	v_rndne_f32_e32 v23, v13
	v_cvt_i32_f32_e32 v15, v15
	v_fmac_f32_e32 v20, 0x32a5705f, v3
	v_sub_f32_e32 v12, v12, v21
	v_add_f32_e32 v11, v11, v18
	v_exp_f32_e32 v4, v4
	v_cvt_i32_f32_e32 v19, v19
	v_fmac_f32_e32 v22, 0x32a5705f, v2
	v_sub_f32_e32 v13, v13, v23
	v_add_f32_e32 v12, v12, v20
	v_exp_f32_e32 v11, v11
	v_cvt_i32_f32_e32 v21, v21
	v_add_f32_e32 v13, v13, v22
	v_exp_f32_e32 v12, v12
	v_cvt_i32_f32_e32 v23, v23
	v_exp_f32_e32 v13, v13
	v_ldexp_f32 v4, v4, v15
	v_cmp_ngt_f32_e32 vcc, s1, v9
	v_ldexp_f32 v11, v11, v19
	v_cndmask_b32_e32 v4, 0, v4, vcc
	v_cmp_ngt_f32_e32 vcc, s1, v8
	v_ldexp_f32 v12, v12, v21
	v_cndmask_b32_e32 v11, 0, v11, vcc
	;; [unrolled: 3-line block ×3, first 2 shown]
	v_cmp_ngt_f32_e32 vcc, s1, v2
	v_cndmask_b32_e32 v13, 0, v13, vcc
	v_cmp_nlt_f32_e32 vcc, s2, v9
	v_cndmask_b32_e32 v9, v10, v4, vcc
	v_cmp_nlt_f32_e32 vcc, s2, v8
	v_cndmask_b32_e32 v8, v10, v11, vcc
	v_cvt_f16_f32_e32 v4, v8
	v_cvt_f16_f32_e32 v11, v9
	v_cmp_nlt_f32_e32 vcc, s2, v3
	v_cndmask_b32_e32 v3, v10, v12, vcc
	v_cmp_nlt_f32_e32 vcc, s2, v2
	v_cndmask_b32_e32 v2, v10, v13, vcc
	v_pk_fma_f32 v[0:1], v[0:1], v[8:9], v[2:3]
	v_pk_mul_f16 v88, v88, v4 op_sel_hi:[1,0]
	v_pk_mul_f16 v58, v58, v11 op_sel_hi:[1,0]
	v_pk_mov_b32 v[40:41], v[6:7], v[6:7] op_sel:[0,1]
.LBB9_12:
	v_cmp_gt_i32_e32 vcc, s54, v17
	s_and_saveexec_b64 s[0:1], vcc
	s_cbranch_execz .LBB9_21
; %bb.13:
	s_load_dword s6, s[4:5], 0xd4
	v_mov_b32_e32 v4, 1.0
	s_waitcnt lgkmcnt(0)
	s_cmp_lg_u32 s6, 1
	s_cselect_b64 s[0:1], -1, 0
	s_cmp_eq_u32 s6, 1
	s_cselect_b64 s[2:3], -1, 0
	s_and_b64 vcc, exec, s[0:1]
	s_cbranch_vccnz .LBB9_15
; %bb.14:
	v_div_scale_f32 v2, s[4:5], v0, v0, 1.0
	v_rcp_f32_e32 v3, v2
	v_div_scale_f32 v4, vcc, 1.0, v0, 1.0
	v_fma_f32 v6, -v2, v3, 1.0
	v_fmac_f32_e32 v3, v6, v3
	v_mul_f32_e32 v6, v4, v3
	v_fma_f32 v7, -v2, v6, v4
	v_fmac_f32_e32 v6, v7, v3
	v_fma_f32 v2, -v2, v6, v4
	v_div_fmas_f32 v2, v2, v3, v6
	v_div_fixup_f32 v4, v2, v0, 1.0
.LBB9_15:
	s_mul_i32 s33, s33, s54
	v_add_u32_e32 v2, s33, v17
	v_mul_lo_u32 v2, v2, s55
	v_add3_u32 v2, s57, v56, v2
	v_mul_lo_u32 v2, s6, v2
	v_add_u32_e32 v2, s7, v2
	v_cvt_f32_f16_sdwa v9, v88 dst_sel:DWORD dst_unused:UNUSED_PAD src0_sel:WORD_1
	v_cvt_f32_f16_e32 v8, v88
	v_lshl_add_u32 v6, v2, 6, v5
	v_mov_b32_e32 v7, 0
	v_cmp_eq_u32_e32 vcc, 0, v16
	v_lshlrev_b64 v[6:7], 2, v[6:7]
	s_and_b64 s[0:1], vcc, s[0:1]
	v_mov_b32_e32 v3, s49
	v_add_co_u32_e32 v6, vcc, s48, v6
	v_addc_co_u32_e32 v7, vcc, v3, v7, vcc
	v_pk_mul_f32 v[8:9], v[4:5], v[8:9] op_sel_hi:[0,1]
	global_store_dwordx2 v[6:7], v[8:9], off
	s_and_saveexec_b64 s[4:5], s[0:1]
	s_cbranch_execz .LBB9_17
; %bb.16:
	v_ashrrev_i32_e32 v3, 31, v2
	v_lshlrev_b64 v[6:7], 3, v[2:3]
	v_mov_b32_e32 v3, s51
	v_add_co_u32_e32 v6, vcc, s50, v6
	v_addc_co_u32_e32 v7, vcc, v3, v7, vcc
	v_mov_b32_e32 v8, v40
	v_mov_b32_e32 v9, v0
	global_store_dwordx2 v[6:7], v[8:9], off
.LBB9_17:
	s_or_b64 exec, exec, s[4:5]
	s_andn2_b64 vcc, exec, s[2:3]
	v_mov_b32_e32 v0, 1.0
	s_cbranch_vccnz .LBB9_19
; %bb.18:
	v_div_scale_f32 v0, s[2:3], v1, v1, 1.0
	v_rcp_f32_e32 v3, v0
	v_div_scale_f32 v4, vcc, 1.0, v1, 1.0
	v_fma_f32 v6, -v0, v3, 1.0
	v_fmac_f32_e32 v3, v6, v3
	v_mul_f32_e32 v6, v4, v3
	v_fma_f32 v7, -v0, v6, v4
	v_fmac_f32_e32 v6, v7, v3
	v_fma_f32 v0, -v0, v6, v4
	v_div_fmas_f32 v0, v0, v3, v6
	v_div_fixup_f32 v0, v0, v1, 1.0
.LBB9_19:
	v_add_u32_e32 v2, s6, v2
	v_cvt_f32_f16_sdwa v7, v58 dst_sel:DWORD dst_unused:UNUSED_PAD src0_sel:WORD_1
	v_cvt_f32_f16_e32 v6, v58
	v_lshl_add_u32 v4, v2, 6, v5
	v_mov_b32_e32 v5, 0
	v_lshlrev_b64 v[4:5], 2, v[4:5]
	v_mov_b32_e32 v3, s49
	v_add_co_u32_e32 v4, vcc, s48, v4
	v_addc_co_u32_e32 v5, vcc, v3, v5, vcc
	v_pk_mul_f32 v[6:7], v[0:1], v[6:7] op_sel_hi:[0,1]
	global_store_dwordx2 v[4:5], v[6:7], off
	s_and_b64 exec, exec, s[0:1]
	s_cbranch_execz .LBB9_21
; %bb.20:
	v_ashrrev_i32_e32 v3, 31, v2
	v_lshlrev_b64 v[2:3], 3, v[2:3]
	v_mov_b32_e32 v0, s51
	v_add_co_u32_e32 v2, vcc, s50, v2
	v_addc_co_u32_e32 v3, vcc, v0, v3, vcc
	v_mov_b32_e32 v0, v41
	global_store_dwordx2 v[2:3], v[0:1], off
.LBB9_21:
	s_endpgm
	.section	.rodata,"a",@progbits
	.p2align	6, 0x0
	.amdhsa_kernel _ZL15flash_attn_tileILi64ELi64ELi2ELi8ELb0EEvPKcS1_S1_S1_S1_PKiPfP15HIP_vector_typeIfLj2EEffffjfiS5_IjLj3EEiiiiiiiiiiiliiliiiiil
		.amdhsa_group_segment_fixed_size 24576
		.amdhsa_private_segment_fixed_size 0
		.amdhsa_kernarg_size 464
		.amdhsa_user_sgpr_count 6
		.amdhsa_user_sgpr_private_segment_buffer 1
		.amdhsa_user_sgpr_dispatch_ptr 0
		.amdhsa_user_sgpr_queue_ptr 0
		.amdhsa_user_sgpr_kernarg_segment_ptr 1
		.amdhsa_user_sgpr_dispatch_id 0
		.amdhsa_user_sgpr_flat_scratch_init 0
		.amdhsa_user_sgpr_kernarg_preload_length 0
		.amdhsa_user_sgpr_kernarg_preload_offset 0
		.amdhsa_user_sgpr_private_segment_size 0
		.amdhsa_uses_dynamic_stack 0
		.amdhsa_system_sgpr_private_segment_wavefront_offset 0
		.amdhsa_system_sgpr_workgroup_id_x 1
		.amdhsa_system_sgpr_workgroup_id_y 1
		.amdhsa_system_sgpr_workgroup_id_z 1
		.amdhsa_system_sgpr_workgroup_info 0
		.amdhsa_system_vgpr_workitem_id 1
		.amdhsa_next_free_vgpr 250
		.amdhsa_next_free_sgpr 67
		.amdhsa_accum_offset 252
		.amdhsa_reserve_vcc 1
		.amdhsa_reserve_flat_scratch 0
		.amdhsa_float_round_mode_32 0
		.amdhsa_float_round_mode_16_64 0
		.amdhsa_float_denorm_mode_32 3
		.amdhsa_float_denorm_mode_16_64 3
		.amdhsa_dx10_clamp 1
		.amdhsa_ieee_mode 1
		.amdhsa_fp16_overflow 0
		.amdhsa_tg_split 0
		.amdhsa_exception_fp_ieee_invalid_op 0
		.amdhsa_exception_fp_denorm_src 0
		.amdhsa_exception_fp_ieee_div_zero 0
		.amdhsa_exception_fp_ieee_overflow 0
		.amdhsa_exception_fp_ieee_underflow 0
		.amdhsa_exception_fp_ieee_inexact 0
		.amdhsa_exception_int_div_zero 0
	.end_amdhsa_kernel
	.section	.text._ZL15flash_attn_tileILi64ELi64ELi2ELi8ELb0EEvPKcS1_S1_S1_S1_PKiPfP15HIP_vector_typeIfLj2EEffffjfiS5_IjLj3EEiiiiiiiiiiiliiliiiiil,"axG",@progbits,_ZL15flash_attn_tileILi64ELi64ELi2ELi8ELb0EEvPKcS1_S1_S1_S1_PKiPfP15HIP_vector_typeIfLj2EEffffjfiS5_IjLj3EEiiiiiiiiiiiliiliiiiil,comdat
.Lfunc_end9:
	.size	_ZL15flash_attn_tileILi64ELi64ELi2ELi8ELb0EEvPKcS1_S1_S1_S1_PKiPfP15HIP_vector_typeIfLj2EEffffjfiS5_IjLj3EEiiiiiiiiiiiliiliiiiil, .Lfunc_end9-_ZL15flash_attn_tileILi64ELi64ELi2ELi8ELb0EEvPKcS1_S1_S1_S1_PKiPfP15HIP_vector_typeIfLj2EEffffjfiS5_IjLj3EEiiiiiiiiiiiliiliiiiil
                                        ; -- End function
	.section	.AMDGPU.csdata,"",@progbits
; Kernel info:
; codeLenInByte = 10364
; NumSgprs: 71
; NumVgprs: 250
; NumAgprs: 0
; TotalNumVgprs: 250
; ScratchSize: 0
; MemoryBound: 0
; FloatMode: 240
; IeeeMode: 1
; LDSByteSize: 24576 bytes/workgroup (compile time only)
; SGPRBlocks: 8
; VGPRBlocks: 31
; NumSGPRsForWavesPerEU: 71
; NumVGPRsForWavesPerEU: 250
; AccumOffset: 252
; Occupancy: 2
; WaveLimiterHint : 1
; COMPUTE_PGM_RSRC2:SCRATCH_EN: 0
; COMPUTE_PGM_RSRC2:USER_SGPR: 6
; COMPUTE_PGM_RSRC2:TRAP_HANDLER: 0
; COMPUTE_PGM_RSRC2:TGID_X_EN: 1
; COMPUTE_PGM_RSRC2:TGID_Y_EN: 1
; COMPUTE_PGM_RSRC2:TGID_Z_EN: 1
; COMPUTE_PGM_RSRC2:TIDIG_COMP_CNT: 1
; COMPUTE_PGM_RSRC3_GFX90A:ACCUM_OFFSET: 62
; COMPUTE_PGM_RSRC3_GFX90A:TG_SPLIT: 0
	.section	.text._ZL25flash_attn_mask_to_KV_maxILi2EEvPK7__half2Piiii,"axG",@progbits,_ZL25flash_attn_mask_to_KV_maxILi2EEvPK7__half2Piiii,comdat
	.globl	_ZL25flash_attn_mask_to_KV_maxILi2EEvPK7__half2Piiii ; -- Begin function _ZL25flash_attn_mask_to_KV_maxILi2EEvPK7__half2Piiii
	.p2align	8
	.type	_ZL25flash_attn_mask_to_KV_maxILi2EEvPK7__half2Piiii,@function
_ZL25flash_attn_mask_to_KV_maxILi2EEvPK7__half2Piiii: ; @_ZL25flash_attn_mask_to_KV_maxILi2EEvPK7__half2Piiii
; %bb.0:
	s_load_dwordx4 s[8:11], s[4:5], 0x0
	v_cmp_gt_u32_e32 vcc, 32, v0
	s_and_saveexec_b64 s[0:1], vcc
	s_cbranch_execz .LBB10_2
; %bb.1:
	v_lshlrev_b32_e32 v1, 2, v0
	v_mov_b32_e32 v2, 1
	ds_write_b32 v1, v2
.LBB10_2:
	s_or_b64 exec, exec, s[0:1]
	s_load_dwordx4 s[12:15], s[4:5], 0x10
	s_load_dword s16, s[4:5], 0x20
	v_and_b32_e32 v2, 31, v0
	v_lshlrev_b32_e32 v4, 2, v2
	v_lshrrev_b32_e32 v1, 3, v0
	s_waitcnt lgkmcnt(0)
	s_mul_i32 s1, s6, s13
	s_mul_i32 s0, s7, s14
	s_lshl_b32 s1, s1, 1
	s_add_i32 s0, s0, s1
	s_ashr_i32 s1, s0, 31
	s_lshl_b64 s[0:1], s[0:1], 2
	s_add_u32 s17, s8, s0
	s_addc_u32 s18, s9, s1
	v_cmp_eq_u32_e64 s[0:1], 0, v2
	v_mbcnt_lo_u32_b32 v2, -1, 0
	v_mbcnt_hi_u32_b32 v5, -1, v2
	v_and_b32_e32 v2, 0x60, v5
	s_lshl_b32 s12, s12, 8
	s_mov_b64 s[4:5], 0
	v_mov_b32_e32 v3, 0
	s_movk_i32 s19, 0x204
	s_movk_i32 s20, 0x7fff
	;; [unrolled: 1-line block ×3, first 2 shown]
	v_add_u32_e32 v6, 32, v2
	v_xor_b32_e32 v7, 16, v5
	v_xor_b32_e32 v8, 8, v5
	;; [unrolled: 1-line block ×5, first 2 shown]
	s_barrier
	s_waitcnt lgkmcnt(0)
                                        ; implicit-def: $sgpr2_sgpr3
	s_branch .LBB10_5
.LBB10_3:                               ;   in Loop: Header=BB10_5 Depth=1
	s_or_b64 exec, exec, s[8:9]
	s_waitcnt lgkmcnt(0)
	s_barrier
	ds_read_b32 v16, v4
	s_waitcnt lgkmcnt(0)
	s_barrier
	ds_bpermute_b32 v2, v2, v16
	v_cmp_ne_u32_e32 vcc, 0, v16
	s_waitcnt lgkmcnt(0)
	v_cmp_ne_u32_e64 s[2:3], 0, v2
	s_and_b64 s[2:3], vcc, s[2:3]
	v_cndmask_b32_e64 v2, 0, 1, s[2:3]
	ds_bpermute_b32 v2, v12, v2
	s_waitcnt lgkmcnt(0)
	v_cmp_ne_u32_e32 vcc, 0, v2
	s_and_b64 s[2:3], vcc, s[2:3]
	v_cndmask_b32_e64 v2, 0, 1, s[2:3]
	ds_bpermute_b32 v2, v13, v2
	s_waitcnt lgkmcnt(0)
	v_cmp_ne_u32_e32 vcc, 0, v2
	;; [unrolled: 5-line block ×3, first 2 shown]
	s_and_b64 s[2:3], vcc, s[2:3]
	v_cndmask_b32_e64 v2, 0, 1, s[2:3]
	ds_bpermute_b32 v2, v15, v2
	s_xor_b64 s[2:3], s[2:3], -1
	s_waitcnt lgkmcnt(0)
	v_cmp_eq_u32_e32 vcc, 0, v2
	s_or_b64 s[2:3], vcc, s[2:3]
.LBB10_4:                               ;   in Loop: Header=BB10_5 Depth=1
	s_and_b64 s[8:9], exec, s[2:3]
	s_or_b64 s[4:5], s[8:9], s[4:5]
	v_mov_b32_e32 v2, s12
	s_mov_b32 s12, s22
	s_andn2_b64 exec, exec, s[4:5]
	s_cbranch_execz .LBB10_12
.LBB10_5:                               ; =>This Inner Loop Header: Depth=1
	s_add_i32 s22, s12, 0xffffff00
	s_or_b64 s[2:3], s[2:3], exec
	s_cmp_lt_i32 s22, 0
	s_cbranch_scc1 .LBB10_4
; %bb.6:                                ;   in Loop: Header=BB10_5 Depth=1
	s_lshr_b32 s2, s22, 1
	v_add_u32_e32 v2, s2, v0
	v_lshlrev_b64 v[12:13], 2, v[2:3]
	v_mov_b32_e32 v14, s18
	v_add_co_u32_e32 v12, vcc, s17, v12
	v_addc_co_u32_e32 v13, vcc, v14, v13, vcc
	global_load_dword v12, v[12:13], off
	s_mov_b64 s[8:9], 0
	s_waitcnt vmcnt(0)
	v_cmp_class_f16_e64 s[2:3], v12, s19
	v_and_b32_sdwa v12, s20, v12 dst_sel:DWORD dst_unused:UNUSED_PAD src0_sel:DWORD src1_sel:WORD_1
	v_cmp_eq_f16_e32 vcc, s21, v12
	s_and_b64 s[14:15], s[2:3], vcc
	s_and_saveexec_b64 s[2:3], s[14:15]
	s_cbranch_execz .LBB10_10
; %bb.7:                                ;   in Loop: Header=BB10_5 Depth=1
	v_add_u32_e32 v12, s13, v2
	v_ashrrev_i32_e32 v13, 31, v12
	v_lshlrev_b64 v[12:13], 2, v[12:13]
	v_mov_b32_e32 v2, s18
	v_add_co_u32_e32 v12, vcc, s17, v12
	v_addc_co_u32_e32 v13, vcc, v2, v13, vcc
	global_load_dword v2, v[12:13], off
	s_waitcnt vmcnt(0)
	v_cmp_class_f16_e64 s[24:25], v2, s19
	s_and_saveexec_b64 s[14:15], s[24:25]
; %bb.8:                                ;   in Loop: Header=BB10_5 Depth=1
	v_cmp_class_f16_sdwa s[8:9], v2, s19 src0_sel:WORD_1 src1_sel:DWORD
	s_and_b64 s[8:9], s[8:9], exec
; %bb.9:                                ;   in Loop: Header=BB10_5 Depth=1
	s_or_b64 exec, exec, s[14:15]
	s_and_b64 s[8:9], s[8:9], exec
.LBB10_10:                              ;   in Loop: Header=BB10_5 Depth=1
	s_or_b64 exec, exec, s[2:3]
	v_cmp_lt_i32_e32 vcc, v7, v6
	v_cndmask_b32_e32 v2, v5, v7, vcc
	v_cndmask_b32_e64 v12, 0, 1, s[8:9]
	v_lshlrev_b32_e32 v2, 2, v2
	ds_bpermute_b32 v12, v2, v12
	s_waitcnt lgkmcnt(0)
	v_cmp_ne_u32_e32 vcc, 0, v12
	s_and_b64 s[2:3], s[8:9], vcc
	v_cmp_lt_i32_e32 vcc, v8, v6
	v_cndmask_b32_e32 v12, v5, v8, vcc
	v_cndmask_b32_e64 v13, 0, 1, s[2:3]
	v_lshlrev_b32_e32 v12, 2, v12
	ds_bpermute_b32 v13, v12, v13
	s_waitcnt lgkmcnt(0)
	v_cmp_ne_u32_e32 vcc, 0, v13
	s_and_b64 s[2:3], vcc, s[2:3]
	v_cmp_lt_i32_e32 vcc, v9, v6
	v_cndmask_b32_e32 v13, v5, v9, vcc
	v_cndmask_b32_e64 v14, 0, 1, s[2:3]
	v_lshlrev_b32_e32 v13, 2, v13
	ds_bpermute_b32 v14, v13, v14
	s_waitcnt lgkmcnt(0)
	v_cmp_ne_u32_e32 vcc, 0, v14
	s_and_b64 s[2:3], vcc, s[2:3]
	;; [unrolled: 8-line block ×3, first 2 shown]
	v_cmp_lt_i32_e32 vcc, v11, v6
	v_cndmask_b32_e32 v15, v5, v11, vcc
	v_cndmask_b32_e64 v16, 0, 1, s[2:3]
	v_lshlrev_b32_e32 v15, 2, v15
	ds_bpermute_b32 v16, v15, v16
	s_and_saveexec_b64 s[8:9], s[0:1]
	s_cbranch_execz .LBB10_3
; %bb.11:                               ;   in Loop: Header=BB10_5 Depth=1
	s_waitcnt lgkmcnt(0)
	v_cmp_ne_u32_e32 vcc, 0, v16
	s_and_b64 s[2:3], vcc, s[2:3]
	v_cndmask_b32_e64 v16, 0, 1, s[2:3]
	ds_write_b32 v1, v16
	s_branch .LBB10_3
.LBB10_12:
	s_or_b64 exec, exec, s[4:5]
	v_cmp_eq_u32_e32 vcc, 0, v0
	s_and_saveexec_b64 s[0:1], vcc
	s_cbranch_execz .LBB10_14
; %bb.13:
	s_mul_i32 s0, s16, s7
	s_add_i32 s0, s0, s6
	s_ashr_i32 s1, s0, 31
	s_lshl_b64 s[0:1], s[0:1], 2
	s_add_u32 s0, s10, s0
	s_addc_u32 s1, s11, s1
	v_mov_b32_e32 v0, 0
	global_store_dword v0, v2, s[0:1]
.LBB10_14:
	s_endpgm
	.section	.rodata,"a",@progbits
	.p2align	6, 0x0
	.amdhsa_kernel _ZL25flash_attn_mask_to_KV_maxILi2EEvPK7__half2Piiii
		.amdhsa_group_segment_fixed_size 128
		.amdhsa_private_segment_fixed_size 0
		.amdhsa_kernarg_size 288
		.amdhsa_user_sgpr_count 6
		.amdhsa_user_sgpr_private_segment_buffer 1
		.amdhsa_user_sgpr_dispatch_ptr 0
		.amdhsa_user_sgpr_queue_ptr 0
		.amdhsa_user_sgpr_kernarg_segment_ptr 1
		.amdhsa_user_sgpr_dispatch_id 0
		.amdhsa_user_sgpr_flat_scratch_init 0
		.amdhsa_user_sgpr_kernarg_preload_length 0
		.amdhsa_user_sgpr_kernarg_preload_offset 0
		.amdhsa_user_sgpr_private_segment_size 0
		.amdhsa_uses_dynamic_stack 0
		.amdhsa_system_sgpr_private_segment_wavefront_offset 0
		.amdhsa_system_sgpr_workgroup_id_x 1
		.amdhsa_system_sgpr_workgroup_id_y 1
		.amdhsa_system_sgpr_workgroup_id_z 0
		.amdhsa_system_sgpr_workgroup_info 0
		.amdhsa_system_vgpr_workitem_id 0
		.amdhsa_next_free_vgpr 17
		.amdhsa_next_free_sgpr 26
		.amdhsa_accum_offset 20
		.amdhsa_reserve_vcc 1
		.amdhsa_reserve_flat_scratch 0
		.amdhsa_float_round_mode_32 0
		.amdhsa_float_round_mode_16_64 0
		.amdhsa_float_denorm_mode_32 3
		.amdhsa_float_denorm_mode_16_64 3
		.amdhsa_dx10_clamp 1
		.amdhsa_ieee_mode 1
		.amdhsa_fp16_overflow 0
		.amdhsa_tg_split 0
		.amdhsa_exception_fp_ieee_invalid_op 0
		.amdhsa_exception_fp_denorm_src 0
		.amdhsa_exception_fp_ieee_div_zero 0
		.amdhsa_exception_fp_ieee_overflow 0
		.amdhsa_exception_fp_ieee_underflow 0
		.amdhsa_exception_fp_ieee_inexact 0
		.amdhsa_exception_int_div_zero 0
	.end_amdhsa_kernel
	.section	.text._ZL25flash_attn_mask_to_KV_maxILi2EEvPK7__half2Piiii,"axG",@progbits,_ZL25flash_attn_mask_to_KV_maxILi2EEvPK7__half2Piiii,comdat
.Lfunc_end10:
	.size	_ZL25flash_attn_mask_to_KV_maxILi2EEvPK7__half2Piiii, .Lfunc_end10-_ZL25flash_attn_mask_to_KV_maxILi2EEvPK7__half2Piiii
                                        ; -- End function
	.section	.AMDGPU.csdata,"",@progbits
; Kernel info:
; codeLenInByte = 848
; NumSgprs: 30
; NumVgprs: 17
; NumAgprs: 0
; TotalNumVgprs: 17
; ScratchSize: 0
; MemoryBound: 0
; FloatMode: 240
; IeeeMode: 1
; LDSByteSize: 128 bytes/workgroup (compile time only)
; SGPRBlocks: 3
; VGPRBlocks: 2
; NumSGPRsForWavesPerEU: 30
; NumVGPRsForWavesPerEU: 17
; AccumOffset: 20
; Occupancy: 8
; WaveLimiterHint : 0
; COMPUTE_PGM_RSRC2:SCRATCH_EN: 0
; COMPUTE_PGM_RSRC2:USER_SGPR: 6
; COMPUTE_PGM_RSRC2:TRAP_HANDLER: 0
; COMPUTE_PGM_RSRC2:TGID_X_EN: 1
; COMPUTE_PGM_RSRC2:TGID_Y_EN: 1
; COMPUTE_PGM_RSRC2:TGID_Z_EN: 0
; COMPUTE_PGM_RSRC2:TIDIG_COMP_CNT: 0
; COMPUTE_PGM_RSRC3_GFX90A:ACCUM_OFFSET: 4
; COMPUTE_PGM_RSRC3_GFX90A:TG_SPLIT: 0
	.section	.text._ZL33flash_attn_stream_k_fixup_uniformILi64ELi2ELi8EEvPfPK15HIP_vector_typeIfLj2EEiiiiiiS1_IjLj3EES5_S5_,"axG",@progbits,_ZL33flash_attn_stream_k_fixup_uniformILi64ELi2ELi8EEvPfPK15HIP_vector_typeIfLj2EEiiiiiiS1_IjLj3EES5_S5_,comdat
	.globl	_ZL33flash_attn_stream_k_fixup_uniformILi64ELi2ELi8EEvPfPK15HIP_vector_typeIfLj2EEiiiiiiS1_IjLj3EES5_S5_ ; -- Begin function _ZL33flash_attn_stream_k_fixup_uniformILi64ELi2ELi8EEvPfPK15HIP_vector_typeIfLj2EEiiiiiiS1_IjLj3EES5_S5_
	.p2align	8
	.type	_ZL33flash_attn_stream_k_fixup_uniformILi64ELi2ELi8EEvPfPK15HIP_vector_typeIfLj2EEiiiiiiS1_IjLj3EES5_S5_,@function
_ZL33flash_attn_stream_k_fixup_uniformILi64ELi2ELi8EEvPfPK15HIP_vector_typeIfLj2EEiiiiiiS1_IjLj3EES5_S5_: ; @_ZL33flash_attn_stream_k_fixup_uniformILi64ELi2ELi8EEvPfPK15HIP_vector_typeIfLj2EEiiiiiiS1_IjLj3EES5_S5_
; %bb.0:
	s_load_dwordx8 s[12:19], s[4:5], 0x1c
	s_load_dwordx2 s[10:11], s[4:5], 0x10
	s_load_dwordx4 s[0:3], s[4:5], 0x3c
	s_waitcnt lgkmcnt(0)
	s_mul_hi_u32 s9, s15, s6
	s_add_i32 s9, s6, s9
	s_lshr_b32 s9, s9, s16
	s_mul_i32 s15, s9, s17
	s_sub_i32 s15, s6, s15
	s_mul_hi_u32 s16, s15, s18
	s_add_i32 s16, s15, s16
	s_lshr_b32 s16, s16, s19
	s_mul_i32 s0, s16, s0
	s_sub_i32 s0, s15, s0
	s_mul_hi_u32 s1, s0, s1
	s_add_i32 s1, s0, s1
	s_lshr_b32 s1, s1, s2
	s_mul_i32 s2, s1, s3
	s_sub_i32 s17, s0, s2
	s_lshl_b32 s0, s17, 1
	s_lshl_b32 s15, s1, 3
	s_add_i32 s0, s0, s7
	s_cmp_lt_i32 s0, s10
	s_cselect_b64 s[0:1], -1, 0
	s_add_i32 s2, s15, s8
	s_cmp_lt_i32 s2, s13
	s_cselect_b64 s[2:3], -1, 0
	s_and_b64 s[0:1], s[0:1], s[2:3]
	s_andn2_b64 vcc, exec, s[0:1]
	s_cbranch_vccnz .LBB11_6
; %bb.1:
	s_load_dwordx4 s[0:3], s[4:5], 0x0
	s_mul_i32 s4, s9, s10
	s_add_i32 s4, s4, s7
	s_mul_i32 s4, s4, s11
	s_mul_i32 s16, s16, s13
	s_add_i32 s4, s4, s8
	s_add_i32 s4, s4, s16
	s_mul_i32 s5, s11, s17
	s_add_i32 s4, s4, s15
	s_lshl_b32 s5, s5, 7
	s_lshl_b32 s4, s4, 6
	s_add_i32 s5, s5, s4
	v_or_b32_e32 v2, s5, v0
	v_ashrrev_i32_e32 v3, 31, v2
	v_lshlrev_b64 v[2:3], 2, v[2:3]
	s_waitcnt lgkmcnt(0)
	v_mov_b32_e32 v1, s1
	v_add_co_u32_e32 v2, vcc, s0, v2
	v_addc_co_u32_e32 v3, vcc, v1, v3, vcc
	global_load_dword v8, v[2:3], off
	s_mul_i32 s9, s6, s14
	s_lshl_b32 s4, s7, 3
	s_add_i32 s11, s9, s14
	s_add_i32 s0, s4, s8
	s_lshl_b32 s1, s11, 4
	s_add_i32 s0, s0, s1
	s_add_i32 s0, s0, -16
	s_ashr_i32 s1, s0, 31
	s_lshl_b64 s[0:1], s[0:1], 3
	s_add_u32 s0, s2, s0
	s_addc_u32 s1, s3, s1
	s_load_dword s5, s[0:1], 0x4
	s_add_i32 s10, s11, -2
	s_cmp_lt_i32 s10, s9
	s_cbranch_scc1 .LBB11_4
; %bb.2:
	s_lshl_b32 s16, s12, 6
	s_ashr_i32 s17, s16, 31
	s_lshl_b64 s[16:17], s[16:17], 2
	s_add_u32 s10, s2, s16
	s_addc_u32 s13, s3, s17
	s_add_i32 s6, s6, 1
	s_load_dword s0, s[0:1], 0x0
	s_mul_i32 s1, s14, s6
	s_lshl_b32 s7, s7, 9
	s_lshl_b32 s14, s8, 6
	;; [unrolled: 1-line block ×3, first 2 shown]
	s_add_i32 s7, s14, s7
	s_lshl_b32 s1, s1, 4
	s_add_i32 s7, s7, s6
	s_add_i32 s1, s8, s1
	s_lshl_b32 s6, s12, 4
	s_add_i32 s1, s1, s6
	v_or_b32_e32 v0, s7, v0
	s_add_i32 s1, s1, s4
	s_add_i32 s11, s11, -1
	v_add_u32_e32 v0, 0xfffff800, v0
	s_sub_i32 s4, s1, 32
	s_waitcnt lgkmcnt(0)
	v_mov_b32_e32 v7, s5
	v_mov_b32_e32 v6, s0
	;; [unrolled: 1-line block ×3, first 2 shown]
	s_mov_b32 s6, 0x3fb8aa3b
	s_mov_b32 s7, 0xc2ce8ed0
	;; [unrolled: 1-line block ×3, first 2 shown]
	v_mov_b32_e32 v5, 0x7f800000
	s_mov_b32 s12, 0xc1a00000
.LBB11_3:                               ; =>This Inner Loop Header: Depth=1
	v_ashrrev_i32_e32 v1, 31, v0
	v_lshlrev_b64 v[10:11], 2, v[0:1]
	v_add_co_u32_e32 v10, vcc, s10, v10
	v_addc_co_u32_e32 v11, vcc, v4, v11, vcc
	global_load_dword v1, v[10:11], off
	s_ashr_i32 s5, s4, 31
	s_lshl_b64 s[0:1], s[4:5], 3
	s_add_u32 s0, s2, s0
	s_addc_u32 s1, s3, s1
	s_load_dwordx2 s[14:15], s[0:1], 0x0
	s_waitcnt vmcnt(1)
	v_mov_b32_e32 v9, v8
	v_max_f32_e32 v8, v6, v6
	v_mov_b32_e32 v10, v7
	s_add_i32 s11, s11, -1
	s_waitcnt lgkmcnt(0)
	v_max_f32_e64 v7, s14, s14
	v_max_f32_e32 v7, v8, v7
	v_sub_f32_e32 v11, s14, v7
	v_sub_f32_e32 v8, v6, v7
	v_mul_f32_e32 v12, 0x3fb8aa3b, v11
	v_mov_b32_e32 v6, v7
	v_mul_f32_e32 v7, 0x3fb8aa3b, v8
	v_fma_f32 v15, v11, s6, -v12
	v_rndne_f32_e32 v16, v12
	v_fma_f32 v13, v8, s6, -v7
	v_rndne_f32_e32 v14, v7
	v_fmac_f32_e32 v15, 0x32a5705f, v11
	v_sub_f32_e32 v12, v12, v16
	v_fmac_f32_e32 v13, 0x32a5705f, v8
	v_sub_f32_e32 v7, v7, v14
	v_add_f32_e32 v12, v12, v15
	v_cvt_i32_f32_e32 v16, v16
	v_add_f32_e32 v7, v7, v13
	v_exp_f32_e32 v12, v12
	v_cvt_i32_f32_e32 v14, v14
	v_exp_f32_e32 v7, v7
	v_cmp_ngt_f32_e32 vcc, s7, v11
	v_ldexp_f32 v12, v12, v16
	v_cmp_ngt_f32_e64 s[0:1], s7, v8
	v_ldexp_f32 v7, v7, v14
	v_cndmask_b32_e32 v12, 0, v12, vcc
	v_cmp_nlt_f32_e32 vcc, s8, v11
	v_cndmask_b32_e64 v7, 0, v7, s[0:1]
	v_cmp_nlt_f32_e64 s[0:1], s8, v8
	v_cndmask_b32_e32 v12, v5, v12, vcc
	v_cmp_le_f32_e32 vcc, s12, v11
	v_cndmask_b32_e64 v7, v5, v7, s[0:1]
	v_cmp_le_f32_e64 s[0:1], s12, v8
	v_cndmask_b32_e32 v8, 0, v12, vcc
	s_add_i32 s4, s4, -16
	v_cndmask_b32_e64 v11, 0, v7, s[0:1]
	v_mul_f32_e32 v7, s15, v8
	v_add_u32_e32 v0, 0xfffffc00, v0
	s_cmp_le_i32 s11, s9
	v_fmac_f32_e32 v7, v10, v11
	s_waitcnt vmcnt(0)
	v_mul_f32_e32 v8, v1, v8
	v_fmac_f32_e32 v8, v9, v11
	s_cbranch_scc0 .LBB11_3
	s_branch .LBB11_5
.LBB11_4:
	s_waitcnt lgkmcnt(0)
	v_mov_b32_e32 v7, s5
.LBB11_5:
	s_waitcnt vmcnt(0)
	v_div_scale_f32 v0, s[0:1], v7, v7, v8
	v_rcp_f32_e32 v1, v0
	v_div_scale_f32 v4, vcc, v8, v7, v8
	v_fma_f32 v5, -v0, v1, 1.0
	v_fmac_f32_e32 v1, v5, v1
	v_mul_f32_e32 v5, v4, v1
	v_fma_f32 v6, -v0, v5, v4
	v_fmac_f32_e32 v5, v6, v1
	v_fma_f32 v0, -v0, v5, v4
	v_div_fmas_f32 v0, v0, v1, v5
	v_div_fixup_f32 v0, v0, v7, v8
	global_store_dword v[2:3], v0, off
.LBB11_6:
	s_endpgm
	.section	.rodata,"a",@progbits
	.p2align	6, 0x0
	.amdhsa_kernel _ZL33flash_attn_stream_k_fixup_uniformILi64ELi2ELi8EEvPfPK15HIP_vector_typeIfLj2EEiiiiiiS1_IjLj3EES5_S5_
		.amdhsa_group_segment_fixed_size 0
		.amdhsa_private_segment_fixed_size 0
		.amdhsa_kernarg_size 76
		.amdhsa_user_sgpr_count 6
		.amdhsa_user_sgpr_private_segment_buffer 1
		.amdhsa_user_sgpr_dispatch_ptr 0
		.amdhsa_user_sgpr_queue_ptr 0
		.amdhsa_user_sgpr_kernarg_segment_ptr 1
		.amdhsa_user_sgpr_dispatch_id 0
		.amdhsa_user_sgpr_flat_scratch_init 0
		.amdhsa_user_sgpr_kernarg_preload_length 0
		.amdhsa_user_sgpr_kernarg_preload_offset 0
		.amdhsa_user_sgpr_private_segment_size 0
		.amdhsa_uses_dynamic_stack 0
		.amdhsa_system_sgpr_private_segment_wavefront_offset 0
		.amdhsa_system_sgpr_workgroup_id_x 1
		.amdhsa_system_sgpr_workgroup_id_y 1
		.amdhsa_system_sgpr_workgroup_id_z 1
		.amdhsa_system_sgpr_workgroup_info 0
		.amdhsa_system_vgpr_workitem_id 0
		.amdhsa_next_free_vgpr 17
		.amdhsa_next_free_sgpr 20
		.amdhsa_accum_offset 20
		.amdhsa_reserve_vcc 1
		.amdhsa_reserve_flat_scratch 0
		.amdhsa_float_round_mode_32 0
		.amdhsa_float_round_mode_16_64 0
		.amdhsa_float_denorm_mode_32 3
		.amdhsa_float_denorm_mode_16_64 3
		.amdhsa_dx10_clamp 1
		.amdhsa_ieee_mode 1
		.amdhsa_fp16_overflow 0
		.amdhsa_tg_split 0
		.amdhsa_exception_fp_ieee_invalid_op 0
		.amdhsa_exception_fp_denorm_src 0
		.amdhsa_exception_fp_ieee_div_zero 0
		.amdhsa_exception_fp_ieee_overflow 0
		.amdhsa_exception_fp_ieee_underflow 0
		.amdhsa_exception_fp_ieee_inexact 0
		.amdhsa_exception_int_div_zero 0
	.end_amdhsa_kernel
	.section	.text._ZL33flash_attn_stream_k_fixup_uniformILi64ELi2ELi8EEvPfPK15HIP_vector_typeIfLj2EEiiiiiiS1_IjLj3EES5_S5_,"axG",@progbits,_ZL33flash_attn_stream_k_fixup_uniformILi64ELi2ELi8EEvPfPK15HIP_vector_typeIfLj2EEiiiiiiS1_IjLj3EES5_S5_,comdat
.Lfunc_end11:
	.size	_ZL33flash_attn_stream_k_fixup_uniformILi64ELi2ELi8EEvPfPK15HIP_vector_typeIfLj2EEiiiiiiS1_IjLj3EES5_S5_, .Lfunc_end11-_ZL33flash_attn_stream_k_fixup_uniformILi64ELi2ELi8EEvPfPK15HIP_vector_typeIfLj2EEiiiiiiS1_IjLj3EES5_S5_
                                        ; -- End function
	.section	.AMDGPU.csdata,"",@progbits
; Kernel info:
; codeLenInByte = 856
; NumSgprs: 24
; NumVgprs: 17
; NumAgprs: 0
; TotalNumVgprs: 17
; ScratchSize: 0
; MemoryBound: 0
; FloatMode: 240
; IeeeMode: 1
; LDSByteSize: 0 bytes/workgroup (compile time only)
; SGPRBlocks: 2
; VGPRBlocks: 2
; NumSGPRsForWavesPerEU: 24
; NumVGPRsForWavesPerEU: 17
; AccumOffset: 20
; Occupancy: 8
; WaveLimiterHint : 0
; COMPUTE_PGM_RSRC2:SCRATCH_EN: 0
; COMPUTE_PGM_RSRC2:USER_SGPR: 6
; COMPUTE_PGM_RSRC2:TRAP_HANDLER: 0
; COMPUTE_PGM_RSRC2:TGID_X_EN: 1
; COMPUTE_PGM_RSRC2:TGID_Y_EN: 1
; COMPUTE_PGM_RSRC2:TGID_Z_EN: 1
; COMPUTE_PGM_RSRC2:TIDIG_COMP_CNT: 0
; COMPUTE_PGM_RSRC3_GFX90A:ACCUM_OFFSET: 4
; COMPUTE_PGM_RSRC3_GFX90A:TG_SPLIT: 0
	.section	.text._ZL33flash_attn_stream_k_fixup_generalILi64ELi2ELi8EEvPfPK15HIP_vector_typeIfLj2EEiiiiS1_IjLj3EES5_S5_S5_,"axG",@progbits,_ZL33flash_attn_stream_k_fixup_generalILi64ELi2ELi8EEvPfPK15HIP_vector_typeIfLj2EEiiiiS1_IjLj3EES5_S5_S5_,comdat
	.globl	_ZL33flash_attn_stream_k_fixup_generalILi64ELi2ELi8EEvPfPK15HIP_vector_typeIfLj2EEiiiiS1_IjLj3EES5_S5_S5_ ; -- Begin function _ZL33flash_attn_stream_k_fixup_generalILi64ELi2ELi8EEvPfPK15HIP_vector_typeIfLj2EEiiiiS1_IjLj3EES5_S5_S5_
	.p2align	8
	.type	_ZL33flash_attn_stream_k_fixup_generalILi64ELi2ELi8EEvPfPK15HIP_vector_typeIfLj2EEiiiiS1_IjLj3EES5_S5_S5_,@function
_ZL33flash_attn_stream_k_fixup_generalILi64ELi2ELi8EEvPfPK15HIP_vector_typeIfLj2EEiiiiS1_IjLj3EES5_S5_S5_: ; @_ZL33flash_attn_stream_k_fixup_generalILi64ELi2ELi8EEvPfPK15HIP_vector_typeIfLj2EEiiiiS1_IjLj3EES5_S5_S5_
; %bb.0:
	s_load_dwordx4 s[12:15], s[4:5], 0x10
	s_load_dword s9, s[4:5], 0x50
	s_mov_b32 s2, 0
	s_waitcnt lgkmcnt(0)
	s_mul_hi_i32 s3, s15, s6
	s_cmp_lg_u64 s[2:3], 0
	s_mul_i32 s2, s15, s6
	s_cbranch_scc0 .LBB12_21
; %bb.1:
	v_cvt_f32_u32_e32 v1, s9
	v_cvt_f32_ubyte0_e32 v2, 0
	s_sub_u32 s10, 0, s9
	s_subb_u32 s11, 0, 0
	v_madmk_f32 v1, v2, 0x4f800000, v1
	v_rcp_f32_e32 v1, v1
	v_mul_f32_e32 v1, 0x5f7ffffc, v1
	v_mul_f32_e32 v2, 0x2f800000, v1
	v_trunc_f32_e32 v2, v2
	v_madmk_f32 v1, v2, 0xcf800000, v1
	v_cvt_u32_f32_e32 v2, v2
	v_cvt_u32_f32_e32 v1, v1
	v_readfirstlane_b32 s16, v2
	v_readfirstlane_b32 s17, v1
	s_mul_i32 s18, s10, s16
	s_mul_hi_u32 s20, s10, s17
	s_mul_i32 s19, s11, s17
	s_add_i32 s18, s20, s18
	s_add_i32 s18, s18, s19
	s_mul_i32 s21, s10, s17
	s_mul_hi_u32 s19, s17, s18
	s_mul_i32 s20, s17, s18
	s_mul_hi_u32 s17, s17, s21
	s_add_u32 s17, s17, s20
	s_addc_u32 s19, 0, s19
	s_mul_hi_u32 s22, s16, s21
	s_mul_i32 s21, s16, s21
	s_add_u32 s17, s17, s21
	s_mul_hi_u32 s20, s16, s18
	s_addc_u32 s17, s19, s22
	s_addc_u32 s19, s20, 0
	s_mul_i32 s18, s16, s18
	s_add_u32 s17, s17, s18
	s_addc_u32 s18, 0, s19
	v_add_co_u32_e32 v1, vcc, s17, v1
	s_cmp_lg_u64 vcc, 0
	s_addc_u32 s16, s16, s18
	v_readfirstlane_b32 s18, v1
	s_mul_i32 s17, s10, s16
	s_mul_hi_u32 s19, s10, s18
	s_add_i32 s17, s19, s17
	s_mul_i32 s11, s11, s18
	s_add_i32 s17, s17, s11
	s_mul_i32 s10, s10, s18
	s_mul_hi_u32 s19, s16, s10
	s_mul_i32 s20, s16, s10
	s_mul_i32 s22, s18, s17
	s_mul_hi_u32 s10, s18, s10
	s_mul_hi_u32 s21, s18, s17
	s_add_u32 s10, s10, s22
	s_addc_u32 s18, 0, s21
	s_add_u32 s10, s10, s20
	s_mul_hi_u32 s11, s16, s17
	s_addc_u32 s10, s18, s19
	s_addc_u32 s11, s11, 0
	s_mul_i32 s17, s16, s17
	s_add_u32 s10, s10, s17
	s_addc_u32 s11, 0, s11
	v_add_co_u32_e32 v1, vcc, s10, v1
	s_cmp_lg_u64 vcc, 0
	s_addc_u32 s18, s16, s11
	s_ashr_i32 s10, s3, 31
	s_add_u32 s16, s2, s10
	s_mov_b32 s11, s10
	s_addc_u32 s17, s3, s10
	s_xor_b64 s[16:17], s[16:17], s[10:11]
	v_readfirstlane_b32 s20, v1
	s_mul_i32 s19, s16, s18
	s_mul_hi_u32 s21, s16, s20
	s_mul_hi_u32 s3, s16, s18
	s_add_u32 s19, s21, s19
	s_addc_u32 s3, 0, s3
	s_mul_hi_u32 s22, s17, s20
	s_mul_i32 s20, s17, s20
	s_add_u32 s19, s19, s20
	s_mul_hi_u32 s21, s17, s18
	s_addc_u32 s3, s3, s22
	s_addc_u32 s19, s21, 0
	s_mul_i32 s18, s17, s18
	s_add_u32 s3, s3, s18
	s_addc_u32 s18, 0, s19
	s_add_u32 s19, s3, 1
	s_addc_u32 s20, s18, 0
	s_add_u32 s21, s3, 2
	s_mul_i32 s23, s9, s18
	s_mul_hi_u32 s24, s9, s3
	s_addc_u32 s22, s18, 0
	s_add_i32 s24, s24, s23
	s_mul_i32 s23, s9, s3
	v_mov_b32_e32 v1, s23
	v_sub_co_u32_e32 v1, vcc, s16, v1
	s_cmp_lg_u64 vcc, 0
	s_subb_u32 s16, s17, s24
	v_subrev_co_u32_e32 v2, vcc, s9, v1
	s_cmp_lg_u64 vcc, 0
	s_subb_u32 s17, s16, 0
	v_readfirstlane_b32 s23, v2
	s_cmp_ge_u32 s23, s9
	s_cselect_b32 s23, -1, 0
	s_cmp_eq_u32 s17, 0
	s_cselect_b32 s17, s23, -1
	s_cmp_lg_u32 s17, 0
	s_cselect_b32 s17, s22, s20
	v_readfirstlane_b32 s20, v1
	s_cselect_b32 s19, s21, s19
	s_cmp_ge_u32 s20, s9
	s_cselect_b32 s20, -1, 0
	s_cmp_eq_u32 s16, 0
	s_cselect_b32 s16, s20, -1
	s_cmp_lg_u32 s16, 0
	s_cselect_b32 s17, s17, s18
	s_cselect_b32 s16, s19, s3
	s_xor_b64 s[16:17], s[16:17], s[10:11]
	s_sub_u32 s20, s16, s10
	s_load_dwordx4 s[16:19], s[4:5], 0x44
	s_cbranch_execnz .LBB12_3
.LBB12_2:
	v_cvt_f32_u32_e32 v1, s9
	s_sub_i32 s0, 0, s9
	v_rcp_iflag_f32_e32 v1, v1
	v_mul_f32_e32 v1, 0x4f7ffffe, v1
	v_cvt_u32_f32_e32 v1, v1
	v_readfirstlane_b32 s1, v1
	s_mul_i32 s0, s0, s1
	s_mul_hi_u32 s0, s1, s0
	s_add_i32 s1, s1, s0
	s_mul_hi_u32 s0, s2, s1
	s_mul_i32 s3, s0, s9
	s_sub_i32 s2, s2, s3
	s_add_i32 s1, s0, 1
	s_sub_i32 s3, s2, s9
	s_cmp_ge_u32 s2, s9
	s_cselect_b32 s0, s1, s0
	s_cselect_b32 s2, s3, s2
	s_add_i32 s1, s0, 1
	s_cmp_ge_u32 s2, s9
	s_cselect_b32 s20, s1, s0
.LBB12_3:
	s_add_i32 s0, s6, 1
	s_mul_hi_i32 s3, s15, s0
	s_mov_b32 s2, 0
	s_cmp_lg_u64 s[2:3], 0
	s_mul_i32 s2, s15, s0
	s_cbranch_scc0 .LBB12_22
; %bb.4:
	v_cvt_f32_u32_e32 v1, s9
	v_cvt_f32_ubyte0_e32 v2, 0
	s_sub_u32 s10, 0, s9
	s_subb_u32 s11, 0, 0
	v_madmk_f32 v1, v2, 0x4f800000, v1
	v_rcp_f32_e32 v1, v1
	v_mul_f32_e32 v1, 0x5f7ffffc, v1
	v_mul_f32_e32 v2, 0x2f800000, v1
	v_trunc_f32_e32 v2, v2
	v_madmk_f32 v1, v2, 0xcf800000, v1
	v_cvt_u32_f32_e32 v2, v2
	v_cvt_u32_f32_e32 v1, v1
	s_waitcnt lgkmcnt(0)
	v_readfirstlane_b32 s19, v2
	v_readfirstlane_b32 s21, v1
	s_mul_i32 s22, s10, s19
	s_mul_hi_u32 s24, s10, s21
	s_mul_i32 s23, s11, s21
	s_add_i32 s22, s24, s22
	s_add_i32 s22, s22, s23
	s_mul_i32 s25, s10, s21
	s_mul_hi_u32 s23, s21, s22
	s_mul_i32 s24, s21, s22
	s_mul_hi_u32 s21, s21, s25
	s_add_u32 s21, s21, s24
	s_addc_u32 s23, 0, s23
	s_mul_hi_u32 s26, s19, s25
	s_mul_i32 s25, s19, s25
	s_add_u32 s21, s21, s25
	s_mul_hi_u32 s24, s19, s22
	s_addc_u32 s21, s23, s26
	s_addc_u32 s23, s24, 0
	s_mul_i32 s22, s19, s22
	s_add_u32 s21, s21, s22
	s_addc_u32 s22, 0, s23
	v_add_co_u32_e32 v1, vcc, s21, v1
	s_cmp_lg_u64 vcc, 0
	s_addc_u32 s19, s19, s22
	v_readfirstlane_b32 s22, v1
	s_mul_i32 s21, s10, s19
	s_mul_hi_u32 s23, s10, s22
	s_add_i32 s21, s23, s21
	s_mul_i32 s11, s11, s22
	s_add_i32 s21, s21, s11
	s_mul_i32 s10, s10, s22
	s_mul_hi_u32 s23, s19, s10
	s_mul_i32 s24, s19, s10
	s_mul_i32 s26, s22, s21
	s_mul_hi_u32 s10, s22, s10
	s_mul_hi_u32 s25, s22, s21
	s_add_u32 s10, s10, s26
	s_addc_u32 s22, 0, s25
	s_add_u32 s10, s10, s24
	s_mul_hi_u32 s11, s19, s21
	s_addc_u32 s10, s22, s23
	s_addc_u32 s11, s11, 0
	s_mul_i32 s21, s19, s21
	s_add_u32 s10, s10, s21
	s_addc_u32 s11, 0, s11
	v_add_co_u32_e32 v1, vcc, s10, v1
	s_cmp_lg_u64 vcc, 0
	s_addc_u32 s19, s19, s11
	s_ashr_i32 s10, s3, 31
	s_add_u32 s22, s2, s10
	s_mov_b32 s11, s10
	s_addc_u32 s23, s3, s10
	s_xor_b64 s[22:23], s[22:23], s[10:11]
	v_readfirstlane_b32 s21, v1
	s_mul_i32 s11, s22, s19
	s_mul_hi_u32 s24, s22, s21
	s_mul_hi_u32 s3, s22, s19
	s_add_u32 s11, s24, s11
	s_addc_u32 s3, 0, s3
	s_mul_hi_u32 s25, s23, s21
	s_mul_i32 s21, s23, s21
	s_add_u32 s11, s11, s21
	s_mul_hi_u32 s24, s23, s19
	s_addc_u32 s3, s3, s25
	s_addc_u32 s11, s24, 0
	s_mul_i32 s19, s23, s19
	s_add_u32 s3, s3, s19
	s_addc_u32 s11, 0, s11
	s_mul_i32 s11, s9, s11
	s_mul_hi_u32 s24, s9, s3
	s_add_i32 s24, s24, s11
	s_mul_i32 s11, s9, s3
	v_mov_b32_e32 v1, s11
	s_add_u32 s19, s3, 1
	s_add_u32 s21, s3, 2
	v_sub_co_u32_e32 v1, vcc, s22, v1
	s_cmp_lg_u64 vcc, 0
	s_subb_u32 s11, s23, s24
	v_subrev_co_u32_e32 v2, vcc, s9, v1
	s_cmp_lg_u64 vcc, 0
	s_subb_u32 s22, s11, 0
	v_cmp_le_u32_e32 vcc, s9, v2
	s_cmp_eq_u32 s22, 0
	v_cndmask_b32_e64 v2, 0, -1, vcc
	s_cselect_b64 vcc, -1, 0
	v_cndmask_b32_e32 v2, -1, v2, vcc
	v_mov_b32_e32 v3, s19
	v_mov_b32_e32 v4, s21
	v_cmp_ne_u32_e32 vcc, 0, v2
	v_cndmask_b32_e32 v2, v3, v4, vcc
	v_cmp_le_u32_e32 vcc, s9, v1
	s_cmp_eq_u32 s11, 0
	v_cndmask_b32_e64 v1, 0, -1, vcc
	s_cselect_b64 vcc, -1, 0
	v_cndmask_b32_e32 v1, -1, v1, vcc
	v_mov_b32_e32 v3, s3
	v_cmp_ne_u32_e32 vcc, 0, v1
	v_cndmask_b32_e32 v1, v3, v2, vcc
	v_xor_b32_e32 v1, s10, v1
	v_subrev_co_u32_e32 v2, vcc, s10, v1
	s_cbranch_execnz .LBB12_6
.LBB12_5:
	v_cvt_f32_u32_e32 v1, s9
	s_sub_i32 s0, 0, s9
	s_mov_b32 s1, 0
	v_rcp_iflag_f32_e32 v1, v1
	v_mul_f32_e32 v1, 0x4f7ffffe, v1
	v_cvt_u32_f32_e32 v1, v1
	v_readfirstlane_b32 s3, v1
	s_mul_i32 s0, s0, s3
	s_mul_hi_u32 s0, s3, s0
	s_add_i32 s3, s3, s0
	s_mul_hi_u32 s0, s2, s3
	s_mul_i32 s10, s0, s9
	s_sub_i32 s2, s2, s10
	s_add_i32 s3, s0, 1
	s_sub_i32 s10, s2, s9
	s_cmp_ge_u32 s2, s9
	s_cselect_b32 s0, s3, s0
	s_cselect_b32 s2, s10, s2
	s_add_i32 s3, s0, 1
	s_cmp_ge_u32 s2, s9
	s_cselect_b32 s0, s3, s0
	v_pk_mov_b32 v[2:3], s[0:1], s[0:1] op_sel:[0,1]
.LBB12_6:
	s_waitcnt lgkmcnt(0)
	s_mul_hi_u32 s0, s20, s16
	s_add_i32 s0, s0, s20
	v_mul_hi_u32 v1, v2, s16
	s_lshr_b32 s19, s0, s17
	v_add_u32_e32 v1, v1, v2
	s_mul_i32 s0, s19, s18
	v_lshrrev_b32_e32 v1, s17, v1
	s_cmp_eq_u32 s0, s20
	v_cmp_eq_u32_e64 s[0:1], s19, v1
	v_mul_lo_u32 v1, v1, s18
	v_cmp_eq_u32_e32 vcc, s20, v2
	s_cselect_b64 s[10:11], -1, 0
	v_cmp_ne_u32_e64 s[2:3], v1, v2
	s_and_b64 s[0:1], s[0:1], s[2:3]
	s_or_b64 s[2:3], vcc, s[10:11]
	s_or_b64 s[0:1], s[2:3], s[0:1]
	s_and_b64 vcc, exec, s[0:1]
	s_cbranch_vccnz .LBB12_24
; %bb.7:
	s_load_dwordx8 s[24:31], s[4:5], 0x20
	s_load_dword s0, s[4:5], 0x40
	s_mov_b32 s10, 0
	s_waitcnt lgkmcnt(0)
	s_mul_hi_u32 s1, s20, s24
	s_add_i32 s1, s1, s20
	s_lshr_b32 s11, s1, s25
	s_mul_i32 s1, s11, s26
	s_sub_i32 s1, s20, s1
	s_mul_hi_u32 s2, s1, s27
	s_add_i32 s2, s1, s2
	s_lshr_b32 s24, s2, s28
	s_mul_i32 s2, s24, s29
	s_sub_i32 s1, s1, s2
	;; [unrolled: 5-line block ×3, first 2 shown]
	s_mul_hi_u32 s1, s0, s16
	s_add_i32 s0, s0, s1
	s_lshr_b32 s26, s0, s17
	s_lshl_b32 s0, s26, 1
	s_lshl_b32 s25, s2, 3
	s_add_i32 s0, s0, s7
	s_cmp_lt_i32 s0, s12
	s_cselect_b64 s[0:1], -1, 0
	s_add_i32 s2, s25, s8
	s_cmp_lt_i32 s2, s14
	s_cselect_b64 s[2:3], -1, 0
	s_and_b64 s[0:1], s[0:1], s[2:3]
	s_andn2_b64 vcc, exec, s[0:1]
	s_cbranch_vccnz .LBB12_24
; %bb.8:
	s_load_dwordx4 s[0:3], s[4:5], 0x0
	s_lshl_b32 s21, s7, 3
	s_lshl_b32 s4, s9, 6
	s_mov_b32 s5, s10
	s_add_i32 s21, s21, s8
	s_lshl_b64 s[4:5], s[4:5], 2
	s_waitcnt lgkmcnt(0)
	s_add_u32 s22, s2, s4
	s_mul_i32 s4, s11, s12
	s_addc_u32 s23, s3, s5
	s_add_i32 s4, s4, s7
	s_mul_i32 s4, s4, s13
	s_mul_i32 s24, s24, s14
	s_add_i32 s4, s4, s8
	s_add_i32 s4, s4, s24
	s_mul_i32 s5, s13, s26
	s_add_i32 s4, s4, s25
	s_lshl_b32 s5, s5, 7
	s_lshl_b32 s4, s4, 6
	s_add_i32 s5, s5, s4
	v_or_b32_e32 v2, s5, v0
	v_ashrrev_i32_e32 v3, 31, v2
	v_lshlrev_b64 v[2:3], 2, v[2:3]
	v_mov_b32_e32 v1, s1
	v_add_co_u32_e32 v2, vcc, s0, v2
	v_addc_co_u32_e32 v3, vcc, v1, v3, vcc
	global_load_dword v5, v[2:3], off
	v_lshl_or_b32 v4, s21, 6, v0
	v_cvt_f32_u32_e32 v0, s9
	v_cvt_f32_ubyte0_e32 v1, 0
	s_lshl_b32 s0, s6, 4
	s_add_i32 s0, s21, s0
	v_mac_f32_e32 v0, 0x4f800000, v1
	v_rcp_f32_e32 v0, v0
	v_cvt_f32_u32_e32 v1, s9
	s_ashr_i32 s1, s0, 31
	s_lshl_b64 s[0:1], s[0:1], 3
	v_mul_f32_e32 v0, 0x5f7ffffc, v0
	v_rcp_iflag_f32_e32 v1, v1
	s_add_u32 s0, s2, s0
	v_mul_f32_e32 v9, 0x2f800000, v0
	s_addc_u32 s1, s3, s1
	v_trunc_f32_e32 v10, v9
	s_load_dwordx2 s[0:1], s[0:1], 0x0
	v_mac_f32_e32 v0, 0xcf800000, v10
	v_cvt_u32_f32_e32 v9, v0
	v_mul_f32_e32 v0, 0x4f7ffffe, v1
	v_cvt_u32_f32_e32 v10, v10
	v_cvt_u32_f32_e32 v11, v0
	s_add_i32 s8, s6, -1
	s_waitcnt lgkmcnt(0)
	v_mov_b32_e32 v6, s1
	v_mov_b32_e32 v7, s0
	v_mov_b32_e32 v8, s20
	s_mov_b32 s6, 0x3fb8aa3b
	s_mov_b32 s7, 0xc2ce8ed0
	;; [unrolled: 1-line block ×4, first 2 shown]
	v_mov_b32_e32 v12, 0x7f800000
	s_mul_hi_i32 s11, s8, s15
	s_cmp_lg_u64 s[10:11], 0
	s_mul_i32 s4, s8, s15
	s_cbranch_scc0 .LBB12_15
.LBB12_9:
	s_sub_u32 s0, 0, s9
	v_readfirstlane_b32 s5, v9
	v_readfirstlane_b32 s24, v10
	s_subb_u32 s1, 0, 0
	s_mul_hi_u32 s20, s0, s5
	s_mul_i32 s25, s0, s24
	s_mul_i32 s14, s1, s5
	s_add_i32 s20, s20, s25
	s_add_i32 s20, s20, s14
	s_mul_i32 s26, s0, s5
	s_mul_hi_u32 s14, s5, s20
	s_mul_i32 s25, s5, s20
	s_mul_hi_u32 s5, s5, s26
	s_add_u32 s5, s5, s25
	s_addc_u32 s14, 0, s14
	s_mul_hi_u32 s27, s24, s26
	s_mul_i32 s26, s24, s26
	s_add_u32 s5, s5, s26
	s_mul_hi_u32 s25, s24, s20
	s_addc_u32 s5, s14, s27
	s_addc_u32 s14, s25, 0
	s_mul_i32 s20, s24, s20
	s_add_u32 s5, s5, s20
	s_addc_u32 s14, 0, s14
	v_add_co_u32_e32 v0, vcc, s5, v9
	s_cmp_lg_u64 vcc, 0
	s_addc_u32 s5, s24, s14
	v_readfirstlane_b32 s20, v0
	s_mul_i32 s14, s0, s5
	s_mul_hi_u32 s24, s0, s20
	s_add_i32 s14, s24, s14
	s_mul_i32 s1, s1, s20
	s_add_i32 s14, s14, s1
	s_mul_i32 s0, s0, s20
	s_mul_hi_u32 s24, s5, s0
	s_mul_i32 s25, s5, s0
	s_mul_i32 s27, s20, s14
	s_mul_hi_u32 s0, s20, s0
	s_mul_hi_u32 s26, s20, s14
	s_add_u32 s0, s0, s27
	s_addc_u32 s20, 0, s26
	s_add_u32 s0, s0, s25
	s_mul_hi_u32 s1, s5, s14
	s_addc_u32 s0, s20, s24
	s_addc_u32 s1, s1, 0
	s_mul_i32 s14, s5, s14
	s_add_u32 s0, s0, s14
	s_addc_u32 s1, 0, s1
	v_add_co_u32_e32 v0, vcc, s0, v0
	s_cmp_lg_u64 vcc, 0
	s_addc_u32 s5, s5, s1
	s_ashr_i32 s0, s11, 31
	s_add_u32 s24, s4, s0
	s_mov_b32 s1, s0
	s_addc_u32 s25, s11, s0
	s_xor_b64 s[24:25], s[24:25], s[0:1]
	v_readfirstlane_b32 s14, v0
	s_mul_i32 s11, s24, s5
	s_mul_hi_u32 s20, s24, s14
	s_mul_hi_u32 s1, s24, s5
	s_add_u32 s11, s20, s11
	s_addc_u32 s1, 0, s1
	s_mul_hi_u32 s26, s25, s14
	s_mul_i32 s14, s25, s14
	s_add_u32 s11, s11, s14
	s_mul_hi_u32 s20, s25, s5
	s_addc_u32 s1, s1, s26
	s_addc_u32 s11, s20, 0
	s_mul_i32 s5, s25, s5
	s_add_u32 s1, s1, s5
	s_addc_u32 s5, 0, s11
	s_mul_i32 s5, s9, s5
	s_mul_hi_u32 s20, s9, s1
	s_add_i32 s20, s20, s5
	s_mul_i32 s5, s9, s1
	v_mov_b32_e32 v0, s5
	s_add_u32 s11, s1, 1
	s_add_u32 s14, s1, 2
	v_sub_co_u32_e32 v0, vcc, s24, v0
	s_cmp_lg_u64 vcc, 0
	s_subb_u32 s5, s25, s20
	v_subrev_co_u32_e32 v1, vcc, s9, v0
	s_cmp_lg_u64 vcc, 0
	s_subb_u32 s20, s5, 0
	v_cmp_le_u32_e32 vcc, s9, v1
	s_cmp_eq_u32 s20, 0
	v_cndmask_b32_e64 v1, 0, -1, vcc
	s_cselect_b64 vcc, -1, 0
	v_cndmask_b32_e32 v1, -1, v1, vcc
	v_mov_b32_e32 v13, s11
	v_mov_b32_e32 v14, s14
	v_cmp_ne_u32_e32 vcc, 0, v1
	v_cndmask_b32_e32 v1, v13, v14, vcc
	v_cmp_le_u32_e32 vcc, s9, v0
	s_cmp_eq_u32 s5, 0
	v_cndmask_b32_e64 v0, 0, -1, vcc
	s_cselect_b64 vcc, -1, 0
	v_cndmask_b32_e32 v0, -1, v0, vcc
	v_mov_b32_e32 v13, s1
	v_cmp_ne_u32_e32 vcc, 0, v0
	v_cndmask_b32_e32 v0, v13, v1, vcc
	v_xor_b32_e32 v0, s0, v0
	v_subrev_co_u32_e32 v0, vcc, s0, v0
	s_cbranch_execnz .LBB12_11
.LBB12_10:
	s_sub_i32 s0, 0, s9
	v_mul_lo_u32 v0, s0, v11
	v_mul_hi_u32 v0, v11, v0
	v_add_u32_e32 v0, v11, v0
	v_mul_hi_u32 v0, s4, v0
	v_mul_lo_u32 v13, v0, s9
	v_sub_u32_e32 v13, s4, v13
	v_add_u32_e32 v1, 1, v0
	v_subrev_u32_e32 v14, s9, v13
	v_cmp_le_u32_e32 vcc, s9, v13
	v_cndmask_b32_e32 v13, v13, v14, vcc
	v_cndmask_b32_e32 v0, v0, v1, vcc
	v_add_u32_e32 v1, 1, v0
	v_cmp_le_u32_e32 vcc, s9, v13
	v_cndmask_b32_e32 v0, v0, v1, vcc
.LBB12_11:
	v_cmp_ne_u32_e32 vcc, v8, v0
	s_cbranch_vccz .LBB12_14
; %bb.12:
	s_add_i32 s0, s8, s9
	s_lshl_b32 s0, s0, 4
	v_mul_hi_u32 v1, v0, s16
	s_add_i32 s0, s0, s21
	s_mov_b32 s1, s10
	v_add_u32_e32 v1, v1, v0
	s_lshl_b64 s[0:1], s[0:1], 3
	v_lshrrev_b32_e32 v1, s17, v1
	s_add_u32 s4, s2, s0
	v_mul_lo_u32 v13, v1, s18
	s_addc_u32 s5, s3, s1
	v_cmp_eq_u32_e32 vcc, v13, v0
	v_cmp_gt_u32_e64 s[0:1], s19, v1
	s_or_b64 s[0:1], s[0:1], vcc
	s_and_b64 vcc, exec, s[0:1]
	s_cbranch_vccnz .LBB12_16
; %bb.13:
	s_add_i32 s11, s8, -1
	s_mov_b64 s[0:1], 0
	s_branch .LBB12_17
.LBB12_14:
                                        ; implicit-def: $sgpr0_sgpr1
                                        ; implicit-def: $vgpr14
                                        ; implicit-def: $vgpr1
                                        ; implicit-def: $vgpr13
                                        ; implicit-def: $sgpr11
                                        ; implicit-def: $vgpr0
	s_branch .LBB12_18
.LBB12_15:
                                        ; implicit-def: $vgpr0_vgpr1
	s_branch .LBB12_10
.LBB12_16:
	s_mov_b64 s[0:1], -1
	s_mov_b32 s11, s8
	v_mov_b32_e32 v0, v8
.LBB12_17:
	v_lshl_add_u32 v14, s8, 10, v4
	v_ashrrev_i32_e32 v15, 31, v14
	v_lshlrev_b64 v[14:15], 2, v[14:15]
	v_mov_b32_e32 v1, s23
	v_add_co_u32_e32 v14, vcc, s22, v14
	v_addc_co_u32_e32 v15, vcc, v1, v15, vcc
	global_load_dword v14, v[14:15], off
	s_load_dwordx2 s[4:5], s[4:5], 0x0
	v_max_f32_e32 v1, v7, v7
	s_waitcnt lgkmcnt(0)
	v_max_f32_e64 v13, s4, s4
	v_max_f32_e32 v1, v1, v13
	v_sub_f32_e32 v13, v7, v1
	v_sub_f32_e32 v15, s4, v1
	v_mul_f32_e32 v16, 0x3fb8aa3b, v13
	v_mul_f32_e32 v17, 0x3fb8aa3b, v15
	v_fma_f32 v18, v13, s6, -v16
	v_rndne_f32_e32 v19, v16
	v_fma_f32 v20, v15, s6, -v17
	v_rndne_f32_e32 v21, v17
	v_fmac_f32_e32 v18, 0x32a5705f, v13
	v_sub_f32_e32 v16, v16, v19
	v_fmac_f32_e32 v20, 0x32a5705f, v15
	v_sub_f32_e32 v17, v17, v21
	v_add_f32_e32 v16, v16, v18
	v_cvt_i32_f32_e32 v19, v19
	v_add_f32_e32 v17, v17, v20
	v_exp_f32_e32 v16, v16
	v_cvt_i32_f32_e32 v21, v21
	v_exp_f32_e32 v17, v17
	v_cmp_ngt_f32_e32 vcc, s7, v13
	v_ldexp_f32 v16, v16, v19
	v_cndmask_b32_e32 v16, 0, v16, vcc
	v_ldexp_f32 v17, v17, v21
	v_cmp_ngt_f32_e32 vcc, s7, v15
	v_cndmask_b32_e32 v17, 0, v17, vcc
	v_cmp_nlt_f32_e32 vcc, s12, v13
	v_cndmask_b32_e32 v16, v12, v16, vcc
	v_cmp_nlt_f32_e32 vcc, s12, v15
	v_cndmask_b32_e32 v17, v12, v17, vcc
	v_cmp_le_f32_e32 vcc, s13, v13
	v_cndmask_b32_e32 v16, 0, v16, vcc
	v_cmp_le_f32_e32 vcc, s13, v15
	v_cndmask_b32_e32 v15, 0, v17, vcc
	v_mul_f32_e32 v13, s5, v15
	v_fmac_f32_e32 v13, v6, v16
	s_waitcnt vmcnt(0)
	v_mul_f32_e32 v14, v14, v15
	v_fmac_f32_e32 v14, v5, v16
	s_cbranch_execnz .LBB12_19
.LBB12_18:
	s_add_i32 s11, s8, -1
	s_mov_b64 s[0:1], 0
	v_mov_b32_e32 v0, v8
	v_mov_b32_e32 v13, v6
	;; [unrolled: 1-line block ×3, first 2 shown]
	s_waitcnt vmcnt(0)
	v_mov_b32_e32 v14, v5
.LBB12_19:
	s_andn2_b64 vcc, exec, s[0:1]
	s_cbranch_vccz .LBB12_23
; %bb.20:
	v_mov_b32_e32 v8, v0
	s_mov_b32 s8, s11
	v_mov_b32_e32 v6, v13
	v_mov_b32_e32 v7, v1
	s_waitcnt vmcnt(0)
	v_mov_b32_e32 v5, v14
	s_mul_hi_i32 s11, s8, s15
	s_cmp_lg_u64 s[10:11], 0
	s_mul_i32 s4, s8, s15
	s_cbranch_scc1 .LBB12_9
	s_branch .LBB12_15
.LBB12_21:
                                        ; implicit-def: $sgpr20_sgpr21
	s_load_dwordx4 s[16:19], s[4:5], 0x44
	s_branch .LBB12_2
.LBB12_22:
                                        ; implicit-def: $vgpr2_vgpr3
	s_branch .LBB12_5
.LBB12_23:
	v_div_scale_f32 v0, s[0:1], v13, v13, v14
	v_rcp_f32_e32 v1, v0
	v_div_scale_f32 v4, vcc, v14, v13, v14
	s_waitcnt vmcnt(0)
	v_fma_f32 v5, -v0, v1, 1.0
	v_fmac_f32_e32 v1, v5, v1
	v_mul_f32_e32 v5, v4, v1
	v_fma_f32 v6, -v0, v5, v4
	v_fmac_f32_e32 v5, v6, v1
	v_fma_f32 v0, -v0, v5, v4
	v_div_fmas_f32 v0, v0, v1, v5
	v_div_fixup_f32 v0, v0, v13, v14
	global_store_dword v[2:3], v0, off
.LBB12_24:
	s_endpgm
	.section	.rodata,"a",@progbits
	.p2align	6, 0x0
	.amdhsa_kernel _ZL33flash_attn_stream_k_fixup_generalILi64ELi2ELi8EEvPfPK15HIP_vector_typeIfLj2EEiiiiS1_IjLj3EES5_S5_S5_
		.amdhsa_group_segment_fixed_size 0
		.amdhsa_private_segment_fixed_size 0
		.amdhsa_kernarg_size 336
		.amdhsa_user_sgpr_count 6
		.amdhsa_user_sgpr_private_segment_buffer 1
		.amdhsa_user_sgpr_dispatch_ptr 0
		.amdhsa_user_sgpr_queue_ptr 0
		.amdhsa_user_sgpr_kernarg_segment_ptr 1
		.amdhsa_user_sgpr_dispatch_id 0
		.amdhsa_user_sgpr_flat_scratch_init 0
		.amdhsa_user_sgpr_kernarg_preload_length 0
		.amdhsa_user_sgpr_kernarg_preload_offset 0
		.amdhsa_user_sgpr_private_segment_size 0
		.amdhsa_uses_dynamic_stack 0
		.amdhsa_system_sgpr_private_segment_wavefront_offset 0
		.amdhsa_system_sgpr_workgroup_id_x 1
		.amdhsa_system_sgpr_workgroup_id_y 1
		.amdhsa_system_sgpr_workgroup_id_z 1
		.amdhsa_system_sgpr_workgroup_info 0
		.amdhsa_system_vgpr_workitem_id 0
		.amdhsa_next_free_vgpr 22
		.amdhsa_next_free_sgpr 32
		.amdhsa_accum_offset 24
		.amdhsa_reserve_vcc 1
		.amdhsa_reserve_flat_scratch 0
		.amdhsa_float_round_mode_32 0
		.amdhsa_float_round_mode_16_64 0
		.amdhsa_float_denorm_mode_32 3
		.amdhsa_float_denorm_mode_16_64 3
		.amdhsa_dx10_clamp 1
		.amdhsa_ieee_mode 1
		.amdhsa_fp16_overflow 0
		.amdhsa_tg_split 0
		.amdhsa_exception_fp_ieee_invalid_op 0
		.amdhsa_exception_fp_denorm_src 0
		.amdhsa_exception_fp_ieee_div_zero 0
		.amdhsa_exception_fp_ieee_overflow 0
		.amdhsa_exception_fp_ieee_underflow 0
		.amdhsa_exception_fp_ieee_inexact 0
		.amdhsa_exception_int_div_zero 0
	.end_amdhsa_kernel
	.section	.text._ZL33flash_attn_stream_k_fixup_generalILi64ELi2ELi8EEvPfPK15HIP_vector_typeIfLj2EEiiiiS1_IjLj3EES5_S5_S5_,"axG",@progbits,_ZL33flash_attn_stream_k_fixup_generalILi64ELi2ELi8EEvPfPK15HIP_vector_typeIfLj2EEiiiiS1_IjLj3EES5_S5_S5_,comdat
.Lfunc_end12:
	.size	_ZL33flash_attn_stream_k_fixup_generalILi64ELi2ELi8EEvPfPK15HIP_vector_typeIfLj2EEiiiiS1_IjLj3EES5_S5_S5_, .Lfunc_end12-_ZL33flash_attn_stream_k_fixup_generalILi64ELi2ELi8EEvPfPK15HIP_vector_typeIfLj2EEiiiiS1_IjLj3EES5_S5_S5_
                                        ; -- End function
	.section	.AMDGPU.csdata,"",@progbits
; Kernel info:
; codeLenInByte = 2824
; NumSgprs: 36
; NumVgprs: 22
; NumAgprs: 0
; TotalNumVgprs: 22
; ScratchSize: 0
; MemoryBound: 0
; FloatMode: 240
; IeeeMode: 1
; LDSByteSize: 0 bytes/workgroup (compile time only)
; SGPRBlocks: 4
; VGPRBlocks: 2
; NumSGPRsForWavesPerEU: 36
; NumVGPRsForWavesPerEU: 22
; AccumOffset: 24
; Occupancy: 8
; WaveLimiterHint : 0
; COMPUTE_PGM_RSRC2:SCRATCH_EN: 0
; COMPUTE_PGM_RSRC2:USER_SGPR: 6
; COMPUTE_PGM_RSRC2:TRAP_HANDLER: 0
; COMPUTE_PGM_RSRC2:TGID_X_EN: 1
; COMPUTE_PGM_RSRC2:TGID_Y_EN: 1
; COMPUTE_PGM_RSRC2:TGID_Z_EN: 1
; COMPUTE_PGM_RSRC2:TIDIG_COMP_CNT: 0
; COMPUTE_PGM_RSRC3_GFX90A:ACCUM_OFFSET: 5
; COMPUTE_PGM_RSRC3_GFX90A:TG_SPLIT: 0
	.section	.text._ZL15flash_attn_tileILi64ELi64ELi1ELi8ELb0EEvPKcS1_S1_S1_S1_PKiPfP15HIP_vector_typeIfLj2EEffffjfiS5_IjLj3EEiiiiiiiiiiiliiliiiiil,"axG",@progbits,_ZL15flash_attn_tileILi64ELi64ELi1ELi8ELb0EEvPKcS1_S1_S1_S1_PKiPfP15HIP_vector_typeIfLj2EEffffjfiS5_IjLj3EEiiiiiiiiiiiliiliiiiil,comdat
	.globl	_ZL15flash_attn_tileILi64ELi64ELi1ELi8ELb0EEvPKcS1_S1_S1_S1_PKiPfP15HIP_vector_typeIfLj2EEffffjfiS5_IjLj3EEiiiiiiiiiiiliiliiiiil ; -- Begin function _ZL15flash_attn_tileILi64ELi64ELi1ELi8ELb0EEvPKcS1_S1_S1_S1_PKiPfP15HIP_vector_typeIfLj2EEffffjfiS5_IjLj3EEiiiiiiiiiiiliiliiiiil
	.p2align	8
	.type	_ZL15flash_attn_tileILi64ELi64ELi1ELi8ELb0EEvPKcS1_S1_S1_S1_PKiPfP15HIP_vector_typeIfLj2EEffffjfiS5_IjLj3EEiiiiiiiiiiiliiliiiiil,@function
_ZL15flash_attn_tileILi64ELi64ELi1ELi8ELb0EEvPKcS1_S1_S1_S1_PKiPfP15HIP_vector_typeIfLj2EEffffjfiS5_IjLj3EEiiiiiiiiiiiliiliiiiil: ; @_ZL15flash_attn_tileILi64ELi64ELi1ELi8ELb0EEvPKcS1_S1_S1_S1_PKiPfP15HIP_vector_typeIfLj2EEffffjfiS5_IjLj3EEiiiiiiiiiiiliiliiiiil
; %bb.0:
	s_load_dwordx4 s[28:31], s[4:5], 0x5c
	s_load_dwordx2 s[34:35], s[4:5], 0x80
	s_load_dwordx16 s[12:27], s[4:5], 0x0
	s_mov_b64 s[36:37], 0
	s_waitcnt lgkmcnt(0)
	s_ashr_i32 s0, s31, 31
	s_lshr_b32 s0, s0, 29
	s_add_i32 s0, s31, s0
	s_ashr_i32 s0, s0, 3
	v_cvt_f32_u32_e32 v1, s0
	s_sub_i32 s1, 0, s0
	v_rcp_iflag_f32_e32 v1, v1
	v_mul_f32_e32 v1, 0x4f7ffffe, v1
	v_cvt_u32_f32_e32 v1, v1
	v_readfirstlane_b32 s2, v1
	s_mul_i32 s1, s1, s2
	s_mul_hi_u32 s1, s2, s1
	s_add_i32 s2, s2, s1
	s_mul_hi_u32 s1, s8, s2
	s_mul_i32 s2, s1, s0
	s_sub_i32 s2, s8, s2
	s_add_i32 s3, s1, 1
	s_sub_i32 s9, s2, s0
	s_cmp_ge_u32 s2, s0
	s_cselect_b32 s1, s3, s1
	s_cselect_b32 s2, s9, s2
	s_add_i32 s3, s1, 1
	s_cmp_ge_u32 s2, s0
	s_cselect_b32 s33, s3, s1
	s_abs_i32 s0, s35
	v_cvt_f32_u32_e32 v1, s0
	s_lshl_b32 s1, s8, 3
	s_mul_i32 s8, s33, s31
	s_xor_b32 s2, s31, s35
	v_rcp_iflag_f32_e32 v1, v1
	s_sub_i32 s9, 0, s0
	s_sub_i32 s35, s1, s8
	s_abs_i32 s3, s31
	v_mul_f32_e32 v1, 0x4f7ffffe, v1
	v_cvt_u32_f32_e32 v1, v1
	s_ashr_i32 s2, s2, 31
	v_readfirstlane_b32 s1, v1
	s_mul_i32 s9, s9, s1
	s_mul_hi_u32 s8, s1, s9
	s_add_i32 s1, s1, s8
	s_mul_hi_u32 s1, s3, s1
	s_mul_i32 s8, s1, s0
	s_sub_i32 s3, s3, s8
	s_add_i32 s9, s1, 1
	s_sub_i32 s8, s3, s0
	s_cmp_ge_u32 s3, s0
	s_cselect_b32 s1, s9, s1
	s_cselect_b32 s3, s8, s3
	s_add_i32 s8, s1, 1
	s_cmp_ge_u32 s3, s0
	s_cselect_b32 s0, s8, s1
	s_xor_b32 s0, s0, s2
	s_sub_i32 s11, s0, s2
	s_abs_i32 s10, s11
	v_cvt_f32_u32_e32 v1, s10
	s_load_dwordx2 s[0:1], s[4:5], 0xb8
	s_cmp_eq_u64 s[18:19], 0
	v_rcp_iflag_f32_e32 v1, v1
	v_mul_f32_e32 v1, 0x4f7ffffe, v1
	v_cvt_u32_f32_e32 v1, v1
	v_readfirstlane_b32 s38, v1
	s_cbranch_scc1 .LBB13_2
; %bb.1:
	s_waitcnt lgkmcnt(0)
	s_abs_i32 s0, s0
	v_cvt_f32_u32_e32 v1, s0
	s_sub_i32 s36, 0, s0
	s_abs_i32 s9, s33
	s_ashr_i32 s8, s33, 31
	v_rcp_iflag_f32_e32 v1, v1
	s_load_dwordx2 s[2:3], s[4:5], 0xc8
	v_mul_f32_e32 v1, 0x4f7ffffe, v1
	v_cvt_u32_f32_e32 v1, v1
	v_readfirstlane_b32 s37, v1
	s_mul_i32 s36, s36, s37
	s_mul_hi_u32 s36, s37, s36
	s_add_i32 s37, s37, s36
	s_mul_hi_u32 s36, s9, s37
	s_mul_i32 s36, s36, s0
	s_sub_i32 s9, s9, s36
	s_sub_i32 s36, s9, s0
	s_cmp_ge_u32 s9, s0
	s_cselect_b32 s9, s36, s9
	s_sub_i32 s36, s9, s0
	s_cmp_ge_u32 s9, s0
	s_cselect_b32 s0, s36, s9
	s_xor_b32 s0, s0, s8
	s_sub_i32 s0, s0, s8
	s_ashr_i32 s8, s0, 31
	s_waitcnt lgkmcnt(0)
	s_mul_i32 s3, s0, s3
	s_mul_hi_u32 s9, s0, s2
	s_add_i32 s3, s9, s3
	s_mul_i32 s8, s8, s2
	s_add_i32 s3, s3, s8
	s_mul_i32 s0, s0, s2
	s_add_u32 s36, s18, s0
	s_addc_u32 s37, s19, s3
.LBB13_2:
	s_load_dwordx4 s[40:43], s[4:5], 0x70
	v_bfe_u32 v6, v0, 10, 10
	v_lshrrev_b32_e32 v1, 2, v6
	v_add_u32_e32 v1, s6, v1
	v_mul_hi_u32 v2, s28, v1
	s_waitcnt lgkmcnt(0)
	s_mul_i32 s0, s33, s42
	s_ashr_i32 s3, s0, 31
	s_mul_i32 s2, s35, s41
	s_add_u32 s0, s12, s0
	v_add_u32_e32 v2, v1, v2
	s_addc_u32 s3, s13, s3
	s_ashr_i32 s8, s2, 31
	v_lshrrev_b32_e32 v2, s29, v2
	s_add_u32 s0, s0, s2
	v_mul_lo_u32 v2, v2, s30
	s_addc_u32 s8, s3, s8
	v_sub_u32_e32 v4, v1, v2
	s_ashr_i32 s12, s40, 31
	v_mov_b32_e32 v2, s40
	v_alignbit_b32 v2, s12, v2, 2
	v_mad_u64_u32 v[2:3], s[2:3], v2, v4, 0
	v_mov_b32_e32 v8, v3
	s_lshr_b32 s2, s12, 2
	v_mad_u64_u32 v[8:9], s[2:3], s2, v4, v[8:9]
	v_mov_b32_e32 v3, v8
	v_lshlrev_b64 v[2:3], 2, v[2:3]
	v_and_b32_e32 v0, 0x3ff, v0
	v_mov_b32_e32 v7, s8
	v_add_co_u32_e32 v2, vcc, s0, v2
	v_addc_co_u32_e32 v3, vcc, v7, v3, vcc
	v_lshlrev_b32_e32 v7, 3, v0
	v_lshlrev_b32_e32 v5, 1, v6
	s_ashr_i32 s9, s41, 31
	v_add_co_u32_e32 v7, vcc, v2, v7
	v_mov_b32_e32 v2, s41
	v_and_b32_e32 v19, 6, v5
	v_alignbit_b32 v10, s9, v2, 2
	v_addc_co_u32_e32 v12, vcc, 0, v3, vcc
	v_mad_u64_u32 v[2:3], s[2:3], v10, v19, 0
	v_mov_b32_e32 v8, v3
	s_lshr_b32 s0, s9, 2
	v_or_b32_e32 v5, 1, v5
	v_mad_u64_u32 v[8:9], s[2:3], s0, v19, v[8:9]
	v_and_b32_e32 v11, 7, v5
	v_mov_b32_e32 v3, v8
	v_mad_u64_u32 v[8:9], s[2:3], v10, v11, 0
	v_mov_b32_e32 v10, v9
	v_lshlrev_b64 v[2:3], 2, v[2:3]
	v_mad_u64_u32 v[10:11], s[2:3], s0, v11, v[10:11]
	v_add_co_u32_e32 v2, vcc, v7, v2
	v_mov_b32_e32 v9, v10
	v_addc_co_u32_e32 v3, vcc, v12, v3, vcc
	v_lshlrev_b64 v[8:9], 2, v[8:9]
	v_add_co_u32_e32 v8, vcc, v7, v8
	v_addc_co_u32_e32 v9, vcc, v12, v9, vcc
	global_load_dwordx2 v[10:11], v[2:3], off
	global_load_dwordx2 v[12:13], v[8:9], off
	s_load_dword s0, s[4:5], 0x40
	v_lshlrev_b32_e32 v2, 6, v6
	v_lshlrev_b32_e32 v3, 5, v5
	v_add_lshl_u32 v2, v2, v0, 2
	s_cmp_eq_u64 s[22:23], 0
	v_add_lshl_u32 v3, v3, v0, 2
	s_waitcnt vmcnt(1) lgkmcnt(0)
	v_fma_mixlo_f16 v5, v10, s0, 0
	s_waitcnt vmcnt(0)
	v_fma_mixlo_f16 v7, v12, s0, 0
	v_fma_mixhi_f16 v5, v11, s0, 0
	v_fma_mixhi_f16 v7, v13, s0, 0
	ds_write_b32 v2, v5 offset:4608
	ds_write_b32 v3, v7 offset:4608
	s_waitcnt lgkmcnt(0)
	s_barrier
	s_cbranch_scc1 .LBB13_4
; %bb.3:
	s_load_dword s0, s[4:5], 0xd0
	s_mov_b32 s3, 0
	s_waitcnt lgkmcnt(0)
	s_mul_i32 s0, s0, s33
	s_add_i32 s2, s0, s6
	s_lshl_b64 s[2:3], s[2:3], 2
	s_add_u32 s2, s22, s2
	s_addc_u32 s3, s23, s3
	s_load_dword s34, s[2:3], 0x0
.LBB13_4:
	s_lshl_b32 s22, s7, 5
	s_waitcnt lgkmcnt(0)
	s_cmp_lt_i32 s22, s34
	v_mbcnt_lo_u32_b32 v10, -1, 0
	s_cbranch_scc1 .LBB13_6
; %bb.5:
	v_mbcnt_hi_u32_b32 v20, -1, v10
	v_and_b32_e32 v2, 0x60, v20
	s_mov_b32 s2, 0xfeffffff
	s_mov_b32 s0, 0
	v_add_u32_e32 v21, 32, v2
	v_xor_b32_e32 v26, 16, v20
	v_xor_b32_e32 v25, 8, v20
	;; [unrolled: 1-line block ×5, first 2 shown]
	s_mov_b32 s3, s2
	s_mov_b64 s[8:9], 0
	s_branch .LBB13_7
.LBB13_6:
	s_mov_b64 s[8:9], -1
                                        ; implicit-def: $sgpr0
                                        ; implicit-def: $sgpr2_sgpr3
                                        ; implicit-def: $vgpr20
                                        ; implicit-def: $vgpr21
                                        ; implicit-def: $vgpr26
                                        ; implicit-def: $vgpr25
                                        ; implicit-def: $vgpr24
                                        ; implicit-def: $vgpr23
                                        ; implicit-def: $vgpr22
.LBB13_7:
	s_andn2_b64 vcc, exec, s[8:9]
	v_mov_b32_e32 v3, s0
	v_pk_mov_b32 v[16:17], s[2:3], s[2:3] op_sel:[0,1]
	v_mov_b32_e32 v5, s0
	v_mov_b32_e32 v2, s0
	;; [unrolled: 1-line block ×3, first 2 shown]
	s_cbranch_vccnz .LBB13_10
; %bb.8:
	s_load_dwordx2 s[2:3], s[4:5], 0x8c
	s_load_dwordx4 s[40:43], s[4:5], 0x98
	s_sub_i32 s0, 0, s10
	s_mul_i32 s0, s0, s38
	s_mul_hi_u32 s0, s38, s0
	s_waitcnt lgkmcnt(0)
	s_ashr_i32 s28, s2, 2
	s_ashr_i32 s2, s33, 31
	s_mul_i32 s13, s33, s41
	s_mul_hi_u32 s18, s33, s40
	s_add_i32 s13, s18, s13
	s_mul_i32 s18, s2, s40
	s_abs_i32 s6, s35
	s_add_i32 s38, s38, s0
	s_ashr_i32 s12, s35, 31
	s_ashr_i32 s11, s11, 31
	;; [unrolled: 1-line block ×4, first 2 shown]
	s_add_i32 s13, s13, s18
	s_mul_i32 s18, s33, s40
	s_mul_hi_u32 s0, s6, s38
	s_add_u32 s14, s14, s18
	s_addc_u32 s13, s15, s13
	s_xor_b32 s11, s12, s11
	s_mul_i32 s12, s0, s10
	s_sub_i32 s6, s6, s12
	s_add_i32 s12, s0, 1
	s_sub_i32 s15, s6, s10
	s_cmp_ge_u32 s6, s10
	s_cselect_b32 s0, s12, s0
	s_cselect_b32 s6, s15, s6
	s_add_i32 s12, s0, 1
	s_cmp_ge_u32 s6, s10
	s_cselect_b32 s0, s12, s0
	s_load_dwordx2 s[8:9], s[4:5], 0xa8
	s_xor_b32 s0, s0, s11
	s_sub_i32 s0, s0, s11
	s_mul_i32 s3, s0, s3
	s_ashr_i32 s6, s3, 31
	s_add_u32 s29, s14, s3
	s_addc_u32 s38, s13, s6
	s_waitcnt lgkmcnt(0)
	s_mul_i32 s3, s33, s9
	s_mul_hi_u32 s6, s33, s8
	s_add_i32 s3, s6, s3
	s_mul_i32 s2, s2, s8
	s_add_i32 s3, s3, s2
	s_mul_i32 s2, s33, s8
	s_add_u32 s2, s16, s2
	s_mul_i32 s0, s0, s43
	v_lshrrev_b32_e32 v2, 3, v0
	v_lshlrev_b32_e32 v27, 2, v0
	s_addc_u32 s3, s17, s3
	s_ashr_i32 s6, s0, 31
	v_lshl_add_u32 v3, v6, 2, v2
	v_and_b32_e32 v2, 28, v27
	s_add_u32 s39, s2, s0
	v_lshlrev_b32_e32 v7, 2, v2
	s_movk_i32 s0, 0x90
	v_mov_b32_e32 v5, 0x1200
	v_mad_u32_u24 v28, v3, s0, v7
	v_mul_lo_u32 v8, s28, v3
	v_lshl_add_u32 v31, v6, 8, v5
	v_mad_u64_u32 v[4:5], s[0:1], v4, s1, v[0:1]
	v_mul_lo_u32 v16, s23, v3
	s_addc_u32 s40, s3, s6
	v_lshl_add_u32 v12, s28, 4, v8
	v_mov_b32_e32 v5, 0x1600
	v_lshl_add_u32 v40, s23, 4, v16
	v_mbcnt_hi_u32_b32 v20, -1, v10
	v_mov_b32_e32 v18, 0
	v_ashrrev_i32_e32 v9, 31, v8
	v_ashrrev_i32_e32 v13, 31, v12
	v_lshl_add_u32 v32, v6, 7, v5
	v_lshl_or_b32 v33, v3, 7, v7
	v_ashrrev_i32_e32 v17, 31, v16
	v_ashrrev_i32_e32 v41, 31, v40
	s_add_u32 s18, s4, 0xd0
	v_mov_b32_e32 v14, 0xfeffffff
	v_lshlrev_b32_e32 v35, 2, v2
	v_and_b32_e32 v2, 0x60, v20
	v_add_u32_e32 v29, 0x900, v28
	v_mul_u32_u24_e32 v30, 0x90, v0
	v_add_u32_e32 v34, 0x800, v33
	s_addc_u32 s19, s5, 0
	v_lshlrev_b64 v[6:7], 2, v[8:9]
	v_lshlrev_b64 v[8:9], 2, v[12:13]
	v_mov_b32_e32 v36, s37
	v_add_u32_e32 v21, 32, v2
	v_xor_b32_e32 v26, 16, v20
	v_xor_b32_e32 v25, 8, v20
	v_xor_b32_e32 v24, 4, v20
	v_xor_b32_e32 v23, 2, v20
	v_xor_b32_e32 v22, 1, v20
	s_mov_b32 s6, 0x40051340
	s_mov_b32 s37, 0x3fb8aa3b
	;; [unrolled: 1-line block ×4, first 2 shown]
	v_mov_b32_e32 v37, 0x7f800000
	v_add_u32_e32 v38, v32, v27
	v_lshlrev_b64 v[10:11], 2, v[16:17]
	v_lshlrev_b64 v[12:13], 2, v[40:41]
	v_add_u32_e32 v39, 0x400, v27
	v_add_u32_e32 v40, 0x800, v27
	v_add_u32_e32 v41, 0xc00, v27
	v_mov_b32_e32 v5, 0
	v_mov_b32_e32 v15, v14
	;; [unrolled: 1-line block ×4, first 2 shown]
.LBB13_9:                               ; =>This Inner Loop Header: Depth=1
	s_mul_hi_i32 s13, s22, s28
	s_mul_i32 s12, s22, s28
	v_add_u32_e32 v42, s22, v4
	v_cmp_lt_i32_e64 s[0:1], v25, v21
	v_cmp_lt_i32_e64 s[2:3], v24, v21
	v_cndmask_b32_e64 v45, v20, v25, s[0:1]
	s_lshl_b64 s[0:1], s[12:13], 2
	v_ashrrev_i32_e32 v43, 31, v42
	v_cmp_lt_i32_e32 vcc, v26, v21
	v_cmp_lt_i32_e64 s[8:9], v22, v21
	v_cndmask_b32_e64 v46, v20, v24, s[2:3]
	s_add_u32 s2, s29, s0
	v_lshlrev_b64 v[42:43], 1, v[42:43]
	v_cmp_lt_i32_e64 s[10:11], v23, v21
	s_mul_hi_i32 s15, s22, s23
	s_mul_i32 s14, s22, s23
	v_cndmask_b32_e32 v44, v20, v26, vcc
	v_cndmask_b32_e64 v48, v20, v22, s[8:9]
	s_addc_u32 s8, s38, s1
	v_add_co_u32_e32 v54, vcc, s36, v42
	v_cndmask_b32_e64 v47, v20, v23, s[10:11]
	v_lshlrev_b32_e32 v62, 2, v44
	v_lshlrev_b32_e32 v63, 2, v45
	s_lshl_b64 s[10:11], s[14:15], 2
	v_add_co_u32_e64 v42, s[0:1], s2, v8
	v_add_co_u32_e64 v44, s[2:3], s2, v6
	v_addc_co_u32_e32 v55, vcc, v36, v43, vcc
	v_mov_b32_e32 v43, s8
	v_mov_b32_e32 v45, s8
	s_add_u32 s10, s39, s10
	v_add_co_u32_e32 v50, vcc, v42, v35
	v_add_co_u32_e64 v52, s[8:9], v44, v35
	v_addc_co_u32_e64 v42, s[2:3], v43, v7, s[2:3]
	v_addc_co_u32_e64 v43, s[0:1], v45, v9, s[0:1]
	v_add_co_u32_e64 v44, s[0:1], s10, v10
	v_add_co_u32_e64 v45, s[2:3], s10, v12
	v_addc_co_u32_e64 v53, s[8:9], 0, v42, s[8:9]
	v_addc_co_u32_e32 v51, vcc, 0, v43, vcc
	v_lshlrev_b32_e32 v64, 2, v46
	v_lshlrev_b32_e32 v65, 2, v47
	;; [unrolled: 1-line block ×3, first 2 shown]
	v_add_co_u32_e32 v56, vcc, v45, v35
	v_add_co_u32_e64 v58, s[8:9], v44, v35
	global_load_dwordx4 v[42:45], v[52:53], off
	global_load_dwordx4 v[46:49], v[50:51], off
	s_addc_u32 s11, s40, s11
	v_mov_b32_e32 v57, s11
	v_mov_b32_e32 v59, s11
	v_addc_co_u32_e64 v50, s[0:1], v57, v11, s[0:1]
	v_addc_co_u32_e64 v51, s[0:1], v59, v13, s[2:3]
	;; [unrolled: 1-line block ×3, first 2 shown]
	v_addc_co_u32_e32 v57, vcc, 0, v51, vcc
	v_mov_b32_e32 v16, 0
	v_mov_b32_e32 v17, 0
	v_max_f32_e32 v60, v15, v15
	v_max_f32_e32 v61, v14, v14
	s_waitcnt vmcnt(1)
	ds_write_b128 v28, v[42:45]
	s_waitcnt vmcnt(0)
	ds_write_b128 v29, v[46:49]
	s_waitcnt lgkmcnt(0)
	s_barrier
	ds_read_b128 v[42:45], v30
	ds_read_b128 v[46:49], v31
	ds_read_b128 v[50:53], v31 offset:128
	s_waitcnt lgkmcnt(1)
	;;#ASMSTART
	v_dot2_f32_f16 v16, v42, v46, v16
	;;#ASMEND
	;;#ASMSTART
	v_dot2_f32_f16 v16, v43, v47, v16
	;;#ASMEND
	;;#ASMSTART
	v_dot2_f32_f16 v16, v44, v48, v16
	;;#ASMEND
	;;#ASMSTART
	v_dot2_f32_f16 v16, v45, v49, v16
	;;#ASMEND
	s_waitcnt lgkmcnt(0)
	;;#ASMSTART
	v_dot2_f32_f16 v17, v42, v50, v17
	;;#ASMEND
	;;#ASMSTART
	v_dot2_f32_f16 v17, v43, v51, v17
	;;#ASMEND
	;;#ASMSTART
	v_dot2_f32_f16 v17, v44, v52, v17
	;;#ASMEND
	;;#ASMSTART
	v_dot2_f32_f16 v17, v45, v53, v17
	;;#ASMEND
	ds_read_b128 v[42:45], v30 offset:16
	ds_read_b128 v[46:49], v31 offset:16
	ds_read_b128 v[50:53], v31 offset:144
	s_waitcnt lgkmcnt(1)
	;;#ASMSTART
	v_dot2_f32_f16 v16, v42, v46, v16
	;;#ASMEND
	;;#ASMSTART
	v_dot2_f32_f16 v16, v43, v47, v16
	;;#ASMEND
	;;#ASMSTART
	v_dot2_f32_f16 v16, v44, v48, v16
	;;#ASMEND
	;;#ASMSTART
	v_dot2_f32_f16 v16, v45, v49, v16
	;;#ASMEND
	s_waitcnt lgkmcnt(0)
	;;#ASMSTART
	v_dot2_f32_f16 v17, v42, v50, v17
	;;#ASMEND
	;;#ASMSTART
	v_dot2_f32_f16 v17, v43, v51, v17
	;;#ASMEND
	;;#ASMSTART
	v_dot2_f32_f16 v17, v44, v52, v17
	;;#ASMEND
	;;#ASMSTART
	v_dot2_f32_f16 v17, v45, v53, v17
	;;#ASMEND
	ds_read_b128 v[42:45], v30 offset:32
	ds_read_b128 v[46:49], v31 offset:32
	;; [unrolled: 29-line block ×7, first 2 shown]
	ds_read_b128 v[50:53], v31 offset:240
	s_waitcnt lgkmcnt(1)
	;;#ASMSTART
	v_dot2_f32_f16 v16, v42, v46, v16
	;;#ASMEND
	;;#ASMSTART
	v_dot2_f32_f16 v16, v43, v47, v16
	;;#ASMEND
	;; [unrolled: 3-line block ×4, first 2 shown]
	s_waitcnt lgkmcnt(0)
	;;#ASMSTART
	v_dot2_f32_f16 v17, v42, v50, v17
	;;#ASMEND
	;;#ASMSTART
	v_dot2_f32_f16 v17, v43, v51, v17
	;;#ASMEND
	;; [unrolled: 3-line block ×4, first 2 shown]
	flat_load_ushort v50, v[54:55]
	s_waitcnt lgkmcnt(0)
	s_barrier
	global_load_dwordx4 v[42:45], v[58:59], off
	global_load_dwordx4 v[46:49], v[56:57], off
	s_waitcnt vmcnt(0)
	v_cvt_f32_f16_e32 v50, v50
	v_pk_add_f32 v[50:51], v[16:17], v[50:51] op_sel_hi:[1,0]
	v_pk_add_f32 v[16:17], v[50:51], s[6:7] op_sel_hi:[1,0]
	v_max_f32_e32 v17, v60, v17
	v_max_f32_e32 v16, v61, v16
	ds_bpermute_b32 v52, v62, v17
	ds_bpermute_b32 v53, v62, v16
	s_waitcnt lgkmcnt(1)
	v_max_f32_e32 v52, v52, v52
	s_waitcnt lgkmcnt(0)
	v_max_f32_e32 v53, v53, v53
	v_max_f32_e32 v17, v17, v52
	v_max_f32_e32 v16, v16, v53
	ds_bpermute_b32 v52, v63, v17
	ds_bpermute_b32 v53, v63, v16
	s_waitcnt lgkmcnt(1)
	v_max_f32_e32 v52, v52, v52
	s_waitcnt lgkmcnt(0)
	v_max_f32_e32 v53, v53, v53
	;; [unrolled: 8-line block ×5, first 2 shown]
	v_max_f32_e32 v17, v17, v52
	v_max_f32_e32 v16, v16, v53
	v_pk_add_f32 v[50:51], v[50:51], v[16:17] neg_lo:[0,1] neg_hi:[0,1]
	v_mul_f32_e32 v54, 0x3fb8aa3b, v51
	v_mul_f32_e32 v55, 0x3fb8aa3b, v50
	v_fma_f32 v58, v51, s37, -v54
	v_rndne_f32_e32 v59, v54
	v_fma_f32 v60, v50, s37, -v55
	v_rndne_f32_e32 v61, v55
	v_pk_add_f32 v[52:53], v[14:15], v[16:17] neg_lo:[0,1] neg_hi:[0,1]
	v_cmp_ngt_f32_e32 vcc, s41, v50
	v_cmp_ngt_f32_e64 s[8:9], s41, v51
	v_cmp_nlt_f32_e64 s[10:11], s42, v50
	v_cmp_nlt_f32_e64 s[16:17], s42, v51
	v_fmac_f32_e32 v58, 0x32a5705f, v51
	v_sub_f32_e32 v51, v54, v59
	v_fmac_f32_e32 v60, 0x32a5705f, v50
	v_sub_f32_e32 v50, v55, v61
	v_mul_f32_e32 v56, 0x3fb8aa3b, v53
	v_mul_f32_e32 v57, 0x3fb8aa3b, v52
	v_add_f32_e32 v51, v51, v58
	v_add_f32_e32 v50, v50, v60
	v_fma_f32 v62, v53, s37, -v56
	v_rndne_f32_e32 v63, v56
	v_fma_f32 v64, v52, s37, -v57
	v_rndne_f32_e32 v65, v57
	v_cvt_i32_f32_e32 v54, v59
	v_cvt_i32_f32_e32 v55, v61
	v_exp_f32_e32 v51, v51
	v_exp_f32_e32 v50, v50
	v_cmp_ngt_f32_e64 s[0:1], s41, v53
	v_cmp_ngt_f32_e64 s[2:3], s41, v52
	v_cmp_nlt_f32_e64 s[12:13], s42, v53
	v_cmp_nlt_f32_e64 s[14:15], s42, v52
	v_fmac_f32_e32 v62, 0x32a5705f, v53
	v_sub_f32_e32 v53, v56, v63
	v_fmac_f32_e32 v64, 0x32a5705f, v52
	v_sub_f32_e32 v52, v57, v65
	v_add_f32_e32 v53, v53, v62
	v_add_f32_e32 v52, v52, v64
	v_cvt_i32_f32_e32 v56, v63
	v_cvt_i32_f32_e32 v57, v65
	v_exp_f32_e32 v53, v53
	v_exp_f32_e32 v52, v52
	v_ldexp_f32 v51, v51, v54
	v_ldexp_f32 v50, v50, v55
	v_cndmask_b32_e64 v51, 0, v51, s[8:9]
	v_cndmask_b32_e32 v50, 0, v50, vcc
	v_cndmask_b32_e64 v51, v37, v51, s[16:17]
	v_cndmask_b32_e64 v50, v37, v50, s[10:11]
	v_ldexp_f32 v53, v53, v56
	v_ldexp_f32 v52, v52, v57
	v_cvt_f16_f32_e32 v54, v51
	v_cvt_f16_f32_e32 v55, v50
	v_cndmask_b32_e64 v53, 0, v53, s[0:1]
	v_cndmask_b32_e64 v52, 0, v52, s[2:3]
	v_cndmask_b32_e64 v53, v37, v53, s[12:13]
	v_cndmask_b32_e64 v52, v37, v52, s[14:15]
	v_cvt_f16_f32_e32 v64, v52
	v_cvt_f16_f32_e32 v65, v53
	v_pk_fma_f32 v[2:3], v[2:3], v[52:53], v[50:51]
	v_pack_b32_f16 v50, v55, v54
	ds_write_b32 v38, v50
	ds_write_b128 v33, v[42:45]
	ds_write_b128 v34, v[46:49]
	s_waitcnt lgkmcnt(0)
	s_barrier
	ds_read2_b32 v[62:63], v27 offset1:32
	ds_read_b128 v[42:45], v32
	ds_read_b128 v[46:49], v32 offset:16
	ds_read_b128 v[50:53], v32 offset:32
	;; [unrolled: 1-line block ×3, first 2 shown]
	ds_read2_b32 v[66:67], v27 offset0:64 offset1:96
	ds_read2_b32 v[68:69], v27 offset0:128 offset1:160
	;; [unrolled: 1-line block ×3, first 2 shown]
	ds_read2_b32 v[72:73], v39 offset1:32
	ds_read2_b32 v[74:75], v39 offset0:64 offset1:96
	ds_read2_b32 v[76:77], v39 offset0:128 offset1:160
	;; [unrolled: 1-line block ×3, first 2 shown]
	ds_read2_b32 v[80:81], v40 offset1:32
	ds_read2_b32 v[82:83], v40 offset0:64 offset1:96
	ds_read2_b32 v[84:85], v40 offset0:128 offset1:160
	ds_read_b128 v[58:61], v32 offset:64
	s_waitcnt lgkmcnt(14)
	v_pk_mul_f16 v86, v62, v42 op_sel_hi:[1,0]
	v_pk_mul_f16 v42, v62, v42 op_sel:[0,1]
	v_pk_fma_f16 v5, v64, v5, v86 op_sel_hi:[0,1,1]
	v_pk_fma_f16 v18, v18, v65, v42 op_sel_hi:[1,0,1]
	;; [unrolled: 1-line block ×3, first 2 shown]
	v_pk_fma_f16 v18, v63, v43, v18 op_sel:[0,1,0]
	s_waitcnt lgkmcnt(10)
	v_pk_fma_f16 v5, v66, v44, v5 op_sel_hi:[1,0,1]
	v_pk_fma_f16 v18, v66, v44, v18 op_sel:[0,1,0]
	v_pk_fma_f16 v5, v67, v45, v5 op_sel_hi:[1,0,1]
	v_pk_fma_f16 v18, v67, v45, v18 op_sel:[0,1,0]
	s_waitcnt lgkmcnt(9)
	v_pk_fma_f16 v5, v68, v46, v5 op_sel_hi:[1,0,1]
	v_pk_fma_f16 v18, v68, v46, v18 op_sel:[0,1,0]
	v_pk_fma_f16 v5, v69, v47, v5 op_sel_hi:[1,0,1]
	;; [unrolled: 5-line block ×6, first 2 shown]
	v_pk_fma_f16 v18, v77, v55, v18 op_sel:[0,1,0]
	s_waitcnt lgkmcnt(4)
	v_pk_fma_f16 v5, v78, v56, v5 op_sel_hi:[1,0,1]
	v_pk_fma_f16 v18, v78, v56, v18 op_sel:[0,1,0]
	ds_read_b128 v[62:65], v32 offset:80
	v_pk_fma_f16 v5, v79, v57, v5 op_sel_hi:[1,0,1]
	v_pk_fma_f16 v18, v79, v57, v18 op_sel:[0,1,0]
	s_waitcnt lgkmcnt(1)
	v_pk_fma_f16 v5, v80, v58, v5 op_sel_hi:[1,0,1]
	v_pk_fma_f16 v18, v80, v58, v18 op_sel:[0,1,0]
	v_pk_fma_f16 v5, v81, v59, v5 op_sel_hi:[1,0,1]
	v_pk_fma_f16 v18, v81, v59, v18 op_sel:[0,1,0]
	v_pk_fma_f16 v5, v82, v60, v5 op_sel_hi:[1,0,1]
	v_pk_fma_f16 v18, v82, v60, v18 op_sel:[0,1,0]
	ds_read2_b32 v[66:67], v40 offset0:192 offset1:224
	ds_read2_b32 v[86:87], v41 offset1:32
	ds_read2_b32 v[88:89], v41 offset0:64 offset1:96
	ds_read_b128 v[42:45], v32 offset:96
	ds_read_b128 v[46:49], v32 offset:112
	v_pk_fma_f16 v5, v83, v61, v5 op_sel_hi:[1,0,1]
	v_pk_fma_f16 v18, v83, v61, v18 op_sel:[0,1,0]
	s_waitcnt lgkmcnt(5)
	v_pk_fma_f16 v5, v84, v62, v5 op_sel_hi:[1,0,1]
	v_pk_fma_f16 v18, v84, v62, v18 op_sel:[0,1,0]
	v_pk_fma_f16 v5, v85, v63, v5 op_sel_hi:[1,0,1]
	v_pk_fma_f16 v18, v85, v63, v18 op_sel:[0,1,0]
	s_waitcnt lgkmcnt(4)
	v_pk_fma_f16 v5, v66, v64, v5 op_sel_hi:[1,0,1]
	v_pk_fma_f16 v18, v66, v64, v18 op_sel:[0,1,0]
	ds_read2_b32 v[68:69], v41 offset0:128 offset1:160
	v_pk_fma_f16 v5, v67, v65, v5 op_sel_hi:[1,0,1]
	v_pk_fma_f16 v18, v67, v65, v18 op_sel:[0,1,0]
	ds_read2_b32 v[50:51], v41 offset0:192 offset1:224
	s_waitcnt lgkmcnt(0)
	s_barrier
	s_load_dword s0, s[18:19], 0x4
	v_pk_fma_f16 v5, v86, v42, v5 op_sel_hi:[1,0,1]
	v_pk_fma_f16 v18, v86, v42, v18 op_sel:[0,1,0]
	v_pk_fma_f16 v5, v87, v43, v5 op_sel_hi:[1,0,1]
	v_pk_fma_f16 v18, v87, v43, v18 op_sel:[0,1,0]
	;; [unrolled: 2-line block ×5, first 2 shown]
	s_waitcnt lgkmcnt(0)
	s_lshl_b32 s0, s0, 5
	v_pk_fma_f16 v5, v69, v47, v5 op_sel_hi:[1,0,1]
	v_pk_fma_f16 v18, v69, v47, v18 op_sel:[0,1,0]
	s_add_i32 s22, s0, s22
	v_pk_fma_f16 v5, v50, v48, v5 op_sel_hi:[1,0,1]
	v_pk_fma_f16 v18, v50, v48, v18 op_sel:[0,1,0]
	v_mov_b32_e32 v14, v16
	v_mov_b32_e32 v15, v17
	s_cmp_ge_i32 s22, s34
	v_pk_fma_f16 v5, v51, v49, v5 op_sel_hi:[1,0,1]
	v_pk_fma_f16 v18, v51, v49, v18 op_sel:[0,1,0]
	s_cbranch_scc0 .LBB13_9
.LBB13_10:
	v_cmp_lt_i32_e32 vcc, v26, v21
	v_cndmask_b32_e32 v4, v20, v26, vcc
	v_lshlrev_b32_e32 v4, 2, v4
	ds_bpermute_b32 v6, v4, v2
	ds_bpermute_b32 v7, v4, v3
	v_cmp_lt_i32_e32 vcc, v25, v21
	v_cndmask_b32_e32 v4, v20, v25, vcc
	v_lshlrev_b32_e32 v4, 2, v4
	v_cmp_lt_i32_e32 vcc, v24, v21
	s_waitcnt lgkmcnt(0)
	v_pk_add_f32 v[2:3], v[2:3], v[6:7]
	ds_bpermute_b32 v6, v4, v2
	ds_bpermute_b32 v7, v4, v3
	v_cndmask_b32_e32 v4, v20, v24, vcc
	v_lshlrev_b32_e32 v4, 2, v4
	v_cmp_lt_i32_e32 vcc, v23, v21
	s_cmp_lg_u64 s[20:21], 0
	s_waitcnt lgkmcnt(0)
	v_pk_add_f32 v[2:3], v[2:3], v[6:7]
	ds_bpermute_b32 v6, v4, v2
	ds_bpermute_b32 v7, v4, v3
	v_cndmask_b32_e32 v4, v20, v23, vcc
	v_lshlrev_b32_e32 v4, 2, v4
	v_cmp_lt_i32_e32 vcc, v22, v21
	s_cselect_b64 s[2:3], -1, 0
	s_waitcnt lgkmcnt(0)
	v_pk_add_f32 v[2:3], v[2:3], v[6:7]
	ds_bpermute_b32 v6, v4, v2
	ds_bpermute_b32 v7, v4, v3
	v_cndmask_b32_e32 v4, v20, v22, vcc
	v_lshlrev_b32_e32 v4, 2, v4
	s_cmp_eq_u32 s7, 0
	s_cselect_b64 s[8:9], -1, 0
	s_waitcnt lgkmcnt(0)
	v_pk_add_f32 v[2:3], v[2:3], v[6:7]
	ds_bpermute_b32 v6, v4, v2
	ds_bpermute_b32 v7, v4, v3
	s_and_b64 s[2:3], s[8:9], s[2:3]
	v_lshlrev_b32_e32 v8, 1, v0
	s_mov_b64 s[0:1], 0
	s_and_b64 vcc, exec, s[2:3]
	s_waitcnt lgkmcnt(0)
	v_pk_add_f32 v[2:3], v[2:3], v[6:7]
	v_add_u32_e32 v6, s35, v19
	s_cbranch_vccnz .LBB13_12
; %bb.11:
	v_add_u32_e32 v4, s35, v19
	s_andn2_b64 vcc, exec, s[0:1]
	s_cbranch_vccz .LBB13_13
	s_branch .LBB13_14
.LBB13_12:
                                        ; implicit-def: $vgpr4
.LBB13_13:
	v_ashrrev_i32_e32 v7, 31, v6
	v_lshlrev_b64 v[10:11], 2, v[6:7]
	v_mov_b32_e32 v4, s21
	v_add_co_u32_e32 v10, vcc, s20, v10
	v_addc_co_u32_e32 v11, vcc, v4, v11, vcc
	global_load_dwordx2 v[10:11], v[10:11], off
	v_max_f32_e32 v7, v17, v17
	v_max_f32_e32 v9, v16, v16
	v_mov_b32_e32 v4, v6
	s_mov_b32 s0, 0x3fb8aa3b
	s_mov_b32 s1, 0xc2ce8ed0
	;; [unrolled: 1-line block ×3, first 2 shown]
	v_mov_b32_e32 v14, 0x7f800000
	s_waitcnt vmcnt(0)
	v_max_f32_e32 v6, v11, v11
	v_max_f32_e32 v12, v10, v10
	;; [unrolled: 1-line block ×4, first 2 shown]
	v_pk_add_f32 v[12:13], v[16:17], v[6:7] neg_lo:[0,1] neg_hi:[0,1]
	v_mul_f32_e32 v9, 0x3fb8aa3b, v13
	v_pk_add_f32 v[10:11], v[10:11], v[6:7] neg_lo:[0,1] neg_hi:[0,1]
	v_mul_f32_e32 v15, 0x3fb8aa3b, v12
	v_fma_f32 v19, v13, s0, -v9
	v_rndne_f32_e32 v20, v9
	v_mul_f32_e32 v16, 0x3fb8aa3b, v11
	v_fma_f32 v21, v12, s0, -v15
	v_rndne_f32_e32 v22, v15
	v_fmac_f32_e32 v19, 0x32a5705f, v13
	v_sub_f32_e32 v9, v9, v20
	v_mul_f32_e32 v17, 0x3fb8aa3b, v10
	v_fma_f32 v23, v11, s0, -v16
	v_rndne_f32_e32 v24, v16
	v_fmac_f32_e32 v21, 0x32a5705f, v12
	v_sub_f32_e32 v15, v15, v22
	v_add_f32_e32 v9, v9, v19
	v_fma_f32 v25, v10, s0, -v17
	v_rndne_f32_e32 v26, v17
	v_cvt_i32_f32_e32 v20, v20
	v_fmac_f32_e32 v23, 0x32a5705f, v11
	v_sub_f32_e32 v16, v16, v24
	v_add_f32_e32 v15, v15, v21
	v_exp_f32_e32 v9, v9
	v_cvt_i32_f32_e32 v22, v22
	v_fmac_f32_e32 v25, 0x32a5705f, v10
	v_sub_f32_e32 v17, v17, v26
	v_add_f32_e32 v16, v16, v23
	v_exp_f32_e32 v15, v15
	v_cvt_i32_f32_e32 v24, v24
	v_add_f32_e32 v17, v17, v25
	v_exp_f32_e32 v16, v16
	v_cvt_i32_f32_e32 v26, v26
	v_exp_f32_e32 v17, v17
	v_ldexp_f32 v9, v9, v20
	v_cmp_ngt_f32_e32 vcc, s1, v13
	v_ldexp_f32 v15, v15, v22
	v_cndmask_b32_e32 v9, 0, v9, vcc
	v_cmp_ngt_f32_e32 vcc, s1, v12
	v_ldexp_f32 v16, v16, v24
	v_cndmask_b32_e32 v15, 0, v15, vcc
	;; [unrolled: 3-line block ×3, first 2 shown]
	v_cmp_ngt_f32_e32 vcc, s1, v10
	v_cndmask_b32_e32 v17, 0, v17, vcc
	v_cmp_nlt_f32_e32 vcc, s2, v13
	v_cndmask_b32_e32 v13, v14, v9, vcc
	v_cmp_nlt_f32_e32 vcc, s2, v12
	v_cndmask_b32_e32 v12, v14, v15, vcc
	v_cvt_f16_f32_e32 v9, v12
	v_cvt_f16_f32_e32 v15, v13
	v_cmp_nlt_f32_e32 vcc, s2, v11
	v_cndmask_b32_e32 v11, v14, v16, vcc
	v_cmp_nlt_f32_e32 vcc, s2, v10
	v_cndmask_b32_e32 v10, v14, v17, vcc
	v_pk_fma_f32 v[2:3], v[2:3], v[12:13], v[10:11]
	v_pk_mul_f16 v5, v5, v9 op_sel_hi:[1,0]
	v_pk_mul_f16 v18, v18, v15 op_sel_hi:[1,0]
	v_pk_mov_b32 v[16:17], v[6:7], v[6:7] op_sel:[0,1]
.LBB13_14:
	s_load_dword s6, s[4:5], 0xd4
	v_mov_b32_e32 v6, 1.0
	s_waitcnt lgkmcnt(0)
	s_cmp_lg_u32 s6, 1
	s_cselect_b64 s[0:1], -1, 0
	s_cmp_eq_u32 s6, 1
	s_cselect_b64 s[2:3], -1, 0
	s_and_b64 vcc, exec, s[0:1]
	s_cbranch_vccnz .LBB13_16
; %bb.15:
	v_div_scale_f32 v6, s[4:5], v2, v2, 1.0
	v_rcp_f32_e32 v7, v6
	v_div_scale_f32 v9, vcc, 1.0, v2, 1.0
	v_fma_f32 v10, -v6, v7, 1.0
	v_fmac_f32_e32 v7, v10, v7
	v_mul_f32_e32 v10, v9, v7
	v_fma_f32 v11, -v6, v10, v9
	v_fmac_f32_e32 v10, v11, v7
	v_fma_f32 v6, -v6, v10, v9
	v_div_fmas_f32 v6, v6, v7, v10
	v_div_fixup_f32 v6, v6, v2, 1.0
.LBB13_16:
	s_mul_i32 s33, s33, s30
	v_add_u32_e32 v1, s33, v1
	v_mad_u64_u32 v[10:11], s[4:5], v1, s31, v[4:5]
	v_cmp_eq_u32_e32 vcc, 0, v0
	v_mul_lo_u32 v0, s6, v10
	v_add_u32_e32 v0, s7, v0
	v_cvt_f32_f16_sdwa v13, v5 dst_sel:DWORD dst_unused:UNUSED_PAD src0_sel:WORD_1
	v_cvt_f32_f16_e32 v12, v5
	v_lshl_add_u32 v10, v0, 6, v8
	v_mov_b32_e32 v11, 0
	v_lshlrev_b64 v[10:11], 2, v[10:11]
	s_and_b64 s[0:1], vcc, s[0:1]
	v_mov_b32_e32 v1, s25
	v_add_co_u32_e32 v4, vcc, s24, v10
	v_addc_co_u32_e32 v5, vcc, v1, v11, vcc
	v_pk_mul_f32 v[6:7], v[6:7], v[12:13] op_sel_hi:[0,1]
	global_store_dwordx2 v[4:5], v[6:7], off
	s_and_saveexec_b64 s[4:5], s[0:1]
	s_cbranch_execz .LBB13_18
; %bb.17:
	v_ashrrev_i32_e32 v1, 31, v0
	v_lshlrev_b64 v[4:5], 3, v[0:1]
	v_mov_b32_e32 v1, s27
	v_add_co_u32_e32 v4, vcc, s26, v4
	v_addc_co_u32_e32 v5, vcc, v1, v5, vcc
	v_mov_b32_e32 v6, v16
	v_mov_b32_e32 v7, v2
	global_store_dwordx2 v[4:5], v[6:7], off
.LBB13_18:
	s_or_b64 exec, exec, s[4:5]
	s_andn2_b64 vcc, exec, s[2:3]
	v_mov_b32_e32 v2, 1.0
	s_cbranch_vccnz .LBB13_20
; %bb.19:
	v_div_scale_f32 v1, s[2:3], v3, v3, 1.0
	v_rcp_f32_e32 v2, v1
	v_div_scale_f32 v4, vcc, 1.0, v3, 1.0
	v_fma_f32 v5, -v1, v2, 1.0
	v_fmac_f32_e32 v2, v5, v2
	v_mul_f32_e32 v5, v4, v2
	v_fma_f32 v6, -v1, v5, v4
	v_fmac_f32_e32 v5, v6, v2
	v_fma_f32 v1, -v1, v5, v4
	v_div_fmas_f32 v1, v1, v2, v5
	v_div_fixup_f32 v2, v1, v3, 1.0
.LBB13_20:
	v_add_u32_e32 v0, s6, v0
	v_cvt_f32_f16_sdwa v7, v18 dst_sel:DWORD dst_unused:UNUSED_PAD src0_sel:WORD_1
	v_cvt_f32_f16_e32 v6, v18
	v_lshl_add_u32 v4, v0, 6, v8
	v_mov_b32_e32 v5, 0
	v_lshlrev_b64 v[4:5], 2, v[4:5]
	v_mov_b32_e32 v1, s25
	v_add_co_u32_e32 v4, vcc, s24, v4
	v_addc_co_u32_e32 v5, vcc, v1, v5, vcc
	v_pk_mul_f32 v[6:7], v[2:3], v[6:7] op_sel_hi:[0,1]
	global_store_dwordx2 v[4:5], v[6:7], off
	s_and_saveexec_b64 s[2:3], s[0:1]
	s_cbranch_execz .LBB13_22
; %bb.21:
	v_ashrrev_i32_e32 v1, 31, v0
	v_lshlrev_b64 v[0:1], 3, v[0:1]
	v_mov_b32_e32 v2, s27
	v_add_co_u32_e32 v0, vcc, s26, v0
	v_addc_co_u32_e32 v1, vcc, v2, v1, vcc
	v_mov_b32_e32 v2, v17
	global_store_dwordx2 v[0:1], v[2:3], off
.LBB13_22:
	s_endpgm
	.section	.rodata,"a",@progbits
	.p2align	6, 0x0
	.amdhsa_kernel _ZL15flash_attn_tileILi64ELi64ELi1ELi8ELb0EEvPKcS1_S1_S1_S1_PKiPfP15HIP_vector_typeIfLj2EEffffjfiS5_IjLj3EEiiiiiiiiiiiliiliiiiil
		.amdhsa_group_segment_fixed_size 6144
		.amdhsa_private_segment_fixed_size 0
		.amdhsa_kernarg_size 464
		.amdhsa_user_sgpr_count 6
		.amdhsa_user_sgpr_private_segment_buffer 1
		.amdhsa_user_sgpr_dispatch_ptr 0
		.amdhsa_user_sgpr_queue_ptr 0
		.amdhsa_user_sgpr_kernarg_segment_ptr 1
		.amdhsa_user_sgpr_dispatch_id 0
		.amdhsa_user_sgpr_flat_scratch_init 0
		.amdhsa_user_sgpr_kernarg_preload_length 0
		.amdhsa_user_sgpr_kernarg_preload_offset 0
		.amdhsa_user_sgpr_private_segment_size 0
		.amdhsa_uses_dynamic_stack 0
		.amdhsa_system_sgpr_private_segment_wavefront_offset 0
		.amdhsa_system_sgpr_workgroup_id_x 1
		.amdhsa_system_sgpr_workgroup_id_y 1
		.amdhsa_system_sgpr_workgroup_id_z 1
		.amdhsa_system_sgpr_workgroup_info 0
		.amdhsa_system_vgpr_workitem_id 1
		.amdhsa_next_free_vgpr 90
		.amdhsa_next_free_sgpr 44
		.amdhsa_accum_offset 92
		.amdhsa_reserve_vcc 1
		.amdhsa_reserve_flat_scratch 0
		.amdhsa_float_round_mode_32 0
		.amdhsa_float_round_mode_16_64 0
		.amdhsa_float_denorm_mode_32 3
		.amdhsa_float_denorm_mode_16_64 3
		.amdhsa_dx10_clamp 1
		.amdhsa_ieee_mode 1
		.amdhsa_fp16_overflow 0
		.amdhsa_tg_split 0
		.amdhsa_exception_fp_ieee_invalid_op 0
		.amdhsa_exception_fp_denorm_src 0
		.amdhsa_exception_fp_ieee_div_zero 0
		.amdhsa_exception_fp_ieee_overflow 0
		.amdhsa_exception_fp_ieee_underflow 0
		.amdhsa_exception_fp_ieee_inexact 0
		.amdhsa_exception_int_div_zero 0
	.end_amdhsa_kernel
	.section	.text._ZL15flash_attn_tileILi64ELi64ELi1ELi8ELb0EEvPKcS1_S1_S1_S1_PKiPfP15HIP_vector_typeIfLj2EEffffjfiS5_IjLj3EEiiiiiiiiiiiliiliiiiil,"axG",@progbits,_ZL15flash_attn_tileILi64ELi64ELi1ELi8ELb0EEvPKcS1_S1_S1_S1_PKiPfP15HIP_vector_typeIfLj2EEffffjfiS5_IjLj3EEiiiiiiiiiiiliiliiiiil,comdat
.Lfunc_end13:
	.size	_ZL15flash_attn_tileILi64ELi64ELi1ELi8ELb0EEvPKcS1_S1_S1_S1_PKiPfP15HIP_vector_typeIfLj2EEffffjfiS5_IjLj3EEiiiiiiiiiiiliiliiiiil, .Lfunc_end13-_ZL15flash_attn_tileILi64ELi64ELi1ELi8ELb0EEvPKcS1_S1_S1_S1_PKiPfP15HIP_vector_typeIfLj2EEffffjfiS5_IjLj3EEiiiiiiiiiiiliiliiiiil
                                        ; -- End function
	.section	.AMDGPU.csdata,"",@progbits
; Kernel info:
; codeLenInByte = 5324
; NumSgprs: 48
; NumVgprs: 90
; NumAgprs: 0
; TotalNumVgprs: 90
; ScratchSize: 0
; MemoryBound: 0
; FloatMode: 240
; IeeeMode: 1
; LDSByteSize: 6144 bytes/workgroup (compile time only)
; SGPRBlocks: 5
; VGPRBlocks: 11
; NumSGPRsForWavesPerEU: 48
; NumVGPRsForWavesPerEU: 90
; AccumOffset: 92
; Occupancy: 5
; WaveLimiterHint : 1
; COMPUTE_PGM_RSRC2:SCRATCH_EN: 0
; COMPUTE_PGM_RSRC2:USER_SGPR: 6
; COMPUTE_PGM_RSRC2:TRAP_HANDLER: 0
; COMPUTE_PGM_RSRC2:TGID_X_EN: 1
; COMPUTE_PGM_RSRC2:TGID_Y_EN: 1
; COMPUTE_PGM_RSRC2:TGID_Z_EN: 1
; COMPUTE_PGM_RSRC2:TIDIG_COMP_CNT: 1
; COMPUTE_PGM_RSRC3_GFX90A:ACCUM_OFFSET: 22
; COMPUTE_PGM_RSRC3_GFX90A:TG_SPLIT: 0
	.section	.text._ZL25flash_attn_mask_to_KV_maxILi1EEvPK7__half2Piiii,"axG",@progbits,_ZL25flash_attn_mask_to_KV_maxILi1EEvPK7__half2Piiii,comdat
	.globl	_ZL25flash_attn_mask_to_KV_maxILi1EEvPK7__half2Piiii ; -- Begin function _ZL25flash_attn_mask_to_KV_maxILi1EEvPK7__half2Piiii
	.p2align	8
	.type	_ZL25flash_attn_mask_to_KV_maxILi1EEvPK7__half2Piiii,@function
_ZL25flash_attn_mask_to_KV_maxILi1EEvPK7__half2Piiii: ; @_ZL25flash_attn_mask_to_KV_maxILi1EEvPK7__half2Piiii
; %bb.0:
	s_load_dwordx4 s[8:11], s[4:5], 0x0
	v_cmp_gt_u32_e32 vcc, 32, v0
	s_and_saveexec_b64 s[0:1], vcc
	s_cbranch_execz .LBB14_2
; %bb.1:
	v_lshlrev_b32_e32 v1, 2, v0
	v_mov_b32_e32 v2, 1
	ds_write_b32 v1, v2
.LBB14_2:
	s_or_b64 exec, exec, s[0:1]
	s_load_dwordx4 s[0:3], s[4:5], 0x10
	s_load_dword s12, s[4:5], 0x20
	v_and_b32_e32 v2, 31, v0
	v_cmp_eq_u32_e32 vcc, 0, v2
	v_lshlrev_b32_e32 v4, 2, v2
	s_waitcnt lgkmcnt(0)
	s_mul_i32 s2, s7, s2
	s_mul_i32 s1, s6, s1
	s_add_i32 s2, s2, s1
	s_ashr_i32 s3, s2, 31
	v_mbcnt_lo_u32_b32 v2, -1, 0
	s_lshl_b64 s[2:3], s[2:3], 2
	v_mbcnt_hi_u32_b32 v5, -1, v2
	s_add_u32 s13, s8, s2
	v_and_b32_e32 v2, 0x60, v5
	s_addc_u32 s14, s9, s3
	s_lshl_b32 s15, s0, 8
	v_lshrrev_b32_e32 v1, 3, v0
	s_mov_b64 s[4:5], 0
	v_mov_b32_e32 v3, 0
	s_movk_i32 s16, 0x204
	s_movk_i32 s17, 0x7fff
	s_movk_i32 s18, 0x7c00
	v_add_u32_e32 v6, 32, v2
	v_xor_b32_e32 v7, 16, v5
	v_xor_b32_e32 v8, 8, v5
	;; [unrolled: 1-line block ×5, first 2 shown]
	s_barrier
	s_waitcnt lgkmcnt(0)
                                        ; implicit-def: $sgpr0_sgpr1
	s_branch .LBB14_5
.LBB14_3:                               ;   in Loop: Header=BB14_5 Depth=1
	s_or_b64 exec, exec, s[2:3]
	s_waitcnt lgkmcnt(0)
	s_barrier
	ds_read_b32 v16, v4
	s_waitcnt lgkmcnt(0)
	s_barrier
	ds_bpermute_b32 v2, v2, v16
	v_cmp_ne_u32_e64 s[0:1], 0, v16
	s_waitcnt lgkmcnt(0)
	v_cmp_ne_u32_e64 s[2:3], 0, v2
	s_and_b64 s[2:3], s[0:1], s[2:3]
	v_cndmask_b32_e64 v2, 0, 1, s[2:3]
	ds_bpermute_b32 v2, v12, v2
	s_waitcnt lgkmcnt(0)
	v_cmp_ne_u32_e64 s[0:1], 0, v2
	s_and_b64 s[2:3], s[0:1], s[2:3]
	v_cndmask_b32_e64 v2, 0, 1, s[2:3]
	ds_bpermute_b32 v2, v13, v2
	s_waitcnt lgkmcnt(0)
	v_cmp_ne_u32_e64 s[0:1], 0, v2
	s_and_b64 s[2:3], s[0:1], s[2:3]
	v_cndmask_b32_e64 v2, 0, 1, s[2:3]
	ds_bpermute_b32 v2, v14, v2
	s_waitcnt lgkmcnt(0)
	v_cmp_ne_u32_e64 s[0:1], 0, v2
	s_and_b64 s[0:1], s[0:1], s[2:3]
	v_cndmask_b32_e64 v2, 0, 1, s[0:1]
	ds_bpermute_b32 v2, v15, v2
	s_xor_b64 s[2:3], s[0:1], -1
	s_waitcnt lgkmcnt(0)
	v_cmp_eq_u32_e64 s[0:1], 0, v2
	s_or_b64 s[0:1], s[0:1], s[2:3]
.LBB14_4:                               ;   in Loop: Header=BB14_5 Depth=1
	s_and_b64 s[2:3], exec, s[0:1]
	s_or_b64 s[4:5], s[2:3], s[4:5]
	v_mov_b32_e32 v2, s15
	s_mov_b32 s15, s19
	s_andn2_b64 exec, exec, s[4:5]
	s_cbranch_execz .LBB14_8
.LBB14_5:                               ; =>This Inner Loop Header: Depth=1
	s_add_i32 s19, s15, 0xffffff00
	s_or_b64 s[0:1], s[0:1], exec
	s_cmp_lt_i32 s19, 0
	s_cbranch_scc1 .LBB14_4
; %bb.6:                                ;   in Loop: Header=BB14_5 Depth=1
	s_lshr_b32 s0, s19, 1
	v_add_u32_e32 v2, s0, v0
	v_lshlrev_b64 v[12:13], 2, v[2:3]
	v_mov_b32_e32 v2, s14
	v_add_co_u32_e64 v12, s[0:1], s13, v12
	v_addc_co_u32_e64 v13, s[0:1], v2, v13, s[0:1]
	global_load_dword v12, v[12:13], off
	v_cmp_lt_i32_e64 s[0:1], v7, v6
	v_cndmask_b32_e64 v2, v5, v7, s[0:1]
	v_lshlrev_b32_e32 v2, 2, v2
	s_waitcnt vmcnt(0)
	v_cmp_class_f16_e64 s[2:3], v12, s16
	v_and_b32_sdwa v12, s17, v12 dst_sel:DWORD dst_unused:UNUSED_PAD src0_sel:DWORD src1_sel:WORD_1
	v_cmp_eq_f16_e64 s[0:1], s18, v12
	s_and_b64 s[2:3], s[2:3], s[0:1]
	v_cndmask_b32_e64 v12, 0, 1, s[2:3]
	ds_bpermute_b32 v13, v2, v12
	v_cmp_lt_i32_e64 s[0:1], v8, v6
	v_cndmask_b32_e64 v12, v5, v8, s[0:1]
	v_lshlrev_b32_e32 v12, 2, v12
	s_waitcnt lgkmcnt(0)
	v_cmp_ne_u32_e64 s[0:1], 0, v13
	s_and_b64 s[2:3], s[2:3], s[0:1]
	v_cndmask_b32_e64 v13, 0, 1, s[2:3]
	ds_bpermute_b32 v14, v12, v13
	v_cmp_lt_i32_e64 s[0:1], v9, v6
	v_cndmask_b32_e64 v13, v5, v9, s[0:1]
	v_lshlrev_b32_e32 v13, 2, v13
	s_waitcnt lgkmcnt(0)
	v_cmp_ne_u32_e64 s[0:1], 0, v14
	;; [unrolled: 8-line block ×3, first 2 shown]
	s_and_b64 s[2:3], s[0:1], s[2:3]
	v_cndmask_b32_e64 v15, 0, 1, s[2:3]
	ds_bpermute_b32 v15, v14, v15
	v_cmp_lt_i32_e64 s[0:1], v11, v6
	v_cndmask_b32_e64 v16, v5, v11, s[0:1]
	s_waitcnt lgkmcnt(0)
	v_cmp_ne_u32_e64 s[0:1], 0, v15
	s_and_b64 s[8:9], s[0:1], s[2:3]
	v_cndmask_b32_e64 v17, 0, 1, s[8:9]
	v_lshlrev_b32_e32 v15, 2, v16
	ds_bpermute_b32 v16, v15, v17
	s_and_saveexec_b64 s[2:3], vcc
	s_cbranch_execz .LBB14_3
; %bb.7:                                ;   in Loop: Header=BB14_5 Depth=1
	s_waitcnt lgkmcnt(0)
	v_cmp_ne_u32_e64 s[0:1], 0, v16
	s_and_b64 s[0:1], s[0:1], s[8:9]
	v_cndmask_b32_e64 v16, 0, 1, s[0:1]
	ds_write_b32 v1, v16
	s_branch .LBB14_3
.LBB14_8:
	s_or_b64 exec, exec, s[4:5]
	v_cmp_eq_u32_e32 vcc, 0, v0
	s_and_saveexec_b64 s[0:1], vcc
	s_cbranch_execz .LBB14_10
; %bb.9:
	s_mul_i32 s0, s12, s7
	s_add_i32 s0, s0, s6
	s_ashr_i32 s1, s0, 31
	s_lshl_b64 s[0:1], s[0:1], 2
	s_add_u32 s0, s10, s0
	s_addc_u32 s1, s11, s1
	v_mov_b32_e32 v0, 0
	global_store_dword v0, v2, s[0:1]
.LBB14_10:
	s_endpgm
	.section	.rodata,"a",@progbits
	.p2align	6, 0x0
	.amdhsa_kernel _ZL25flash_attn_mask_to_KV_maxILi1EEvPK7__half2Piiii
		.amdhsa_group_segment_fixed_size 128
		.amdhsa_private_segment_fixed_size 0
		.amdhsa_kernarg_size 288
		.amdhsa_user_sgpr_count 6
		.amdhsa_user_sgpr_private_segment_buffer 1
		.amdhsa_user_sgpr_dispatch_ptr 0
		.amdhsa_user_sgpr_queue_ptr 0
		.amdhsa_user_sgpr_kernarg_segment_ptr 1
		.amdhsa_user_sgpr_dispatch_id 0
		.amdhsa_user_sgpr_flat_scratch_init 0
		.amdhsa_user_sgpr_kernarg_preload_length 0
		.amdhsa_user_sgpr_kernarg_preload_offset 0
		.amdhsa_user_sgpr_private_segment_size 0
		.amdhsa_uses_dynamic_stack 0
		.amdhsa_system_sgpr_private_segment_wavefront_offset 0
		.amdhsa_system_sgpr_workgroup_id_x 1
		.amdhsa_system_sgpr_workgroup_id_y 1
		.amdhsa_system_sgpr_workgroup_id_z 0
		.amdhsa_system_sgpr_workgroup_info 0
		.amdhsa_system_vgpr_workitem_id 0
		.amdhsa_next_free_vgpr 18
		.amdhsa_next_free_sgpr 20
		.amdhsa_accum_offset 20
		.amdhsa_reserve_vcc 1
		.amdhsa_reserve_flat_scratch 0
		.amdhsa_float_round_mode_32 0
		.amdhsa_float_round_mode_16_64 0
		.amdhsa_float_denorm_mode_32 3
		.amdhsa_float_denorm_mode_16_64 3
		.amdhsa_dx10_clamp 1
		.amdhsa_ieee_mode 1
		.amdhsa_fp16_overflow 0
		.amdhsa_tg_split 0
		.amdhsa_exception_fp_ieee_invalid_op 0
		.amdhsa_exception_fp_denorm_src 0
		.amdhsa_exception_fp_ieee_div_zero 0
		.amdhsa_exception_fp_ieee_overflow 0
		.amdhsa_exception_fp_ieee_underflow 0
		.amdhsa_exception_fp_ieee_inexact 0
		.amdhsa_exception_int_div_zero 0
	.end_amdhsa_kernel
	.section	.text._ZL25flash_attn_mask_to_KV_maxILi1EEvPK7__half2Piiii,"axG",@progbits,_ZL25flash_attn_mask_to_KV_maxILi1EEvPK7__half2Piiii,comdat
.Lfunc_end14:
	.size	_ZL25flash_attn_mask_to_KV_maxILi1EEvPK7__half2Piiii, .Lfunc_end14-_ZL25flash_attn_mask_to_KV_maxILi1EEvPK7__half2Piiii
                                        ; -- End function
	.section	.AMDGPU.csdata,"",@progbits
; Kernel info:
; codeLenInByte = 844
; NumSgprs: 24
; NumVgprs: 18
; NumAgprs: 0
; TotalNumVgprs: 18
; ScratchSize: 0
; MemoryBound: 0
; FloatMode: 240
; IeeeMode: 1
; LDSByteSize: 128 bytes/workgroup (compile time only)
; SGPRBlocks: 2
; VGPRBlocks: 2
; NumSGPRsForWavesPerEU: 24
; NumVGPRsForWavesPerEU: 18
; AccumOffset: 20
; Occupancy: 8
; WaveLimiterHint : 0
; COMPUTE_PGM_RSRC2:SCRATCH_EN: 0
; COMPUTE_PGM_RSRC2:USER_SGPR: 6
; COMPUTE_PGM_RSRC2:TRAP_HANDLER: 0
; COMPUTE_PGM_RSRC2:TGID_X_EN: 1
; COMPUTE_PGM_RSRC2:TGID_Y_EN: 1
; COMPUTE_PGM_RSRC2:TGID_Z_EN: 0
; COMPUTE_PGM_RSRC2:TIDIG_COMP_CNT: 0
; COMPUTE_PGM_RSRC3_GFX90A:ACCUM_OFFSET: 4
; COMPUTE_PGM_RSRC3_GFX90A:TG_SPLIT: 0
	.section	.text._ZL33flash_attn_stream_k_fixup_uniformILi64ELi1ELi8EEvPfPK15HIP_vector_typeIfLj2EEiiiiiiS1_IjLj3EES5_S5_,"axG",@progbits,_ZL33flash_attn_stream_k_fixup_uniformILi64ELi1ELi8EEvPfPK15HIP_vector_typeIfLj2EEiiiiiiS1_IjLj3EES5_S5_,comdat
	.globl	_ZL33flash_attn_stream_k_fixup_uniformILi64ELi1ELi8EEvPfPK15HIP_vector_typeIfLj2EEiiiiiiS1_IjLj3EES5_S5_ ; -- Begin function _ZL33flash_attn_stream_k_fixup_uniformILi64ELi1ELi8EEvPfPK15HIP_vector_typeIfLj2EEiiiiiiS1_IjLj3EES5_S5_
	.p2align	8
	.type	_ZL33flash_attn_stream_k_fixup_uniformILi64ELi1ELi8EEvPfPK15HIP_vector_typeIfLj2EEiiiiiiS1_IjLj3EES5_S5_,@function
_ZL33flash_attn_stream_k_fixup_uniformILi64ELi1ELi8EEvPfPK15HIP_vector_typeIfLj2EEiiiiiiS1_IjLj3EES5_S5_: ; @_ZL33flash_attn_stream_k_fixup_uniformILi64ELi1ELi8EEvPfPK15HIP_vector_typeIfLj2EEiiiiiiS1_IjLj3EES5_S5_
; %bb.0:
	s_load_dwordx8 s[12:19], s[4:5], 0x1c
	s_load_dwordx2 s[10:11], s[4:5], 0x10
	s_load_dwordx4 s[0:3], s[4:5], 0x3c
	s_waitcnt lgkmcnt(0)
	s_mul_hi_u32 s9, s15, s6
	s_add_i32 s9, s6, s9
	s_lshr_b32 s9, s9, s16
	s_mul_i32 s15, s9, s17
	s_sub_i32 s16, s6, s15
	s_mul_hi_u32 s15, s16, s18
	s_add_i32 s15, s16, s15
	s_lshr_b32 s15, s15, s19
	s_mul_i32 s0, s15, s0
	s_sub_i32 s0, s16, s0
	;; [unrolled: 5-line block ×3, first 2 shown]
	s_lshl_b32 s17, s1, 3
	s_add_i32 s16, s16, s7
	s_cmp_lt_i32 s16, s10
	s_cselect_b64 s[0:1], -1, 0
	s_add_i32 s17, s17, s8
	s_cmp_lt_i32 s17, s13
	s_cselect_b64 s[2:3], -1, 0
	s_and_b64 s[0:1], s[0:1], s[2:3]
	s_andn2_b64 vcc, exec, s[0:1]
	s_cbranch_vccnz .LBB15_6
; %bb.1:
	s_mul_i32 s9, s9, s10
	s_load_dwordx4 s[0:3], s[4:5], 0x0
	s_mul_i32 s15, s15, s13
	s_add_i32 s4, s16, s9
	s_mul_i32 s4, s4, s11
	s_add_i32 s5, s17, s15
	s_add_i32 s5, s5, s4
	v_lshl_or_b32 v2, s5, 6, v0
	v_ashrrev_i32_e32 v3, 31, v2
	v_lshlrev_b64 v[2:3], 2, v[2:3]
	s_waitcnt lgkmcnt(0)
	v_mov_b32_e32 v1, s1
	v_add_co_u32_e32 v2, vcc, s0, v2
	v_addc_co_u32_e32 v3, vcc, v1, v3, vcc
	global_load_dword v8, v[2:3], off
	s_mul_i32 s9, s6, s14
	s_add_i32 s4, s9, s14
	s_add_i32 s0, s7, s4
	s_lshl_b32 s0, s0, 3
	s_add_i32 s0, s0, s8
	s_add_i32 s0, s0, -8
	s_ashr_i32 s1, s0, 31
	s_lshl_b64 s[0:1], s[0:1], 3
	s_add_u32 s0, s2, s0
	s_addc_u32 s1, s3, s1
	s_load_dword s5, s[0:1], 0x4
	s_add_i32 s10, s4, -2
	s_cmp_lt_i32 s10, s9
	s_cbranch_scc1 .LBB15_4
; %bb.2:
	s_lshl_b32 s10, s12, 5
	s_ashr_i32 s11, s10, 31
	s_lshl_b64 s[10:11], s[10:11], 2
	s_add_u32 s10, s2, s10
	s_addc_u32 s13, s3, s11
	s_load_dword s0, s[0:1], 0x0
	s_add_i32 s6, s6, 1
	s_lshl_b32 s1, s8, 6
	s_add_i32 s12, s7, s12
	s_mul_i32 s6, s14, s6
	s_lshl_b32 s7, s7, 9
	s_add_i32 s12, s12, s4
	s_lshl_b32 s6, s6, 9
	s_add_i32 s1, s1, s7
	s_add_i32 s11, s4, -1
	s_lshl_b32 s4, s12, 3
	s_add_i32 s1, s1, s6
	s_add_i32 s4, s8, s4
	v_or_b32_e32 v0, s1, v0
	s_add_i32 s4, s4, -16
	v_add_u32_e32 v0, 0xfffffc00, v0
	s_waitcnt lgkmcnt(0)
	v_mov_b32_e32 v7, s5
	v_mov_b32_e32 v6, s0
	;; [unrolled: 1-line block ×3, first 2 shown]
	s_mov_b32 s6, 0x3fb8aa3b
	s_mov_b32 s7, 0xc2ce8ed0
	;; [unrolled: 1-line block ×3, first 2 shown]
	v_mov_b32_e32 v5, 0x7f800000
	s_mov_b32 s12, 0xc1a00000
.LBB15_3:                               ; =>This Inner Loop Header: Depth=1
	v_ashrrev_i32_e32 v1, 31, v0
	v_lshlrev_b64 v[10:11], 2, v[0:1]
	v_add_co_u32_e32 v10, vcc, s10, v10
	v_addc_co_u32_e32 v11, vcc, v4, v11, vcc
	global_load_dword v1, v[10:11], off
	s_ashr_i32 s5, s4, 31
	s_lshl_b64 s[0:1], s[4:5], 3
	s_add_u32 s0, s2, s0
	s_addc_u32 s1, s3, s1
	s_load_dwordx2 s[14:15], s[0:1], 0x0
	s_waitcnt vmcnt(1)
	v_mov_b32_e32 v9, v8
	v_max_f32_e32 v8, v6, v6
	v_mov_b32_e32 v10, v7
	s_add_i32 s11, s11, -1
	s_waitcnt lgkmcnt(0)
	v_max_f32_e64 v7, s14, s14
	v_max_f32_e32 v7, v8, v7
	v_sub_f32_e32 v11, s14, v7
	v_sub_f32_e32 v8, v6, v7
	v_mul_f32_e32 v12, 0x3fb8aa3b, v11
	v_mov_b32_e32 v6, v7
	v_mul_f32_e32 v7, 0x3fb8aa3b, v8
	v_fma_f32 v15, v11, s6, -v12
	v_rndne_f32_e32 v16, v12
	v_fma_f32 v13, v8, s6, -v7
	v_rndne_f32_e32 v14, v7
	v_fmac_f32_e32 v15, 0x32a5705f, v11
	v_sub_f32_e32 v12, v12, v16
	v_fmac_f32_e32 v13, 0x32a5705f, v8
	v_sub_f32_e32 v7, v7, v14
	v_add_f32_e32 v12, v12, v15
	v_cvt_i32_f32_e32 v16, v16
	v_add_f32_e32 v7, v7, v13
	v_exp_f32_e32 v12, v12
	v_cvt_i32_f32_e32 v14, v14
	v_exp_f32_e32 v7, v7
	v_cmp_ngt_f32_e32 vcc, s7, v11
	v_ldexp_f32 v12, v12, v16
	v_cmp_ngt_f32_e64 s[0:1], s7, v8
	v_ldexp_f32 v7, v7, v14
	v_cndmask_b32_e32 v12, 0, v12, vcc
	v_cmp_nlt_f32_e32 vcc, s8, v11
	v_cndmask_b32_e64 v7, 0, v7, s[0:1]
	v_cmp_nlt_f32_e64 s[0:1], s8, v8
	v_cndmask_b32_e32 v12, v5, v12, vcc
	v_cmp_le_f32_e32 vcc, s12, v11
	v_cndmask_b32_e64 v7, v5, v7, s[0:1]
	v_cmp_le_f32_e64 s[0:1], s12, v8
	v_cndmask_b32_e32 v8, 0, v12, vcc
	s_add_i32 s4, s4, -8
	v_cndmask_b32_e64 v11, 0, v7, s[0:1]
	v_mul_f32_e32 v7, s15, v8
	v_add_u32_e32 v0, 0xfffffe00, v0
	s_cmp_le_i32 s11, s9
	v_fmac_f32_e32 v7, v10, v11
	s_waitcnt vmcnt(0)
	v_mul_f32_e32 v8, v1, v8
	v_fmac_f32_e32 v8, v9, v11
	s_cbranch_scc0 .LBB15_3
	s_branch .LBB15_5
.LBB15_4:
	s_waitcnt lgkmcnt(0)
	v_mov_b32_e32 v7, s5
.LBB15_5:
	s_waitcnt vmcnt(0)
	v_div_scale_f32 v0, s[0:1], v7, v7, v8
	v_rcp_f32_e32 v1, v0
	v_div_scale_f32 v4, vcc, v8, v7, v8
	v_fma_f32 v5, -v0, v1, 1.0
	v_fmac_f32_e32 v1, v5, v1
	v_mul_f32_e32 v5, v4, v1
	v_fma_f32 v6, -v0, v5, v4
	v_fmac_f32_e32 v5, v6, v1
	v_fma_f32 v0, -v0, v5, v4
	v_div_fmas_f32 v0, v0, v1, v5
	v_div_fixup_f32 v0, v0, v7, v8
	global_store_dword v[2:3], v0, off
.LBB15_6:
	s_endpgm
	.section	.rodata,"a",@progbits
	.p2align	6, 0x0
	.amdhsa_kernel _ZL33flash_attn_stream_k_fixup_uniformILi64ELi1ELi8EEvPfPK15HIP_vector_typeIfLj2EEiiiiiiS1_IjLj3EES5_S5_
		.amdhsa_group_segment_fixed_size 0
		.amdhsa_private_segment_fixed_size 0
		.amdhsa_kernarg_size 76
		.amdhsa_user_sgpr_count 6
		.amdhsa_user_sgpr_private_segment_buffer 1
		.amdhsa_user_sgpr_dispatch_ptr 0
		.amdhsa_user_sgpr_queue_ptr 0
		.amdhsa_user_sgpr_kernarg_segment_ptr 1
		.amdhsa_user_sgpr_dispatch_id 0
		.amdhsa_user_sgpr_flat_scratch_init 0
		.amdhsa_user_sgpr_kernarg_preload_length 0
		.amdhsa_user_sgpr_kernarg_preload_offset 0
		.amdhsa_user_sgpr_private_segment_size 0
		.amdhsa_uses_dynamic_stack 0
		.amdhsa_system_sgpr_private_segment_wavefront_offset 0
		.amdhsa_system_sgpr_workgroup_id_x 1
		.amdhsa_system_sgpr_workgroup_id_y 1
		.amdhsa_system_sgpr_workgroup_id_z 1
		.amdhsa_system_sgpr_workgroup_info 0
		.amdhsa_system_vgpr_workitem_id 0
		.amdhsa_next_free_vgpr 17
		.amdhsa_next_free_sgpr 20
		.amdhsa_accum_offset 20
		.amdhsa_reserve_vcc 1
		.amdhsa_reserve_flat_scratch 0
		.amdhsa_float_round_mode_32 0
		.amdhsa_float_round_mode_16_64 0
		.amdhsa_float_denorm_mode_32 3
		.amdhsa_float_denorm_mode_16_64 3
		.amdhsa_dx10_clamp 1
		.amdhsa_ieee_mode 1
		.amdhsa_fp16_overflow 0
		.amdhsa_tg_split 0
		.amdhsa_exception_fp_ieee_invalid_op 0
		.amdhsa_exception_fp_denorm_src 0
		.amdhsa_exception_fp_ieee_div_zero 0
		.amdhsa_exception_fp_ieee_overflow 0
		.amdhsa_exception_fp_ieee_underflow 0
		.amdhsa_exception_fp_ieee_inexact 0
		.amdhsa_exception_int_div_zero 0
	.end_amdhsa_kernel
	.section	.text._ZL33flash_attn_stream_k_fixup_uniformILi64ELi1ELi8EEvPfPK15HIP_vector_typeIfLj2EEiiiiiiS1_IjLj3EES5_S5_,"axG",@progbits,_ZL33flash_attn_stream_k_fixup_uniformILi64ELi1ELi8EEvPfPK15HIP_vector_typeIfLj2EEiiiiiiS1_IjLj3EES5_S5_,comdat
.Lfunc_end15:
	.size	_ZL33flash_attn_stream_k_fixup_uniformILi64ELi1ELi8EEvPfPK15HIP_vector_typeIfLj2EEiiiiiiS1_IjLj3EES5_S5_, .Lfunc_end15-_ZL33flash_attn_stream_k_fixup_uniformILi64ELi1ELi8EEvPfPK15HIP_vector_typeIfLj2EEiiiiiiS1_IjLj3EES5_S5_
                                        ; -- End function
	.section	.AMDGPU.csdata,"",@progbits
; Kernel info:
; codeLenInByte = 828
; NumSgprs: 24
; NumVgprs: 17
; NumAgprs: 0
; TotalNumVgprs: 17
; ScratchSize: 0
; MemoryBound: 0
; FloatMode: 240
; IeeeMode: 1
; LDSByteSize: 0 bytes/workgroup (compile time only)
; SGPRBlocks: 2
; VGPRBlocks: 2
; NumSGPRsForWavesPerEU: 24
; NumVGPRsForWavesPerEU: 17
; AccumOffset: 20
; Occupancy: 8
; WaveLimiterHint : 0
; COMPUTE_PGM_RSRC2:SCRATCH_EN: 0
; COMPUTE_PGM_RSRC2:USER_SGPR: 6
; COMPUTE_PGM_RSRC2:TRAP_HANDLER: 0
; COMPUTE_PGM_RSRC2:TGID_X_EN: 1
; COMPUTE_PGM_RSRC2:TGID_Y_EN: 1
; COMPUTE_PGM_RSRC2:TGID_Z_EN: 1
; COMPUTE_PGM_RSRC2:TIDIG_COMP_CNT: 0
; COMPUTE_PGM_RSRC3_GFX90A:ACCUM_OFFSET: 4
; COMPUTE_PGM_RSRC3_GFX90A:TG_SPLIT: 0
	.section	.text._ZL33flash_attn_stream_k_fixup_generalILi64ELi1ELi8EEvPfPK15HIP_vector_typeIfLj2EEiiiiS1_IjLj3EES5_S5_S5_,"axG",@progbits,_ZL33flash_attn_stream_k_fixup_generalILi64ELi1ELi8EEvPfPK15HIP_vector_typeIfLj2EEiiiiS1_IjLj3EES5_S5_S5_,comdat
	.globl	_ZL33flash_attn_stream_k_fixup_generalILi64ELi1ELi8EEvPfPK15HIP_vector_typeIfLj2EEiiiiS1_IjLj3EES5_S5_S5_ ; -- Begin function _ZL33flash_attn_stream_k_fixup_generalILi64ELi1ELi8EEvPfPK15HIP_vector_typeIfLj2EEiiiiS1_IjLj3EES5_S5_S5_
	.p2align	8
	.type	_ZL33flash_attn_stream_k_fixup_generalILi64ELi1ELi8EEvPfPK15HIP_vector_typeIfLj2EEiiiiS1_IjLj3EES5_S5_S5_,@function
_ZL33flash_attn_stream_k_fixup_generalILi64ELi1ELi8EEvPfPK15HIP_vector_typeIfLj2EEiiiiS1_IjLj3EES5_S5_S5_: ; @_ZL33flash_attn_stream_k_fixup_generalILi64ELi1ELi8EEvPfPK15HIP_vector_typeIfLj2EEiiiiS1_IjLj3EES5_S5_S5_
; %bb.0:
	s_load_dwordx4 s[12:15], s[4:5], 0x10
	s_load_dword s9, s[4:5], 0x50
	s_mov_b32 s2, 0
	s_waitcnt lgkmcnt(0)
	s_mul_hi_i32 s3, s15, s6
	s_cmp_lg_u64 s[2:3], 0
	s_mul_i32 s2, s15, s6
	s_cbranch_scc0 .LBB16_21
; %bb.1:
	v_cvt_f32_u32_e32 v1, s9
	v_cvt_f32_ubyte0_e32 v2, 0
	s_sub_u32 s10, 0, s9
	s_subb_u32 s11, 0, 0
	v_madmk_f32 v1, v2, 0x4f800000, v1
	v_rcp_f32_e32 v1, v1
	v_mul_f32_e32 v1, 0x5f7ffffc, v1
	v_mul_f32_e32 v2, 0x2f800000, v1
	v_trunc_f32_e32 v2, v2
	v_madmk_f32 v1, v2, 0xcf800000, v1
	v_cvt_u32_f32_e32 v2, v2
	v_cvt_u32_f32_e32 v1, v1
	v_readfirstlane_b32 s16, v2
	v_readfirstlane_b32 s17, v1
	s_mul_i32 s18, s10, s16
	s_mul_hi_u32 s20, s10, s17
	s_mul_i32 s19, s11, s17
	s_add_i32 s18, s20, s18
	s_add_i32 s18, s18, s19
	s_mul_i32 s21, s10, s17
	s_mul_hi_u32 s19, s17, s18
	s_mul_i32 s20, s17, s18
	s_mul_hi_u32 s17, s17, s21
	s_add_u32 s17, s17, s20
	s_addc_u32 s19, 0, s19
	s_mul_hi_u32 s22, s16, s21
	s_mul_i32 s21, s16, s21
	s_add_u32 s17, s17, s21
	s_mul_hi_u32 s20, s16, s18
	s_addc_u32 s17, s19, s22
	s_addc_u32 s19, s20, 0
	s_mul_i32 s18, s16, s18
	s_add_u32 s17, s17, s18
	s_addc_u32 s18, 0, s19
	v_add_co_u32_e32 v1, vcc, s17, v1
	s_cmp_lg_u64 vcc, 0
	s_addc_u32 s16, s16, s18
	v_readfirstlane_b32 s18, v1
	s_mul_i32 s17, s10, s16
	s_mul_hi_u32 s19, s10, s18
	s_add_i32 s17, s19, s17
	s_mul_i32 s11, s11, s18
	s_add_i32 s17, s17, s11
	s_mul_i32 s10, s10, s18
	s_mul_hi_u32 s19, s16, s10
	s_mul_i32 s20, s16, s10
	s_mul_i32 s22, s18, s17
	s_mul_hi_u32 s10, s18, s10
	s_mul_hi_u32 s21, s18, s17
	s_add_u32 s10, s10, s22
	s_addc_u32 s18, 0, s21
	s_add_u32 s10, s10, s20
	s_mul_hi_u32 s11, s16, s17
	s_addc_u32 s10, s18, s19
	s_addc_u32 s11, s11, 0
	s_mul_i32 s17, s16, s17
	s_add_u32 s10, s10, s17
	s_addc_u32 s11, 0, s11
	v_add_co_u32_e32 v1, vcc, s10, v1
	s_cmp_lg_u64 vcc, 0
	s_addc_u32 s18, s16, s11
	s_ashr_i32 s10, s3, 31
	s_add_u32 s16, s2, s10
	s_mov_b32 s11, s10
	s_addc_u32 s17, s3, s10
	s_xor_b64 s[16:17], s[16:17], s[10:11]
	v_readfirstlane_b32 s20, v1
	s_mul_i32 s19, s16, s18
	s_mul_hi_u32 s21, s16, s20
	s_mul_hi_u32 s3, s16, s18
	s_add_u32 s19, s21, s19
	s_addc_u32 s3, 0, s3
	s_mul_hi_u32 s22, s17, s20
	s_mul_i32 s20, s17, s20
	s_add_u32 s19, s19, s20
	s_mul_hi_u32 s21, s17, s18
	s_addc_u32 s3, s3, s22
	s_addc_u32 s19, s21, 0
	s_mul_i32 s18, s17, s18
	s_add_u32 s3, s3, s18
	s_addc_u32 s18, 0, s19
	s_add_u32 s19, s3, 1
	s_addc_u32 s20, s18, 0
	s_add_u32 s21, s3, 2
	s_mul_i32 s23, s9, s18
	s_mul_hi_u32 s24, s9, s3
	s_addc_u32 s22, s18, 0
	s_add_i32 s24, s24, s23
	s_mul_i32 s23, s9, s3
	v_mov_b32_e32 v1, s23
	v_sub_co_u32_e32 v1, vcc, s16, v1
	s_cmp_lg_u64 vcc, 0
	s_subb_u32 s16, s17, s24
	v_subrev_co_u32_e32 v2, vcc, s9, v1
	s_cmp_lg_u64 vcc, 0
	s_subb_u32 s17, s16, 0
	v_readfirstlane_b32 s23, v2
	s_cmp_ge_u32 s23, s9
	s_cselect_b32 s23, -1, 0
	s_cmp_eq_u32 s17, 0
	s_cselect_b32 s17, s23, -1
	s_cmp_lg_u32 s17, 0
	s_cselect_b32 s17, s22, s20
	v_readfirstlane_b32 s20, v1
	s_cselect_b32 s19, s21, s19
	s_cmp_ge_u32 s20, s9
	s_cselect_b32 s20, -1, 0
	s_cmp_eq_u32 s16, 0
	s_cselect_b32 s16, s20, -1
	s_cmp_lg_u32 s16, 0
	s_cselect_b32 s17, s17, s18
	s_cselect_b32 s16, s19, s3
	s_xor_b64 s[16:17], s[16:17], s[10:11]
	s_sub_u32 s20, s16, s10
	s_load_dwordx4 s[16:19], s[4:5], 0x44
	s_cbranch_execnz .LBB16_3
.LBB16_2:
	v_cvt_f32_u32_e32 v1, s9
	s_sub_i32 s0, 0, s9
	v_rcp_iflag_f32_e32 v1, v1
	v_mul_f32_e32 v1, 0x4f7ffffe, v1
	v_cvt_u32_f32_e32 v1, v1
	v_readfirstlane_b32 s1, v1
	s_mul_i32 s0, s0, s1
	s_mul_hi_u32 s0, s1, s0
	s_add_i32 s1, s1, s0
	s_mul_hi_u32 s0, s2, s1
	s_mul_i32 s3, s0, s9
	s_sub_i32 s2, s2, s3
	s_add_i32 s1, s0, 1
	s_sub_i32 s3, s2, s9
	s_cmp_ge_u32 s2, s9
	s_cselect_b32 s0, s1, s0
	s_cselect_b32 s2, s3, s2
	s_add_i32 s1, s0, 1
	s_cmp_ge_u32 s2, s9
	s_cselect_b32 s20, s1, s0
.LBB16_3:
	s_add_i32 s0, s6, 1
	s_mul_hi_i32 s3, s15, s0
	s_mov_b32 s2, 0
	s_cmp_lg_u64 s[2:3], 0
	s_mul_i32 s2, s15, s0
	s_cbranch_scc0 .LBB16_22
; %bb.4:
	v_cvt_f32_u32_e32 v1, s9
	v_cvt_f32_ubyte0_e32 v2, 0
	s_sub_u32 s10, 0, s9
	s_subb_u32 s11, 0, 0
	v_madmk_f32 v1, v2, 0x4f800000, v1
	v_rcp_f32_e32 v1, v1
	v_mul_f32_e32 v1, 0x5f7ffffc, v1
	v_mul_f32_e32 v2, 0x2f800000, v1
	v_trunc_f32_e32 v2, v2
	v_madmk_f32 v1, v2, 0xcf800000, v1
	v_cvt_u32_f32_e32 v2, v2
	v_cvt_u32_f32_e32 v1, v1
	s_waitcnt lgkmcnt(0)
	v_readfirstlane_b32 s19, v2
	v_readfirstlane_b32 s21, v1
	s_mul_i32 s22, s10, s19
	s_mul_hi_u32 s24, s10, s21
	s_mul_i32 s23, s11, s21
	s_add_i32 s22, s24, s22
	s_add_i32 s22, s22, s23
	s_mul_i32 s25, s10, s21
	s_mul_hi_u32 s23, s21, s22
	s_mul_i32 s24, s21, s22
	s_mul_hi_u32 s21, s21, s25
	s_add_u32 s21, s21, s24
	s_addc_u32 s23, 0, s23
	s_mul_hi_u32 s26, s19, s25
	s_mul_i32 s25, s19, s25
	s_add_u32 s21, s21, s25
	s_mul_hi_u32 s24, s19, s22
	s_addc_u32 s21, s23, s26
	s_addc_u32 s23, s24, 0
	s_mul_i32 s22, s19, s22
	s_add_u32 s21, s21, s22
	s_addc_u32 s22, 0, s23
	v_add_co_u32_e32 v1, vcc, s21, v1
	s_cmp_lg_u64 vcc, 0
	s_addc_u32 s19, s19, s22
	v_readfirstlane_b32 s22, v1
	s_mul_i32 s21, s10, s19
	s_mul_hi_u32 s23, s10, s22
	s_add_i32 s21, s23, s21
	s_mul_i32 s11, s11, s22
	s_add_i32 s21, s21, s11
	s_mul_i32 s10, s10, s22
	s_mul_hi_u32 s23, s19, s10
	s_mul_i32 s24, s19, s10
	s_mul_i32 s26, s22, s21
	s_mul_hi_u32 s10, s22, s10
	s_mul_hi_u32 s25, s22, s21
	s_add_u32 s10, s10, s26
	s_addc_u32 s22, 0, s25
	s_add_u32 s10, s10, s24
	s_mul_hi_u32 s11, s19, s21
	s_addc_u32 s10, s22, s23
	s_addc_u32 s11, s11, 0
	s_mul_i32 s21, s19, s21
	s_add_u32 s10, s10, s21
	s_addc_u32 s11, 0, s11
	v_add_co_u32_e32 v1, vcc, s10, v1
	s_cmp_lg_u64 vcc, 0
	s_addc_u32 s19, s19, s11
	s_ashr_i32 s10, s3, 31
	s_add_u32 s22, s2, s10
	s_mov_b32 s11, s10
	s_addc_u32 s23, s3, s10
	s_xor_b64 s[22:23], s[22:23], s[10:11]
	v_readfirstlane_b32 s21, v1
	s_mul_i32 s11, s22, s19
	s_mul_hi_u32 s24, s22, s21
	s_mul_hi_u32 s3, s22, s19
	s_add_u32 s11, s24, s11
	s_addc_u32 s3, 0, s3
	s_mul_hi_u32 s25, s23, s21
	s_mul_i32 s21, s23, s21
	s_add_u32 s11, s11, s21
	s_mul_hi_u32 s24, s23, s19
	s_addc_u32 s3, s3, s25
	s_addc_u32 s11, s24, 0
	s_mul_i32 s19, s23, s19
	s_add_u32 s3, s3, s19
	s_addc_u32 s11, 0, s11
	s_mul_i32 s11, s9, s11
	s_mul_hi_u32 s24, s9, s3
	s_add_i32 s24, s24, s11
	s_mul_i32 s11, s9, s3
	v_mov_b32_e32 v1, s11
	s_add_u32 s19, s3, 1
	s_add_u32 s21, s3, 2
	v_sub_co_u32_e32 v1, vcc, s22, v1
	s_cmp_lg_u64 vcc, 0
	s_subb_u32 s11, s23, s24
	v_subrev_co_u32_e32 v2, vcc, s9, v1
	s_cmp_lg_u64 vcc, 0
	s_subb_u32 s22, s11, 0
	v_cmp_le_u32_e32 vcc, s9, v2
	s_cmp_eq_u32 s22, 0
	v_cndmask_b32_e64 v2, 0, -1, vcc
	s_cselect_b64 vcc, -1, 0
	v_cndmask_b32_e32 v2, -1, v2, vcc
	v_mov_b32_e32 v3, s19
	v_mov_b32_e32 v4, s21
	v_cmp_ne_u32_e32 vcc, 0, v2
	v_cndmask_b32_e32 v2, v3, v4, vcc
	v_cmp_le_u32_e32 vcc, s9, v1
	s_cmp_eq_u32 s11, 0
	v_cndmask_b32_e64 v1, 0, -1, vcc
	s_cselect_b64 vcc, -1, 0
	v_cndmask_b32_e32 v1, -1, v1, vcc
	v_mov_b32_e32 v3, s3
	v_cmp_ne_u32_e32 vcc, 0, v1
	v_cndmask_b32_e32 v1, v3, v2, vcc
	v_xor_b32_e32 v1, s10, v1
	v_subrev_co_u32_e32 v2, vcc, s10, v1
	s_cbranch_execnz .LBB16_6
.LBB16_5:
	v_cvt_f32_u32_e32 v1, s9
	s_sub_i32 s0, 0, s9
	s_mov_b32 s1, 0
	v_rcp_iflag_f32_e32 v1, v1
	v_mul_f32_e32 v1, 0x4f7ffffe, v1
	v_cvt_u32_f32_e32 v1, v1
	v_readfirstlane_b32 s3, v1
	s_mul_i32 s0, s0, s3
	s_mul_hi_u32 s0, s3, s0
	s_add_i32 s3, s3, s0
	s_mul_hi_u32 s0, s2, s3
	s_mul_i32 s10, s0, s9
	s_sub_i32 s2, s2, s10
	s_add_i32 s3, s0, 1
	s_sub_i32 s10, s2, s9
	s_cmp_ge_u32 s2, s9
	s_cselect_b32 s0, s3, s0
	s_cselect_b32 s2, s10, s2
	s_add_i32 s3, s0, 1
	s_cmp_ge_u32 s2, s9
	s_cselect_b32 s0, s3, s0
	v_pk_mov_b32 v[2:3], s[0:1], s[0:1] op_sel:[0,1]
.LBB16_6:
	s_waitcnt lgkmcnt(0)
	s_mul_hi_u32 s0, s20, s16
	s_add_i32 s0, s0, s20
	v_mul_hi_u32 v1, v2, s16
	s_lshr_b32 s19, s0, s17
	v_add_u32_e32 v1, v1, v2
	s_mul_i32 s0, s19, s18
	v_lshrrev_b32_e32 v1, s17, v1
	s_cmp_eq_u32 s0, s20
	v_cmp_eq_u32_e64 s[0:1], s19, v1
	v_mul_lo_u32 v1, v1, s18
	v_cmp_eq_u32_e32 vcc, s20, v2
	s_cselect_b64 s[10:11], -1, 0
	v_cmp_ne_u32_e64 s[2:3], v1, v2
	s_and_b64 s[0:1], s[0:1], s[2:3]
	s_or_b64 s[2:3], vcc, s[10:11]
	s_or_b64 s[0:1], s[2:3], s[0:1]
	s_and_b64 vcc, exec, s[0:1]
	s_cbranch_vccnz .LBB16_24
; %bb.7:
	s_load_dwordx8 s[24:31], s[4:5], 0x20
	s_load_dword s0, s[4:5], 0x40
	s_mov_b32 s10, 0
	s_waitcnt lgkmcnt(0)
	s_mul_hi_u32 s1, s20, s24
	s_add_i32 s1, s1, s20
	s_lshr_b32 s11, s1, s25
	s_mul_i32 s1, s11, s26
	s_sub_i32 s1, s20, s1
	s_mul_hi_u32 s2, s1, s27
	s_add_i32 s2, s1, s2
	s_lshr_b32 s21, s2, s28
	s_mul_i32 s2, s21, s29
	s_sub_i32 s1, s1, s2
	;; [unrolled: 5-line block ×3, first 2 shown]
	s_mul_hi_u32 s1, s0, s16
	s_add_i32 s0, s0, s1
	s_lshr_b32 s22, s0, s17
	s_lshl_b32 s23, s2, 3
	s_add_i32 s22, s22, s7
	s_cmp_lt_i32 s22, s12
	s_cselect_b64 s[0:1], -1, 0
	s_add_i32 s23, s23, s8
	s_cmp_lt_i32 s23, s14
	s_cselect_b64 s[2:3], -1, 0
	s_and_b64 s[0:1], s[0:1], s[2:3]
	s_andn2_b64 vcc, exec, s[0:1]
	s_cbranch_vccnz .LBB16_24
; %bb.8:
	s_load_dwordx4 s[0:3], s[4:5], 0x0
	s_lshl_b32 s4, s9, 5
	s_mov_b32 s5, s10
	s_lshl_b64 s[4:5], s[4:5], 2
	s_mul_i32 s24, s21, s14
	s_waitcnt lgkmcnt(0)
	s_add_u32 s14, s2, s4
	s_mul_i32 s11, s11, s12
	s_addc_u32 s21, s3, s5
	s_add_i32 s4, s22, s11
	s_mul_i32 s4, s4, s13
	s_add_i32 s5, s23, s24
	s_add_i32 s5, s5, s4
	v_lshl_or_b32 v2, s5, 6, v0
	v_ashrrev_i32_e32 v3, 31, v2
	v_lshlrev_b64 v[2:3], 2, v[2:3]
	v_mov_b32_e32 v1, s1
	v_add_co_u32_e32 v2, vcc, s0, v2
	v_addc_co_u32_e32 v3, vcc, v1, v3, vcc
	global_load_dword v5, v[2:3], off
	v_lshl_or_b32 v4, s8, 6, v0
	v_cvt_f32_u32_e32 v0, s9
	v_cvt_f32_ubyte0_e32 v1, 0
	s_add_i32 s0, s7, s6
	s_lshl_b32 s0, s0, 3
	v_mac_f32_e32 v0, 0x4f800000, v1
	v_rcp_f32_e32 v0, v0
	v_cvt_f32_u32_e32 v1, s9
	s_add_i32 s0, s0, s8
	s_ashr_i32 s1, s0, 31
	s_lshl_b64 s[0:1], s[0:1], 3
	v_mul_f32_e32 v0, 0x5f7ffffc, v0
	v_rcp_iflag_f32_e32 v1, v1
	s_add_u32 s0, s2, s0
	v_mul_f32_e32 v9, 0x2f800000, v0
	s_addc_u32 s1, s3, s1
	v_trunc_f32_e32 v10, v9
	s_load_dwordx2 s[0:1], s[0:1], 0x0
	v_mac_f32_e32 v0, 0xcf800000, v10
	v_cvt_u32_f32_e32 v9, v0
	v_mul_f32_e32 v0, 0x4f7ffffe, v1
	v_cvt_u32_f32_e32 v10, v10
	v_cvt_u32_f32_e32 v11, v0
	s_add_i32 s13, s6, -1
	s_waitcnt lgkmcnt(0)
	v_mov_b32_e32 v6, s1
	v_mov_b32_e32 v7, s0
	;; [unrolled: 1-line block ×3, first 2 shown]
	s_mov_b32 s6, 0x3fb8aa3b
	s_mov_b32 s12, 0xc2ce8ed0
	;; [unrolled: 1-line block ×4, first 2 shown]
	v_mov_b32_e32 v12, 0x7f800000
	s_mul_hi_i32 s11, s13, s15
	s_cmp_lg_u64 s[10:11], 0
	s_mul_i32 s4, s13, s15
	s_cbranch_scc0 .LBB16_15
.LBB16_9:
	s_sub_u32 s0, 0, s9
	v_readfirstlane_b32 s5, v9
	v_readfirstlane_b32 s25, v10
	s_subb_u32 s1, 0, 0
	s_mul_hi_u32 s24, s0, s5
	s_mul_i32 s26, s0, s25
	s_mul_i32 s23, s1, s5
	s_add_i32 s24, s24, s26
	s_add_i32 s24, s24, s23
	s_mul_i32 s27, s0, s5
	s_mul_hi_u32 s23, s5, s24
	s_mul_i32 s26, s5, s24
	s_mul_hi_u32 s5, s5, s27
	s_add_u32 s5, s5, s26
	s_addc_u32 s23, 0, s23
	s_mul_hi_u32 s28, s25, s27
	s_mul_i32 s27, s25, s27
	s_add_u32 s5, s5, s27
	s_mul_hi_u32 s26, s25, s24
	s_addc_u32 s5, s23, s28
	s_addc_u32 s23, s26, 0
	s_mul_i32 s24, s25, s24
	s_add_u32 s5, s5, s24
	s_addc_u32 s23, 0, s23
	v_add_co_u32_e32 v0, vcc, s5, v9
	s_cmp_lg_u64 vcc, 0
	s_addc_u32 s5, s25, s23
	v_readfirstlane_b32 s24, v0
	s_mul_i32 s23, s0, s5
	s_mul_hi_u32 s25, s0, s24
	s_add_i32 s23, s25, s23
	s_mul_i32 s1, s1, s24
	s_add_i32 s23, s23, s1
	s_mul_i32 s0, s0, s24
	s_mul_hi_u32 s25, s5, s0
	s_mul_i32 s26, s5, s0
	s_mul_i32 s28, s24, s23
	s_mul_hi_u32 s0, s24, s0
	s_mul_hi_u32 s27, s24, s23
	s_add_u32 s0, s0, s28
	s_addc_u32 s24, 0, s27
	s_add_u32 s0, s0, s26
	s_mul_hi_u32 s1, s5, s23
	s_addc_u32 s0, s24, s25
	s_addc_u32 s1, s1, 0
	s_mul_i32 s23, s5, s23
	s_add_u32 s0, s0, s23
	s_addc_u32 s1, 0, s1
	v_add_co_u32_e32 v0, vcc, s0, v0
	s_cmp_lg_u64 vcc, 0
	s_addc_u32 s5, s5, s1
	s_ashr_i32 s0, s11, 31
	s_add_u32 s24, s4, s0
	s_mov_b32 s1, s0
	s_addc_u32 s25, s11, s0
	s_xor_b64 s[24:25], s[24:25], s[0:1]
	v_readfirstlane_b32 s23, v0
	s_mul_i32 s11, s24, s5
	s_mul_hi_u32 s26, s24, s23
	s_mul_hi_u32 s1, s24, s5
	s_add_u32 s11, s26, s11
	s_addc_u32 s1, 0, s1
	s_mul_hi_u32 s27, s25, s23
	s_mul_i32 s23, s25, s23
	s_add_u32 s11, s11, s23
	s_mul_hi_u32 s26, s25, s5
	s_addc_u32 s1, s1, s27
	s_addc_u32 s11, s26, 0
	s_mul_i32 s5, s25, s5
	s_add_u32 s1, s1, s5
	s_addc_u32 s5, 0, s11
	s_mul_i32 s5, s9, s5
	s_mul_hi_u32 s26, s9, s1
	s_add_i32 s26, s26, s5
	s_mul_i32 s5, s9, s1
	v_mov_b32_e32 v0, s5
	s_add_u32 s11, s1, 1
	s_add_u32 s23, s1, 2
	v_sub_co_u32_e32 v0, vcc, s24, v0
	s_cmp_lg_u64 vcc, 0
	s_subb_u32 s5, s25, s26
	v_subrev_co_u32_e32 v1, vcc, s9, v0
	s_cmp_lg_u64 vcc, 0
	s_subb_u32 s24, s5, 0
	v_cmp_le_u32_e32 vcc, s9, v1
	s_cmp_eq_u32 s24, 0
	v_cndmask_b32_e64 v1, 0, -1, vcc
	s_cselect_b64 vcc, -1, 0
	v_cndmask_b32_e32 v1, -1, v1, vcc
	v_mov_b32_e32 v13, s11
	v_mov_b32_e32 v14, s23
	v_cmp_ne_u32_e32 vcc, 0, v1
	v_cndmask_b32_e32 v1, v13, v14, vcc
	v_cmp_le_u32_e32 vcc, s9, v0
	s_cmp_eq_u32 s5, 0
	v_cndmask_b32_e64 v0, 0, -1, vcc
	s_cselect_b64 vcc, -1, 0
	v_cndmask_b32_e32 v0, -1, v0, vcc
	v_mov_b32_e32 v13, s1
	v_cmp_ne_u32_e32 vcc, 0, v0
	v_cndmask_b32_e32 v0, v13, v1, vcc
	v_xor_b32_e32 v0, s0, v0
	v_subrev_co_u32_e32 v0, vcc, s0, v0
	s_cbranch_execnz .LBB16_11
.LBB16_10:
	s_sub_i32 s0, 0, s9
	v_mul_lo_u32 v0, s0, v11
	v_mul_hi_u32 v0, v11, v0
	v_add_u32_e32 v0, v11, v0
	v_mul_hi_u32 v0, s4, v0
	v_mul_lo_u32 v13, v0, s9
	v_sub_u32_e32 v13, s4, v13
	v_add_u32_e32 v1, 1, v0
	v_subrev_u32_e32 v14, s9, v13
	v_cmp_le_u32_e32 vcc, s9, v13
	v_cndmask_b32_e32 v13, v13, v14, vcc
	v_cndmask_b32_e32 v0, v0, v1, vcc
	v_add_u32_e32 v1, 1, v0
	v_cmp_le_u32_e32 vcc, s9, v13
	v_cndmask_b32_e32 v0, v0, v1, vcc
.LBB16_11:
	v_cmp_ne_u32_e32 vcc, v8, v0
	s_cbranch_vccz .LBB16_14
; %bb.12:
	s_add_i32 s23, s13, s7
	s_add_i32 s0, s23, s9
	s_lshl_b32 s0, s0, 3
	v_mul_hi_u32 v1, v0, s16
	s_add_i32 s0, s0, s8
	s_mov_b32 s1, s10
	v_add_u32_e32 v1, v1, v0
	s_lshl_b64 s[0:1], s[0:1], 3
	v_lshrrev_b32_e32 v1, s17, v1
	s_add_u32 s4, s2, s0
	v_mul_lo_u32 v13, v1, s18
	s_addc_u32 s5, s3, s1
	v_cmp_eq_u32_e32 vcc, v13, v0
	v_cmp_gt_u32_e64 s[0:1], s19, v1
	s_or_b64 s[0:1], s[0:1], vcc
	s_and_b64 vcc, exec, s[0:1]
	s_cbranch_vccnz .LBB16_16
; %bb.13:
	s_add_i32 s11, s13, -1
	s_mov_b64 s[0:1], 0
	s_branch .LBB16_17
.LBB16_14:
                                        ; implicit-def: $sgpr0_sgpr1
                                        ; implicit-def: $vgpr14
                                        ; implicit-def: $vgpr1
                                        ; implicit-def: $vgpr13
                                        ; implicit-def: $sgpr11
                                        ; implicit-def: $vgpr0
	s_branch .LBB16_18
.LBB16_15:
                                        ; implicit-def: $vgpr0_vgpr1
	s_branch .LBB16_10
.LBB16_16:
	s_mov_b64 s[0:1], -1
	s_mov_b32 s11, s13
	v_mov_b32_e32 v0, v8
.LBB16_17:
	v_lshl_add_u32 v14, s23, 9, v4
	v_ashrrev_i32_e32 v15, 31, v14
	v_lshlrev_b64 v[14:15], 2, v[14:15]
	v_mov_b32_e32 v1, s21
	v_add_co_u32_e32 v14, vcc, s14, v14
	v_addc_co_u32_e32 v15, vcc, v1, v15, vcc
	global_load_dword v14, v[14:15], off
	s_load_dwordx2 s[4:5], s[4:5], 0x0
	v_max_f32_e32 v1, v7, v7
	s_waitcnt lgkmcnt(0)
	v_max_f32_e64 v13, s4, s4
	v_max_f32_e32 v1, v1, v13
	v_sub_f32_e32 v13, v7, v1
	v_sub_f32_e32 v15, s4, v1
	v_mul_f32_e32 v16, 0x3fb8aa3b, v13
	v_mul_f32_e32 v17, 0x3fb8aa3b, v15
	v_fma_f32 v18, v13, s6, -v16
	v_rndne_f32_e32 v19, v16
	v_fma_f32 v20, v15, s6, -v17
	v_rndne_f32_e32 v21, v17
	v_fmac_f32_e32 v18, 0x32a5705f, v13
	v_sub_f32_e32 v16, v16, v19
	v_fmac_f32_e32 v20, 0x32a5705f, v15
	v_sub_f32_e32 v17, v17, v21
	v_add_f32_e32 v16, v16, v18
	v_cvt_i32_f32_e32 v19, v19
	v_add_f32_e32 v17, v17, v20
	v_exp_f32_e32 v16, v16
	v_cvt_i32_f32_e32 v21, v21
	v_exp_f32_e32 v17, v17
	v_cmp_ngt_f32_e32 vcc, s12, v13
	v_ldexp_f32 v16, v16, v19
	v_cndmask_b32_e32 v16, 0, v16, vcc
	v_ldexp_f32 v17, v17, v21
	v_cmp_ngt_f32_e32 vcc, s12, v15
	v_cndmask_b32_e32 v17, 0, v17, vcc
	v_cmp_nlt_f32_e32 vcc, s20, v13
	v_cndmask_b32_e32 v16, v12, v16, vcc
	v_cmp_nlt_f32_e32 vcc, s20, v15
	v_cndmask_b32_e32 v17, v12, v17, vcc
	v_cmp_le_f32_e32 vcc, s22, v13
	v_cndmask_b32_e32 v16, 0, v16, vcc
	v_cmp_le_f32_e32 vcc, s22, v15
	v_cndmask_b32_e32 v15, 0, v17, vcc
	v_mul_f32_e32 v13, s5, v15
	v_fmac_f32_e32 v13, v6, v16
	s_waitcnt vmcnt(0)
	v_mul_f32_e32 v14, v14, v15
	v_fmac_f32_e32 v14, v5, v16
	s_cbranch_execnz .LBB16_19
.LBB16_18:
	s_add_i32 s11, s13, -1
	s_mov_b64 s[0:1], 0
	v_mov_b32_e32 v0, v8
	v_mov_b32_e32 v13, v6
	;; [unrolled: 1-line block ×3, first 2 shown]
	s_waitcnt vmcnt(0)
	v_mov_b32_e32 v14, v5
.LBB16_19:
	s_andn2_b64 vcc, exec, s[0:1]
	s_cbranch_vccz .LBB16_23
; %bb.20:
	v_mov_b32_e32 v8, v0
	s_mov_b32 s13, s11
	v_mov_b32_e32 v6, v13
	v_mov_b32_e32 v7, v1
	s_waitcnt vmcnt(0)
	v_mov_b32_e32 v5, v14
	s_mul_hi_i32 s11, s13, s15
	s_cmp_lg_u64 s[10:11], 0
	s_mul_i32 s4, s13, s15
	s_cbranch_scc1 .LBB16_9
	s_branch .LBB16_15
.LBB16_21:
                                        ; implicit-def: $sgpr20_sgpr21
	s_load_dwordx4 s[16:19], s[4:5], 0x44
	s_branch .LBB16_2
.LBB16_22:
                                        ; implicit-def: $vgpr2_vgpr3
	s_branch .LBB16_5
.LBB16_23:
	v_div_scale_f32 v0, s[0:1], v13, v13, v14
	v_rcp_f32_e32 v1, v0
	v_div_scale_f32 v4, vcc, v14, v13, v14
	s_waitcnt vmcnt(0)
	v_fma_f32 v5, -v0, v1, 1.0
	v_fmac_f32_e32 v1, v5, v1
	v_mul_f32_e32 v5, v4, v1
	v_fma_f32 v6, -v0, v5, v4
	v_fmac_f32_e32 v5, v6, v1
	v_fma_f32 v0, -v0, v5, v4
	v_div_fmas_f32 v0, v0, v1, v5
	v_div_fixup_f32 v0, v0, v13, v14
	global_store_dword v[2:3], v0, off
.LBB16_24:
	s_endpgm
	.section	.rodata,"a",@progbits
	.p2align	6, 0x0
	.amdhsa_kernel _ZL33flash_attn_stream_k_fixup_generalILi64ELi1ELi8EEvPfPK15HIP_vector_typeIfLj2EEiiiiS1_IjLj3EES5_S5_S5_
		.amdhsa_group_segment_fixed_size 0
		.amdhsa_private_segment_fixed_size 0
		.amdhsa_kernarg_size 336
		.amdhsa_user_sgpr_count 6
		.amdhsa_user_sgpr_private_segment_buffer 1
		.amdhsa_user_sgpr_dispatch_ptr 0
		.amdhsa_user_sgpr_queue_ptr 0
		.amdhsa_user_sgpr_kernarg_segment_ptr 1
		.amdhsa_user_sgpr_dispatch_id 0
		.amdhsa_user_sgpr_flat_scratch_init 0
		.amdhsa_user_sgpr_kernarg_preload_length 0
		.amdhsa_user_sgpr_kernarg_preload_offset 0
		.amdhsa_user_sgpr_private_segment_size 0
		.amdhsa_uses_dynamic_stack 0
		.amdhsa_system_sgpr_private_segment_wavefront_offset 0
		.amdhsa_system_sgpr_workgroup_id_x 1
		.amdhsa_system_sgpr_workgroup_id_y 1
		.amdhsa_system_sgpr_workgroup_id_z 1
		.amdhsa_system_sgpr_workgroup_info 0
		.amdhsa_system_vgpr_workitem_id 0
		.amdhsa_next_free_vgpr 22
		.amdhsa_next_free_sgpr 32
		.amdhsa_accum_offset 24
		.amdhsa_reserve_vcc 1
		.amdhsa_reserve_flat_scratch 0
		.amdhsa_float_round_mode_32 0
		.amdhsa_float_round_mode_16_64 0
		.amdhsa_float_denorm_mode_32 3
		.amdhsa_float_denorm_mode_16_64 3
		.amdhsa_dx10_clamp 1
		.amdhsa_ieee_mode 1
		.amdhsa_fp16_overflow 0
		.amdhsa_tg_split 0
		.amdhsa_exception_fp_ieee_invalid_op 0
		.amdhsa_exception_fp_denorm_src 0
		.amdhsa_exception_fp_ieee_div_zero 0
		.amdhsa_exception_fp_ieee_overflow 0
		.amdhsa_exception_fp_ieee_underflow 0
		.amdhsa_exception_fp_ieee_inexact 0
		.amdhsa_exception_int_div_zero 0
	.end_amdhsa_kernel
	.section	.text._ZL33flash_attn_stream_k_fixup_generalILi64ELi1ELi8EEvPfPK15HIP_vector_typeIfLj2EEiiiiS1_IjLj3EES5_S5_S5_,"axG",@progbits,_ZL33flash_attn_stream_k_fixup_generalILi64ELi1ELi8EEvPfPK15HIP_vector_typeIfLj2EEiiiiS1_IjLj3EES5_S5_S5_,comdat
.Lfunc_end16:
	.size	_ZL33flash_attn_stream_k_fixup_generalILi64ELi1ELi8EEvPfPK15HIP_vector_typeIfLj2EEiiiiS1_IjLj3EES5_S5_S5_, .Lfunc_end16-_ZL33flash_attn_stream_k_fixup_generalILi64ELi1ELi8EEvPfPK15HIP_vector_typeIfLj2EEiiiiS1_IjLj3EES5_S5_S5_
                                        ; -- End function
	.section	.AMDGPU.csdata,"",@progbits
; Kernel info:
; codeLenInByte = 2804
; NumSgprs: 36
; NumVgprs: 22
; NumAgprs: 0
; TotalNumVgprs: 22
; ScratchSize: 0
; MemoryBound: 0
; FloatMode: 240
; IeeeMode: 1
; LDSByteSize: 0 bytes/workgroup (compile time only)
; SGPRBlocks: 4
; VGPRBlocks: 2
; NumSGPRsForWavesPerEU: 36
; NumVGPRsForWavesPerEU: 22
; AccumOffset: 24
; Occupancy: 8
; WaveLimiterHint : 0
; COMPUTE_PGM_RSRC2:SCRATCH_EN: 0
; COMPUTE_PGM_RSRC2:USER_SGPR: 6
; COMPUTE_PGM_RSRC2:TRAP_HANDLER: 0
; COMPUTE_PGM_RSRC2:TGID_X_EN: 1
; COMPUTE_PGM_RSRC2:TGID_Y_EN: 1
; COMPUTE_PGM_RSRC2:TGID_Z_EN: 1
; COMPUTE_PGM_RSRC2:TIDIG_COMP_CNT: 0
; COMPUTE_PGM_RSRC3_GFX90A:ACCUM_OFFSET: 5
; COMPUTE_PGM_RSRC3_GFX90A:TG_SPLIT: 0
	.section	.text._ZL15flash_attn_tileILi64ELi64ELi16ELi4ELb0EEvPKcS1_S1_S1_S1_PKiPfP15HIP_vector_typeIfLj2EEffffjfiS5_IjLj3EEiiiiiiiiiiiliiliiiiil,"axG",@progbits,_ZL15flash_attn_tileILi64ELi64ELi16ELi4ELb0EEvPKcS1_S1_S1_S1_PKiPfP15HIP_vector_typeIfLj2EEffffjfiS5_IjLj3EEiiiiiiiiiiiliiliiiiil,comdat
	.globl	_ZL15flash_attn_tileILi64ELi64ELi16ELi4ELb0EEvPKcS1_S1_S1_S1_PKiPfP15HIP_vector_typeIfLj2EEffffjfiS5_IjLj3EEiiiiiiiiiiiliiliiiiil ; -- Begin function _ZL15flash_attn_tileILi64ELi64ELi16ELi4ELb0EEvPKcS1_S1_S1_S1_PKiPfP15HIP_vector_typeIfLj2EEffffjfiS5_IjLj3EEiiiiiiiiiiiliiliiiiil
	.p2align	8
	.type	_ZL15flash_attn_tileILi64ELi64ELi16ELi4ELb0EEvPKcS1_S1_S1_S1_PKiPfP15HIP_vector_typeIfLj2EEffffjfiS5_IjLj3EEiiiiiiiiiiiliiliiiiil,@function
_ZL15flash_attn_tileILi64ELi64ELi16ELi4ELb0EEvPKcS1_S1_S1_S1_PKiPfP15HIP_vector_typeIfLj2EEffffjfiS5_IjLj3EEiiiiiiiiiiiliiliiiiil: ; @_ZL15flash_attn_tileILi64ELi64ELi16ELi4ELb0EEvPKcS1_S1_S1_S1_PKiPfP15HIP_vector_typeIfLj2EEffffjfiS5_IjLj3EEiiiiiiiiiiiliiliiiiil
; %bb.0:
	s_load_dwordx4 s[0:3], s[4:5], 0x5c
	s_load_dwordx2 s[30:31], s[4:5], 0x80
	s_load_dwordx2 s[36:37], s[4:5], 0xb8
	s_mov_b64 s[34:35], 0
	s_waitcnt lgkmcnt(0)
	s_ashr_i32 s9, s3, 31
	s_lshr_b32 s9, s9, 30
	s_add_i32 s9, s3, s9
	s_ashr_i32 s9, s9, 2
	v_cvt_f32_u32_e32 v1, s9
	s_sub_i32 s10, 0, s9
	v_rcp_iflag_f32_e32 v1, v1
	v_mul_f32_e32 v1, 0x4f7ffffe, v1
	v_cvt_u32_f32_e32 v1, v1
	v_readfirstlane_b32 s11, v1
	s_mul_i32 s10, s10, s11
	s_mul_hi_u32 s10, s11, s10
	s_add_i32 s11, s11, s10
	s_mul_hi_u32 s10, s8, s11
	s_mul_i32 s11, s10, s9
	s_sub_i32 s11, s8, s11
	s_add_i32 s12, s10, 1
	s_sub_i32 s13, s11, s9
	s_cmp_ge_u32 s11, s9
	s_cselect_b32 s10, s12, s10
	s_cselect_b32 s11, s13, s11
	s_add_i32 s12, s10, 1
	s_cmp_ge_u32 s11, s9
	s_cselect_b32 s33, s12, s10
	s_abs_i32 s9, s31
	v_cvt_f32_u32_e32 v1, s9
	s_lshl_b32 s8, s8, 2
	s_mul_i32 s12, s33, s3
	s_sub_i32 s13, 0, s9
	v_rcp_iflag_f32_e32 v1, v1
	s_sub_i32 s28, s8, s12
	s_abs_i32 s11, s3
	s_xor_b32 s10, s3, s31
	v_mul_f32_e32 v1, 0x4f7ffffe, v1
	v_cvt_u32_f32_e32 v1, v1
	s_ashr_i32 s10, s10, 31
	v_readfirstlane_b32 s8, v1
	s_mul_i32 s13, s13, s8
	s_mul_hi_u32 s12, s8, s13
	s_add_i32 s8, s8, s12
	s_mul_hi_u32 s8, s11, s8
	s_mul_i32 s12, s8, s9
	s_sub_i32 s11, s11, s12
	s_add_i32 s13, s8, 1
	s_sub_i32 s12, s11, s9
	s_cmp_ge_u32 s11, s9
	s_cselect_b32 s8, s13, s8
	s_cselect_b32 s11, s12, s11
	s_add_i32 s12, s8, 1
	s_cmp_ge_u32 s11, s9
	s_cselect_b32 s8, s12, s8
	s_xor_b32 s8, s8, s10
	s_sub_i32 s31, s8, s10
	s_abs_i32 s29, s31
	v_cvt_f32_u32_e32 v1, s29
	s_load_dwordx16 s[8:23], s[4:5], 0x0
	v_rcp_iflag_f32_e32 v1, v1
	s_waitcnt lgkmcnt(0)
	s_cmp_eq_u64 s[14:15], 0
	v_mul_f32_e32 v1, 0x4f7ffffe, v1
	v_cvt_u32_f32_e32 v1, v1
	v_readfirstlane_b32 s38, v1
	s_cbranch_scc1 .LBB17_2
; %bb.1:
	s_abs_i32 s26, s36
	v_cvt_f32_u32_e32 v1, s26
	s_sub_i32 s35, 0, s26
	s_abs_i32 s34, s33
	s_ashr_i32 s27, s33, 31
	v_rcp_iflag_f32_e32 v1, v1
	s_load_dwordx2 s[24:25], s[4:5], 0xc8
	v_mul_f32_e32 v1, 0x4f7ffffe, v1
	v_cvt_u32_f32_e32 v1, v1
	v_readfirstlane_b32 s36, v1
	s_mul_i32 s35, s35, s36
	s_mul_hi_u32 s35, s36, s35
	s_add_i32 s36, s36, s35
	s_mul_hi_u32 s35, s34, s36
	s_mul_i32 s35, s35, s26
	s_sub_i32 s34, s34, s35
	s_sub_i32 s35, s34, s26
	s_cmp_ge_u32 s34, s26
	s_cselect_b32 s34, s35, s34
	s_sub_i32 s35, s34, s26
	s_cmp_ge_u32 s34, s26
	s_cselect_b32 s26, s35, s34
	s_xor_b32 s26, s26, s27
	s_sub_i32 s26, s26, s27
	s_ashr_i32 s27, s26, 31
	s_waitcnt lgkmcnt(0)
	s_mul_i32 s25, s26, s25
	s_mul_hi_u32 s34, s26, s24
	s_add_i32 s25, s34, s25
	s_mul_i32 s27, s27, s24
	s_add_i32 s25, s25, s27
	s_mul_i32 s26, s26, s24
	s_add_u32 s34, s14, s26
	s_addc_u32 s35, s15, s25
.LBB17_2:
	s_load_dwordx4 s[24:27], s[4:5], 0x70
	v_bfe_u32 v8, v0, 10, 10
	s_lshl_b32 s14, s6, 4
	v_lshlrev_b32_e32 v80, 1, v8
	v_add_u32_e32 v82, s14, v80
	s_waitcnt lgkmcnt(0)
	s_mul_i32 s15, s33, s26
	s_ashr_i32 s27, s15, 31
	s_mul_i32 s26, s28, s25
	s_add_u32 s8, s8, s15
	v_and_b32_e32 v81, 0x3ff, v0
	v_mul_hi_u32 v0, v82, s0
	s_addc_u32 s9, s9, s27
	s_ashr_i32 s15, s26, 31
	v_add_u32_e32 v0, v82, v0
	s_add_u32 s36, s8, s26
	v_lshrrev_b32_e32 v0, s1, v0
	s_addc_u32 s15, s9, s15
	s_ashr_i32 s9, s25, 31
	s_mov_b32 s8, s25
	v_mul_lo_u32 v0, v0, s2
	s_lshr_b64 s[26:27], s[8:9], 2
	s_ashr_i32 s8, s24, 31
	v_sub_u32_e32 v9, v82, v0
	v_mov_b32_e32 v0, s24
	v_alignbit_b32 v23, s8, v0, 2
	v_mad_u64_u32 v[0:1], s[40:41], v23, v9, 0
	v_mov_b32_e32 v2, v1
	s_lshr_b32 s24, s8, 2
	v_mad_u64_u32 v[2:3], s[40:41], s24, v9, v[2:3]
	v_mov_b32_e32 v1, v2
	v_lshlrev_b64 v[0:1], 2, v[0:1]
	v_mov_b32_e32 v2, s15
	v_add_co_u32_e32 v3, vcc, s36, v0
	v_addc_co_u32_e32 v4, vcc, v2, v1, vcc
	v_lshlrev_b32_e32 v24, 3, v81
	s_and_b32 s8, s25, -4
	v_add_co_u32_e32 v2, vcc, v3, v24
	s_add_u32 s39, s36, s8
	v_addc_co_u32_e32 v3, vcc, 0, v4, vcc
	s_addc_u32 s40, s15, s9
	v_mov_b32_e32 v4, s40
	v_add_co_u32_e32 v5, vcc, s39, v0
	v_addc_co_u32_e32 v6, vcc, v4, v1, vcc
	s_lshl_b64 s[26:27], s[26:27], 3
	v_add_co_u32_e32 v4, vcc, v5, v24
	s_add_u32 s26, s36, s26
	v_addc_co_u32_e32 v5, vcc, 0, v6, vcc
	s_addc_u32 s27, s15, s27
	v_mov_b32_e32 v6, s27
	v_add_co_u32_e32 v7, vcc, s26, v0
	v_addc_co_u32_e32 v10, vcc, v6, v1, vcc
	v_add_co_u32_e32 v6, vcc, v7, v24
	v_addc_co_u32_e32 v7, vcc, 0, v10, vcc
	v_mov_b32_e32 v10, s25
	v_alignbit_b32 v10, s9, v10, 2
	s_lshr_b32 s8, s9, 2
	v_mul_lo_u32 v11, v10, 12
	v_mul_hi_u32 v10, v10, 12
	s_mul_i32 s8, s8, 12
	v_add_u32_e32 v10, s8, v10
	v_mov_b32_e32 v12, s15
	v_add_co_u32_e32 v25, vcc, s36, v11
	v_lshlrev_b32_e32 v22, 3, v8
	v_addc_co_u32_e32 v26, vcc, v12, v10, vcc
	v_add_co_u32_e32 v0, vcc, v25, v0
	v_or_b32_e32 v27, 4, v22
	v_addc_co_u32_e32 v1, vcc, v26, v1, vcc
	v_lshrrev_b32_e32 v78, 2, v27
	v_add_co_u32_e32 v0, vcc, v0, v24
	v_add_u32_e32 v79, s14, v78
	v_addc_co_u32_e32 v1, vcc, 0, v1, vcc
	global_load_dwordx2 v[10:11], v[2:3], off
	global_load_dwordx2 v[12:13], v[4:5], off
	;; [unrolled: 1-line block ×4, first 2 shown]
	v_mul_hi_u32 v0, v79, s0
	v_add_u32_e32 v0, v79, v0
	v_lshrrev_b32_e32 v0, s1, v0
	v_mul_lo_u32 v0, v0, s2
	v_sub_u32_e32 v3, v79, v0
	v_mad_u64_u32 v[0:1], s[8:9], v23, v3, 0
	v_mov_b32_e32 v2, v1
	v_mad_u64_u32 v[2:3], s[8:9], s24, v3, v[2:3]
	v_mov_b32_e32 v1, v2
	v_or_b32_e32 v28, 5, v22
	v_lshlrev_b64 v[0:1], 2, v[0:1]
	v_lshrrev_b32_e32 v76, 2, v28
	v_mov_b32_e32 v2, s15
	v_add_co_u32_e32 v0, vcc, s36, v0
	v_add_u32_e32 v77, s14, v76
	v_addc_co_u32_e32 v1, vcc, v2, v1, vcc
	v_mul_hi_u32 v2, v77, s0
	v_add_u32_e32 v2, v77, v2
	v_lshrrev_b32_e32 v2, s1, v2
	v_mul_lo_u32 v2, v2, s2
	v_sub_u32_e32 v5, v77, v2
	v_mad_u64_u32 v[2:3], s[8:9], v23, v5, 0
	v_mov_b32_e32 v4, v3
	v_mad_u64_u32 v[4:5], s[8:9], s24, v5, v[4:5]
	v_add_co_u32_e32 v0, vcc, v0, v24
	v_mov_b32_e32 v3, v4
	v_or_b32_e32 v29, 6, v22
	v_addc_co_u32_e32 v1, vcc, 0, v1, vcc
	v_lshlrev_b64 v[2:3], 2, v[2:3]
	v_lshrrev_b32_e32 v74, 2, v29
	v_mov_b32_e32 v4, s40
	v_add_co_u32_e32 v2, vcc, s39, v2
	v_add_u32_e32 v75, s14, v74
	v_addc_co_u32_e32 v3, vcc, v4, v3, vcc
	v_mul_hi_u32 v4, v75, s0
	v_add_u32_e32 v4, v75, v4
	v_lshrrev_b32_e32 v4, s1, v4
	v_mul_lo_u32 v4, v4, s2
	v_sub_u32_e32 v7, v75, v4
	v_mad_u64_u32 v[4:5], s[8:9], v23, v7, 0
	v_mov_b32_e32 v6, v5
	v_mad_u64_u32 v[6:7], s[8:9], s24, v7, v[6:7]
	v_add_co_u32_e32 v2, vcc, v2, v24
	v_mov_b32_e32 v5, v6
	v_addc_co_u32_e32 v3, vcc, 0, v3, vcc
	v_lshlrev_b64 v[4:5], 2, v[4:5]
	v_mov_b32_e32 v6, s27
	v_add_co_u32_e32 v4, vcc, s26, v4
	v_addc_co_u32_e32 v5, vcc, v6, v5, vcc
	v_add_co_u32_e32 v4, vcc, v4, v24
	v_addc_co_u32_e32 v5, vcc, 0, v5, vcc
	global_load_dwordx2 v[6:7], v[0:1], off
	global_load_dwordx2 v[18:19], v[2:3], off
	;; [unrolled: 1-line block ×3, first 2 shown]
	v_or_b32_e32 v4, 7, v22
	v_lshrrev_b32_e32 v72, 2, v4
	v_add_u32_e32 v73, s14, v72
	v_mul_hi_u32 v0, v73, s0
	v_add_u32_e32 v0, v73, v0
	v_lshrrev_b32_e32 v0, s1, v0
	v_mul_lo_u32 v0, v0, s2
	v_sub_u32_e32 v3, v73, v0
	v_mad_u64_u32 v[0:1], s[8:9], v23, v3, 0
	v_mov_b32_e32 v2, v1
	v_mad_u64_u32 v[2:3], s[8:9], s24, v3, v[2:3]
	v_mov_b32_e32 v1, v2
	v_lshlrev_b64 v[0:1], 2, v[0:1]
	v_add_co_u32_e32 v0, vcc, v25, v0
	v_addc_co_u32_e32 v1, vcc, v26, v1, vcc
	v_add_co_u32_e32 v0, vcc, v0, v24
	v_addc_co_u32_e32 v1, vcc, 0, v1, vcc
	global_load_dwordx2 v[0:1], v[0:1], off
	s_load_dword s8, s[4:5], 0x40
	v_lshlrev_b32_e32 v83, 2, v81
	v_lshl_or_b32 v3, v8, 10, v83
	v_add_u32_e32 v3, 0x4400, v3
	s_cmp_eq_u64 s[18:19], 0
	s_waitcnt vmcnt(7) lgkmcnt(0)
	v_fma_mixlo_f16 v2, v10, s8, 0
	s_waitcnt vmcnt(6)
	v_fma_mixlo_f16 v5, v12, s8, 0
	v_fma_mixhi_f16 v2, v11, s8, 0
	v_fma_mixhi_f16 v5, v13, s8, 0
	ds_write2_b32 v3, v2, v5 offset1:32
	s_waitcnt vmcnt(5)
	v_fma_mixlo_f16 v2, v14, s8, 0
	s_waitcnt vmcnt(4)
	v_fma_mixlo_f16 v5, v16, s8, 0
	v_fma_mixhi_f16 v2, v15, s8, 0
	v_fma_mixhi_f16 v5, v17, s8, 0
	ds_write2_b32 v3, v2, v5 offset0:64 offset1:96
	v_lshlrev_b32_e32 v3, 5, v27
	v_add_lshl_u32 v3, v3, v81, 2
	s_waitcnt vmcnt(3)
	v_fma_mixlo_f16 v2, v6, s8, 0
	v_fma_mixhi_f16 v2, v7, s8, 0
	ds_write_b32 v3, v2 offset:17408
	s_waitcnt vmcnt(2)
	v_fma_mixlo_f16 v2, v18, s8, 0
	v_lshlrev_b32_e32 v3, 5, v28
	v_fma_mixhi_f16 v2, v19, s8, 0
	v_add_lshl_u32 v3, v3, v81, 2
	ds_write_b32 v3, v2 offset:17408
	s_waitcnt vmcnt(1)
	v_fma_mixlo_f16 v2, v20, s8, 0
	v_lshlrev_b32_e32 v3, 5, v29
	v_fma_mixhi_f16 v2, v21, s8, 0
	v_add_lshl_u32 v3, v3, v81, 2
	ds_write_b32 v3, v2 offset:17408
	s_waitcnt vmcnt(0)
	v_fma_mixlo_f16 v0, v0, s8, 0
	v_fma_mixhi_f16 v0, v1, s8, 0
	v_lshlrev_b32_e32 v1, 5, v4
	v_add_lshl_u32 v1, v1, v81, 2
	ds_write_b32 v1, v0 offset:17408
	s_waitcnt lgkmcnt(0)
	s_barrier
	s_cbranch_scc1 .LBB17_4
; %bb.3:
	s_load_dword s8, s[4:5], 0xd0
	s_mov_b32 s9, 0
	s_waitcnt lgkmcnt(0)
	s_mul_i32 s8, s8, s33
	s_add_i32 s8, s8, s6
	s_lshl_b64 s[8:9], s[8:9], 2
	s_add_u32 s8, s18, s8
	s_addc_u32 s9, s19, s9
	s_load_dword s30, s[8:9], 0x0
.LBB17_4:
	s_lshl_b32 s15, s7, 6
	s_waitcnt lgkmcnt(0)
	s_cmp_lt_i32 s15, s30
	v_mbcnt_lo_u32_b32 v10, -1, 0
	s_cbranch_scc1 .LBB17_6
; %bb.5:
	v_mbcnt_hi_u32_b32 v84, -1, v10
	v_and_b32_e32 v0, 0x60, v84
	s_mov_b32 s6, 0
	v_add_u32_e32 v85, 32, v0
	v_xor_b32_e32 v89, 16, v84
	v_xor_b32_e32 v90, 8, v84
	;; [unrolled: 1-line block ×5, first 2 shown]
	s_mov_b64 s[8:9], 0
	s_mov_b32 s18, 0xfeffffff
	s_branch .LBB17_7
.LBB17_6:
	s_mov_b64 s[8:9], -1
                                        ; implicit-def: $sgpr18
                                        ; implicit-def: $sgpr6
                                        ; implicit-def: $vgpr84
                                        ; implicit-def: $vgpr85
                                        ; implicit-def: $vgpr89
                                        ; implicit-def: $vgpr90
                                        ; implicit-def: $vgpr88
                                        ; implicit-def: $vgpr87
                                        ; implicit-def: $vgpr86
.LBB17_7:
	s_andn2_b64 vcc, exec, s[8:9]
	v_mov_b32_e32 v7, s18
	v_mov_b32_e32 v45, s6
	;; [unrolled: 1-line block ×24, first 2 shown]
	s_cbranch_vccnz .LBB17_10
; %bb.8:
	s_load_dwordx2 s[18:19], s[4:5], 0x8c
	s_load_dwordx4 s[24:27], s[4:5], 0x98
	s_sub_i32 s6, 0, s29
	s_mul_i32 s6, s6, s38
	s_mul_hi_u32 s6, s38, s6
	s_waitcnt lgkmcnt(0)
	s_ashr_i32 s9, s18, 2
	s_ashr_i32 s8, s26, 2
	;; [unrolled: 1-line block ×4, first 2 shown]
	s_mul_i32 s25, s33, s25
	s_mul_hi_u32 s37, s33, s24
	s_add_i32 s25, s37, s25
	s_mul_i32 s37, s18, s24
	s_abs_i32 s36, s28
	s_add_i32 s38, s38, s6
	s_ashr_i32 s40, s28, 31
	s_ashr_i32 s31, s31, 31
	s_add_i32 s25, s25, s37
	s_mul_i32 s24, s33, s24
	s_mul_hi_u32 s6, s36, s38
	s_add_u32 s10, s10, s24
	s_addc_u32 s11, s11, s25
	s_mul_i32 s25, s6, s29
	s_sub_i32 s25, s36, s25
	s_xor_b32 s24, s40, s31
	s_add_i32 s31, s6, 1
	s_sub_i32 s36, s25, s29
	s_cmp_ge_u32 s25, s29
	s_cselect_b32 s6, s31, s6
	s_cselect_b32 s25, s36, s25
	s_add_i32 s31, s6, 1
	s_cmp_ge_u32 s25, s29
	s_cselect_b32 s6, s31, s6
	s_load_dwordx2 s[38:39], s[4:5], 0xa8
	s_xor_b32 s6, s6, s24
	s_sub_i32 s6, s6, s24
	s_mul_i32 s19, s6, s19
	s_ashr_i32 s24, s19, 31
	v_lshrrev_b32_e32 v0, 3, v81
	s_add_u32 s10, s10, s19
	v_lshl_add_u32 v0, v8, 2, v0
	v_lshlrev_b32_e32 v3, 10, v8
	v_add3_u32 v8, s14, v80, 1
	s_addc_u32 s11, s11, s24
	s_waitcnt lgkmcnt(0)
	s_mul_i32 s19, s33, s39
	s_mul_hi_u32 s24, s33, s38
	v_mul_lo_u32 v95, v9, s26
	v_mul_hi_u32 v9, s0, v8
	s_add_i32 s19, s24, s19
	s_mul_i32 s18, s18, s38
	v_add_u32_e32 v9, v8, v9
	s_add_i32 s19, s19, s18
	s_mul_i32 s18, s33, s38
	v_lshrrev_b32_e32 v9, s1, v9
	s_add_u32 s12, s12, s18
	s_mul_i32 s6, s6, s27
	v_mul_lo_u32 v9, v9, s2
	s_addc_u32 s13, s13, s19
	s_ashr_i32 s18, s6, 31
	v_sub_u32_e32 v8, v8, v9
	s_add_u32 s12, s12, s6
	v_and_b32_e32 v2, 28, v83
	v_mul_lo_u32 v4, s9, v0
	v_mul_lo_u32 v96, v8, s26
	;; [unrolled: 1-line block ×3, first 2 shown]
	s_addc_u32 s13, s13, s18
	v_lshlrev_b32_e32 v1, 2, v2
	s_movk_i32 s6, 0x90
	v_lshl_add_u32 v6, s9, 5, v4
	v_lshl_add_u32 v12, s8, 5, v8
	v_mbcnt_hi_u32_b32 v84, -1, v10
	v_mov_b32_e32 v113, 0
	v_mad_u32_u24 v91, v0, s6, v1
	v_ashrrev_i32_e32 v5, 31, v4
	v_ashrrev_i32_e32 v7, 31, v6
	v_add_u32_e32 v94, 0x4400, v3
	v_add_u32_e32 v97, 0x2400, v3
	v_lshlrev_b32_e32 v3, 4, v81
	v_lshl_or_b32 v98, v0, 7, v1
	v_ashrrev_i32_e32 v9, 31, v8
	v_ashrrev_i32_e32 v13, 31, v12
	s_add_u32 s0, s4, 0xd0
	v_mov_b32_e32 v0, 0xfeffffff
	v_and_b32_e32 v1, 0x60, v84
	v_add_u32_e32 v92, 0x1200, v91
	v_mul_u32_u24_e32 v93, 0x90, v81
	v_add_u32_e32 v99, 0x1000, v98
	s_addc_u32 s1, s5, 0
	v_lshlrev_b64 v[52:53], 2, v[4:5]
	v_lshlrev_b32_e32 v100, 2, v2
	v_lshlrev_b64 v[54:55], 2, v[6:7]
	v_add_u32_e32 v85, 32, v1
	v_xor_b32_e32 v89, 16, v84
	v_xor_b32_e32 v90, 8, v84
	;; [unrolled: 1-line block ×5, first 2 shown]
	v_mov_b32_e32 v101, s35
	s_mov_b32 s6, 0x40051340
	s_mov_b32 s18, 0x3fb8aa3b
	;; [unrolled: 1-line block ×4, first 2 shown]
	v_mov_b32_e32 v102, 0x7f800000
	v_add_u32_e32 v103, v97, v3
	v_lshlrev_b64 v[56:57], 2, v[8:9]
	v_lshlrev_b64 v[58:59], 2, v[12:13]
	v_add_u32_e32 v104, 0x400, v83
	v_add_u32_e32 v105, 0x800, v83
	;; [unrolled: 1-line block ×7, first 2 shown]
	v_mov_b32_e32 v115, 0
	v_mov_b32_e32 v111, 0
	;; [unrolled: 1-line block ×22, first 2 shown]
.LBB17_9:                               ; =>This Inner Loop Header: Depth=1
	s_mul_hi_i32 s27, s15, s9
	s_mul_i32 s26, s15, s9
	s_lshl_b64 s[26:27], s[26:27], 2
	s_add_u32 s25, s10, s26
	s_addc_u32 s26, s11, s27
	v_mov_b32_e32 v63, v1
	v_mov_b32_e32 v62, v0
	v_add_co_u32_e32 v0, vcc, s25, v52
	v_mov_b32_e32 v1, s26
	v_addc_co_u32_e32 v1, vcc, v1, v53, vcc
	v_add_co_u32_e32 v0, vcc, v0, v100
	v_addc_co_u32_e32 v1, vcc, 0, v1, vcc
	v_mov_b32_e32 v61, v3
	v_mov_b32_e32 v60, v2
	global_load_dwordx4 v[0:3], v[0:1], off
	v_mov_b32_e32 v66, 0
	v_mov_b32_e32 v67, 0
	;; [unrolled: 1-line block ×9, first 2 shown]
	s_mul_hi_i32 s27, s15, s8
	s_waitcnt vmcnt(0)
	ds_write_b128 v91, v[0:3]
	v_add_co_u32_e32 v0, vcc, s25, v54
	v_mov_b32_e32 v1, s26
	v_addc_co_u32_e32 v1, vcc, v1, v55, vcc
	v_add_co_u32_e32 v0, vcc, v0, v100
	v_addc_co_u32_e32 v1, vcc, 0, v1, vcc
	global_load_dwordx4 v[0:3], v[0:1], off
	v_cmp_lt_i32_e32 vcc, v89, v85
	s_mul_i32 s26, s15, s8
	s_lshl_b64 s[26:27], s[26:27], 2
	s_add_u32 s25, s12, s26
	s_addc_u32 s26, s13, s27
	s_waitcnt vmcnt(0)
	ds_write_b128 v92, v[0:3]
	s_waitcnt lgkmcnt(0)
	s_barrier
	ds_read_b128 v[40:43], v93
	ds_read_b128 v[0:3], v93 offset:4608
	ds_read_b128 v[36:39], v94
	ds_read_b128 v[32:35], v94 offset:128
	ds_read_b128 v[28:31], v94 offset:256
	;; [unrolled: 1-line block ×7, first 2 shown]
	s_waitcnt lgkmcnt(7)
	;;#ASMSTART
	v_dot2_f32_f16 v66, v40, v36, v66
	;;#ASMEND
	;;#ASMSTART
	v_dot2_f32_f16 v66, v41, v37, v66
	;;#ASMEND
	;;#ASMSTART
	v_dot2_f32_f16 v66, v42, v38, v66
	;;#ASMEND
	;;#ASMSTART
	v_dot2_f32_f16 v66, v43, v39, v66
	;;#ASMEND
	s_waitcnt lgkmcnt(6)
	;;#ASMSTART
	v_dot2_f32_f16 v67, v40, v32, v67
	;;#ASMEND
	;;#ASMSTART
	v_dot2_f32_f16 v67, v41, v33, v67
	;;#ASMEND
	;;#ASMSTART
	v_dot2_f32_f16 v67, v42, v34, v67
	;;#ASMEND
	;;#ASMSTART
	v_dot2_f32_f16 v67, v43, v35, v67
	;;#ASMEND
	;; [unrolled: 13-line block ×7, first 2 shown]
	s_waitcnt lgkmcnt(0)
	;;#ASMSTART
	v_dot2_f32_f16 v70, v40, v8, v70
	;;#ASMEND
	;;#ASMSTART
	v_dot2_f32_f16 v70, v41, v9, v70
	;;#ASMEND
	;;#ASMSTART
	v_dot2_f32_f16 v70, v42, v10, v70
	;;#ASMEND
	v_mov_b32_e32 v40, 0
	;;#ASMSTART
	v_dot2_f32_f16 v70, v43, v11, v70
	;;#ASMEND
	;;#ASMSTART
	v_dot2_f32_f16 v40, v0, v36, v40
	;;#ASMEND
	;;#ASMSTART
	v_dot2_f32_f16 v40, v1, v37, v40
	;;#ASMEND
	;;#ASMSTART
	v_dot2_f32_f16 v40, v2, v38, v40
	;;#ASMEND
	v_mov_b32_e32 v41, 0
	;;#ASMSTART
	v_dot2_f32_f16 v40, v3, v39, v40
	;;#ASMEND
	;; [unrolled: 13-line block ×7, first 2 shown]
	;;#ASMSTART
	v_dot2_f32_f16 v16, v0, v12, v16
	;;#ASMEND
	;;#ASMSTART
	v_dot2_f32_f16 v16, v1, v13, v16
	;;#ASMEND
	;; [unrolled: 3-line block ×8, first 2 shown]
	ds_read_b128 v[0:3], v93 offset:16
	ds_read_b128 v[8:11], v93 offset:4624
	;; [unrolled: 1-line block ×10, first 2 shown]
	s_waitcnt lgkmcnt(7)
	;;#ASMSTART
	v_dot2_f32_f16 v66, v0, v12, v66
	;;#ASMEND
	;;#ASMSTART
	v_dot2_f32_f16 v66, v1, v13, v66
	;;#ASMEND
	;;#ASMSTART
	v_dot2_f32_f16 v66, v2, v14, v66
	;;#ASMEND
	;;#ASMSTART
	v_dot2_f32_f16 v66, v3, v15, v66
	;;#ASMEND
	s_waitcnt lgkmcnt(6)
	;;#ASMSTART
	v_dot2_f32_f16 v67, v0, v18, v67
	;;#ASMEND
	;;#ASMSTART
	v_dot2_f32_f16 v67, v1, v19, v67
	;;#ASMEND
	;;#ASMSTART
	v_dot2_f32_f16 v67, v2, v20, v67
	;;#ASMEND
	;;#ASMSTART
	v_dot2_f32_f16 v67, v3, v21, v67
	;;#ASMEND
	;; [unrolled: 13-line block ×8, first 2 shown]
	;;#ASMSTART
	v_dot2_f32_f16 v40, v8, v12, v40
	;;#ASMEND
	;;#ASMSTART
	v_dot2_f32_f16 v40, v9, v13, v40
	;;#ASMEND
	;; [unrolled: 3-line block ×32, first 2 shown]
	ds_read_b128 v[0:3], v93 offset:32
	ds_read_b128 v[8:11], v93 offset:4640
	;; [unrolled: 1-line block ×10, first 2 shown]
	s_waitcnt lgkmcnt(7)
	;;#ASMSTART
	v_dot2_f32_f16 v66, v0, v12, v66
	;;#ASMEND
	;;#ASMSTART
	v_dot2_f32_f16 v66, v1, v13, v66
	;;#ASMEND
	;;#ASMSTART
	v_dot2_f32_f16 v66, v2, v14, v66
	;;#ASMEND
	;;#ASMSTART
	v_dot2_f32_f16 v66, v3, v15, v66
	;;#ASMEND
	s_waitcnt lgkmcnt(6)
	;;#ASMSTART
	v_dot2_f32_f16 v67, v0, v18, v67
	;;#ASMEND
	;;#ASMSTART
	v_dot2_f32_f16 v67, v1, v19, v67
	;;#ASMEND
	;;#ASMSTART
	v_dot2_f32_f16 v67, v2, v20, v67
	;;#ASMEND
	;;#ASMSTART
	v_dot2_f32_f16 v67, v3, v21, v67
	;;#ASMEND
	;; [unrolled: 13-line block ×8, first 2 shown]
	;;#ASMSTART
	v_dot2_f32_f16 v40, v8, v12, v40
	;;#ASMEND
	;;#ASMSTART
	v_dot2_f32_f16 v40, v9, v13, v40
	;;#ASMEND
	;; [unrolled: 3-line block ×32, first 2 shown]
	ds_read_b128 v[0:3], v93 offset:48
	ds_read_b128 v[8:11], v93 offset:4656
	;; [unrolled: 1-line block ×10, first 2 shown]
	s_waitcnt lgkmcnt(7)
	;;#ASMSTART
	v_dot2_f32_f16 v66, v0, v12, v66
	;;#ASMEND
	;;#ASMSTART
	v_dot2_f32_f16 v66, v1, v13, v66
	;;#ASMEND
	;;#ASMSTART
	v_dot2_f32_f16 v66, v2, v14, v66
	;;#ASMEND
	;;#ASMSTART
	v_dot2_f32_f16 v66, v3, v15, v66
	;;#ASMEND
	s_waitcnt lgkmcnt(6)
	;;#ASMSTART
	v_dot2_f32_f16 v67, v0, v18, v67
	;;#ASMEND
	;;#ASMSTART
	v_dot2_f32_f16 v67, v1, v19, v67
	;;#ASMEND
	;;#ASMSTART
	v_dot2_f32_f16 v67, v2, v20, v67
	;;#ASMEND
	;;#ASMSTART
	v_dot2_f32_f16 v67, v3, v21, v67
	;;#ASMEND
	;; [unrolled: 13-line block ×8, first 2 shown]
	;;#ASMSTART
	v_dot2_f32_f16 v40, v8, v12, v40
	;;#ASMEND
	;;#ASMSTART
	v_dot2_f32_f16 v40, v9, v13, v40
	;;#ASMEND
	;; [unrolled: 3-line block ×32, first 2 shown]
	ds_read_b128 v[0:3], v93 offset:64
	ds_read_b128 v[8:11], v93 offset:4672
	;; [unrolled: 1-line block ×10, first 2 shown]
	s_waitcnt lgkmcnt(7)
	;;#ASMSTART
	v_dot2_f32_f16 v66, v0, v12, v66
	;;#ASMEND
	;;#ASMSTART
	v_dot2_f32_f16 v66, v1, v13, v66
	;;#ASMEND
	;;#ASMSTART
	v_dot2_f32_f16 v66, v2, v14, v66
	;;#ASMEND
	;;#ASMSTART
	v_dot2_f32_f16 v66, v3, v15, v66
	;;#ASMEND
	s_waitcnt lgkmcnt(6)
	;;#ASMSTART
	v_dot2_f32_f16 v67, v0, v18, v67
	;;#ASMEND
	;;#ASMSTART
	v_dot2_f32_f16 v67, v1, v19, v67
	;;#ASMEND
	;;#ASMSTART
	v_dot2_f32_f16 v67, v2, v20, v67
	;;#ASMEND
	;;#ASMSTART
	v_dot2_f32_f16 v67, v3, v21, v67
	;;#ASMEND
	;; [unrolled: 13-line block ×8, first 2 shown]
	;;#ASMSTART
	v_dot2_f32_f16 v40, v8, v12, v40
	;;#ASMEND
	;;#ASMSTART
	v_dot2_f32_f16 v40, v9, v13, v40
	;;#ASMEND
	;; [unrolled: 3-line block ×32, first 2 shown]
	ds_read_b128 v[0:3], v93 offset:80
	ds_read_b128 v[8:11], v93 offset:4688
	;; [unrolled: 1-line block ×10, first 2 shown]
	s_waitcnt lgkmcnt(7)
	;;#ASMSTART
	v_dot2_f32_f16 v66, v0, v12, v66
	;;#ASMEND
	;;#ASMSTART
	v_dot2_f32_f16 v66, v1, v13, v66
	;;#ASMEND
	;;#ASMSTART
	v_dot2_f32_f16 v66, v2, v14, v66
	;;#ASMEND
	;;#ASMSTART
	v_dot2_f32_f16 v66, v3, v15, v66
	;;#ASMEND
	s_waitcnt lgkmcnt(6)
	;;#ASMSTART
	v_dot2_f32_f16 v67, v0, v18, v67
	;;#ASMEND
	;;#ASMSTART
	v_dot2_f32_f16 v67, v1, v19, v67
	;;#ASMEND
	;;#ASMSTART
	v_dot2_f32_f16 v67, v2, v20, v67
	;;#ASMEND
	;;#ASMSTART
	v_dot2_f32_f16 v67, v3, v21, v67
	;;#ASMEND
	s_waitcnt lgkmcnt(5)
	;;#ASMSTART
	v_dot2_f32_f16 v68, v0, v26, v68
	;;#ASMEND
	;;#ASMSTART
	v_dot2_f32_f16 v68, v1, v27, v68
	;;#ASMEND
	;;#ASMSTART
	v_dot2_f32_f16 v68, v2, v28, v68
	;;#ASMEND
	;;#ASMSTART
	v_dot2_f32_f16 v68, v3, v29, v68
	;;#ASMEND
	s_waitcnt lgkmcnt(4)
	;;#ASMSTART
	v_dot2_f32_f16 v69, v0, v34, v69
	;;#ASMEND
	;;#ASMSTART
	v_dot2_f32_f16 v69, v1, v35, v69
	;;#ASMEND
	;;#ASMSTART
	v_dot2_f32_f16 v69, v2, v36, v69
	;;#ASMEND
	;;#ASMSTART
	v_dot2_f32_f16 v69, v3, v37, v69
	;;#ASMEND
	s_waitcnt lgkmcnt(3)
	;;#ASMSTART
	v_dot2_f32_f16 v64, v0, v120, v64
	;;#ASMEND
	;;#ASMSTART
	v_dot2_f32_f16 v64, v1, v121, v64
	;;#ASMEND
	;;#ASMSTART
	v_dot2_f32_f16 v64, v2, v122, v64
	;;#ASMEND
	;;#ASMSTART
	v_dot2_f32_f16 v64, v3, v123, v64
	;;#ASMEND
	s_waitcnt lgkmcnt(2)
	;;#ASMSTART
	v_dot2_f32_f16 v65, v0, v124, v65
	;;#ASMEND
	;;#ASMSTART
	v_dot2_f32_f16 v65, v1, v125, v65
	;;#ASMEND
	;;#ASMSTART
	v_dot2_f32_f16 v65, v2, v126, v65
	;;#ASMEND
	;;#ASMSTART
	v_dot2_f32_f16 v65, v3, v127, v65
	;;#ASMEND
	s_waitcnt lgkmcnt(1)
	;;#ASMSTART
	v_dot2_f32_f16 v119, v0, v128, v119
	;;#ASMEND
	;;#ASMSTART
	v_dot2_f32_f16 v119, v1, v129, v119
	;;#ASMEND
	;;#ASMSTART
	v_dot2_f32_f16 v119, v2, v130, v119
	;;#ASMEND
	;;#ASMSTART
	v_dot2_f32_f16 v119, v3, v131, v119
	;;#ASMEND
	s_waitcnt lgkmcnt(0)
	;;#ASMSTART
	v_dot2_f32_f16 v70, v0, v132, v70
	;;#ASMEND
	;;#ASMSTART
	v_dot2_f32_f16 v70, v1, v133, v70
	;;#ASMEND
	;;#ASMSTART
	v_dot2_f32_f16 v70, v2, v134, v70
	;;#ASMEND
	;;#ASMSTART
	v_dot2_f32_f16 v70, v3, v135, v70
	;;#ASMEND
	;;#ASMSTART
	v_dot2_f32_f16 v40, v8, v12, v40
	;;#ASMEND
	;;#ASMSTART
	v_dot2_f32_f16 v40, v9, v13, v40
	;;#ASMEND
	;; [unrolled: 3-line block ×32, first 2 shown]
	ds_read_b128 v[0:3], v93 offset:96
	ds_read_b128 v[8:11], v93 offset:4704
	;; [unrolled: 1-line block ×10, first 2 shown]
	s_waitcnt lgkmcnt(7)
	;;#ASMSTART
	v_dot2_f32_f16 v66, v0, v12, v66
	;;#ASMEND
	;;#ASMSTART
	v_dot2_f32_f16 v66, v1, v13, v66
	;;#ASMEND
	;;#ASMSTART
	v_dot2_f32_f16 v66, v2, v14, v66
	;;#ASMEND
	;;#ASMSTART
	v_dot2_f32_f16 v66, v3, v15, v66
	;;#ASMEND
	s_waitcnt lgkmcnt(6)
	;;#ASMSTART
	v_dot2_f32_f16 v67, v0, v18, v67
	;;#ASMEND
	;;#ASMSTART
	v_dot2_f32_f16 v67, v1, v19, v67
	;;#ASMEND
	;;#ASMSTART
	v_dot2_f32_f16 v67, v2, v20, v67
	;;#ASMEND
	;;#ASMSTART
	v_dot2_f32_f16 v67, v3, v21, v67
	;;#ASMEND
	s_waitcnt lgkmcnt(5)
	;;#ASMSTART
	v_dot2_f32_f16 v68, v0, v26, v68
	;;#ASMEND
	;;#ASMSTART
	v_dot2_f32_f16 v68, v1, v27, v68
	;;#ASMEND
	;;#ASMSTART
	v_dot2_f32_f16 v68, v2, v28, v68
	;;#ASMEND
	;;#ASMSTART
	v_dot2_f32_f16 v68, v3, v29, v68
	;;#ASMEND
	s_waitcnt lgkmcnt(4)
	;;#ASMSTART
	v_dot2_f32_f16 v69, v0, v34, v69
	;;#ASMEND
	;;#ASMSTART
	v_dot2_f32_f16 v69, v1, v35, v69
	;;#ASMEND
	;;#ASMSTART
	v_dot2_f32_f16 v69, v2, v36, v69
	;;#ASMEND
	;;#ASMSTART
	v_dot2_f32_f16 v69, v3, v37, v69
	;;#ASMEND
	s_waitcnt lgkmcnt(3)
	;;#ASMSTART
	v_dot2_f32_f16 v64, v0, v120, v64
	;;#ASMEND
	;;#ASMSTART
	v_dot2_f32_f16 v64, v1, v121, v64
	;;#ASMEND
	;;#ASMSTART
	v_dot2_f32_f16 v64, v2, v122, v64
	;;#ASMEND
	;;#ASMSTART
	v_dot2_f32_f16 v64, v3, v123, v64
	;;#ASMEND
	s_waitcnt lgkmcnt(2)
	;;#ASMSTART
	v_dot2_f32_f16 v65, v0, v124, v65
	;;#ASMEND
	;;#ASMSTART
	v_dot2_f32_f16 v65, v1, v125, v65
	;;#ASMEND
	;;#ASMSTART
	v_dot2_f32_f16 v65, v2, v126, v65
	;;#ASMEND
	;;#ASMSTART
	v_dot2_f32_f16 v65, v3, v127, v65
	;;#ASMEND
	s_waitcnt lgkmcnt(1)
	;;#ASMSTART
	v_dot2_f32_f16 v119, v0, v128, v119
	;;#ASMEND
	;;#ASMSTART
	v_dot2_f32_f16 v119, v1, v129, v119
	;;#ASMEND
	;;#ASMSTART
	v_dot2_f32_f16 v119, v2, v130, v119
	;;#ASMEND
	;;#ASMSTART
	v_dot2_f32_f16 v119, v3, v131, v119
	;;#ASMEND
	s_waitcnt lgkmcnt(0)
	;;#ASMSTART
	v_dot2_f32_f16 v70, v0, v132, v70
	;;#ASMEND
	;;#ASMSTART
	v_dot2_f32_f16 v70, v1, v133, v70
	;;#ASMEND
	;;#ASMSTART
	v_dot2_f32_f16 v70, v2, v134, v70
	;;#ASMEND
	;;#ASMSTART
	v_dot2_f32_f16 v70, v3, v135, v70
	;;#ASMEND
	;;#ASMSTART
	v_dot2_f32_f16 v40, v8, v12, v40
	;;#ASMEND
	;;#ASMSTART
	v_dot2_f32_f16 v40, v9, v13, v40
	;;#ASMEND
	;; [unrolled: 3-line block ×32, first 2 shown]
	ds_read_b128 v[0:3], v93 offset:112
	ds_read_b128 v[8:11], v93 offset:4720
	;; [unrolled: 1-line block ×10, first 2 shown]
	s_waitcnt lgkmcnt(7)
	;;#ASMSTART
	v_dot2_f32_f16 v66, v0, v12, v66
	;;#ASMEND
	;;#ASMSTART
	v_dot2_f32_f16 v66, v1, v13, v66
	;;#ASMEND
	;;#ASMSTART
	v_dot2_f32_f16 v66, v2, v14, v66
	;;#ASMEND
	;;#ASMSTART
	v_dot2_f32_f16 v66, v3, v15, v66
	;;#ASMEND
	s_waitcnt lgkmcnt(6)
	;;#ASMSTART
	v_dot2_f32_f16 v67, v0, v18, v67
	;;#ASMEND
	;;#ASMSTART
	v_dot2_f32_f16 v67, v1, v19, v67
	;;#ASMEND
	;;#ASMSTART
	v_dot2_f32_f16 v67, v2, v20, v67
	;;#ASMEND
	;;#ASMSTART
	v_dot2_f32_f16 v67, v3, v21, v67
	;;#ASMEND
	s_waitcnt lgkmcnt(5)
	;;#ASMSTART
	v_dot2_f32_f16 v68, v0, v26, v68
	;;#ASMEND
	;;#ASMSTART
	v_dot2_f32_f16 v68, v1, v27, v68
	;;#ASMEND
	;;#ASMSTART
	v_dot2_f32_f16 v68, v2, v28, v68
	;;#ASMEND
	;;#ASMSTART
	v_dot2_f32_f16 v68, v3, v29, v68
	;;#ASMEND
	s_waitcnt lgkmcnt(4)
	;;#ASMSTART
	v_dot2_f32_f16 v69, v0, v34, v69
	;;#ASMEND
	;;#ASMSTART
	v_dot2_f32_f16 v69, v1, v35, v69
	;;#ASMEND
	;;#ASMSTART
	v_dot2_f32_f16 v69, v2, v36, v69
	;;#ASMEND
	;;#ASMSTART
	v_dot2_f32_f16 v69, v3, v37, v69
	;;#ASMEND
	s_waitcnt lgkmcnt(3)
	;;#ASMSTART
	v_dot2_f32_f16 v64, v0, v120, v64
	;;#ASMEND
	;;#ASMSTART
	v_dot2_f32_f16 v64, v1, v121, v64
	;;#ASMEND
	;;#ASMSTART
	v_dot2_f32_f16 v64, v2, v122, v64
	;;#ASMEND
	;;#ASMSTART
	v_dot2_f32_f16 v64, v3, v123, v64
	;;#ASMEND
	s_waitcnt lgkmcnt(2)
	;;#ASMSTART
	v_dot2_f32_f16 v65, v0, v124, v65
	;;#ASMEND
	;;#ASMSTART
	v_dot2_f32_f16 v65, v1, v125, v65
	;;#ASMEND
	;;#ASMSTART
	v_dot2_f32_f16 v65, v2, v126, v65
	;;#ASMEND
	;;#ASMSTART
	v_dot2_f32_f16 v65, v3, v127, v65
	;;#ASMEND
	s_waitcnt lgkmcnt(1)
	;;#ASMSTART
	v_dot2_f32_f16 v119, v0, v128, v119
	;;#ASMEND
	;;#ASMSTART
	v_dot2_f32_f16 v119, v1, v129, v119
	;;#ASMEND
	;;#ASMSTART
	v_dot2_f32_f16 v119, v2, v130, v119
	;;#ASMEND
	;;#ASMSTART
	v_dot2_f32_f16 v119, v3, v131, v119
	;;#ASMEND
	s_waitcnt lgkmcnt(0)
	;;#ASMSTART
	v_dot2_f32_f16 v70, v0, v132, v70
	;;#ASMEND
	;;#ASMSTART
	v_dot2_f32_f16 v70, v1, v133, v70
	;;#ASMEND
	;;#ASMSTART
	v_dot2_f32_f16 v70, v2, v134, v70
	;;#ASMEND
	;;#ASMSTART
	v_dot2_f32_f16 v70, v3, v135, v70
	;;#ASMEND
	;;#ASMSTART
	v_dot2_f32_f16 v40, v8, v12, v40
	;;#ASMEND
	;;#ASMSTART
	v_dot2_f32_f16 v40, v9, v13, v40
	;;#ASMEND
	;; [unrolled: 3-line block ×19, first 2 shown]
	v_cndmask_b32_e32 v0, v84, v89, vcc
	v_cmp_lt_i32_e32 vcc, v90, v85
	;;#ASMSTART
	v_dot2_f32_f16 v24, v11, v123, v24
	;;#ASMEND
	;;#ASMSTART
	v_dot2_f32_f16 v25, v8, v124, v25
	;;#ASMEND
	v_lshlrev_b32_e32 v20, 2, v0
	v_cndmask_b32_e32 v0, v84, v90, vcc
	v_cmp_lt_i32_e32 vcc, v88, v85
	;;#ASMSTART
	v_dot2_f32_f16 v25, v9, v125, v25
	;;#ASMEND
	v_lshlrev_b32_e32 v21, 2, v0
	v_cndmask_b32_e32 v0, v84, v88, vcc
	v_cmp_lt_i32_e32 vcc, v87, v85
	;; [unrolled: 6-line block ×3, first 2 shown]
	;;#ASMSTART
	v_dot2_f32_f16 v25, v11, v127, v25
	;;#ASMEND
	;;#ASMSTART
	v_dot2_f32_f16 v16, v8, v128, v16
	;;#ASMEND
	v_add_u32_e32 v3, s15, v81
	v_lshlrev_b32_e32 v23, 2, v0
	v_cndmask_b32_e32 v0, v84, v86, vcc
	;;#ASMSTART
	v_dot2_f32_f16 v16, v9, v129, v16
	;;#ASMEND
	v_lshlrev_b32_e32 v26, 2, v0
	v_add_u32_e32 v0, v3, v95
	;;#ASMSTART
	v_dot2_f32_f16 v16, v10, v130, v16
	;;#ASMEND
	v_ashrrev_i32_e32 v1, 31, v0
	;;#ASMSTART
	v_dot2_f32_f16 v16, v11, v131, v16
	;;#ASMEND
	;;#ASMSTART
	v_dot2_f32_f16 v71, v8, v132, v71
	;;#ASMEND
	v_lshlrev_b64 v[0:1], 1, v[0:1]
	v_add_u32_e32 v8, v3, v96
	;;#ASMSTART
	v_dot2_f32_f16 v71, v9, v133, v71
	;;#ASMEND
	v_add_co_u32_e32 v0, vcc, s34, v0
	v_ashrrev_i32_e32 v9, 31, v8
	v_addc_co_u32_e32 v1, vcc, v101, v1, vcc
	v_lshlrev_b64 v[8:9], 1, v[8:9]
	v_add_co_u32_e32 v8, vcc, s34, v8
	;;#ASMSTART
	v_dot2_f32_f16 v71, v10, v134, v71
	;;#ASMEND
	v_addc_co_u32_e32 v9, vcc, v101, v9, vcc
	;;#ASMSTART
	v_dot2_f32_f16 v71, v11, v135, v71
	;;#ASMEND
	flat_load_ushort v2, v[0:1]
	v_mov_b32_e32 v19, v7
	flat_load_ushort v0, v[0:1] offset:64
	s_nop 0
	flat_load_ushort v1, v[8:9]
	flat_load_ushort v3, v[8:9] offset:64
	v_mov_b32_e32 v18, v6
	s_waitcnt lgkmcnt(0)
	s_barrier
	s_waitcnt vmcnt(0)
	v_cvt_f32_f16_e32 v2, v2
	v_cvt_f32_f16_e32 v8, v1
	;; [unrolled: 1-line block ×4, first 2 shown]
	v_add_f32_e32 v10, v119, v8
	v_add_f32_e32 v12, v16, v9
	v_pk_add_f32 v[16:17], v[70:71], v[8:9]
	v_mov_b32_e32 v11, v16
	v_mov_b32_e32 v13, v17
	v_pk_add_f32 v[14:15], v[10:11], s[6:7] op_sel_hi:[1,0]
	v_pk_add_f32 v[28:29], v[12:13], s[6:7] op_sel_hi:[1,0]
	v_max3_f32 v1, v7, v15, v29
	v_max3_f32 v3, v6, v14, v28
	ds_bpermute_b32 v7, v20, v1
	ds_bpermute_b32 v6, v20, v3
	s_waitcnt lgkmcnt(1)
	v_max_f32_e32 v7, v7, v7
	v_max_f32_e32 v1, v1, v7
	s_waitcnt lgkmcnt(0)
	v_max_f32_e32 v6, v6, v6
	v_max_f32_e32 v3, v3, v6
	ds_bpermute_b32 v7, v21, v1
	ds_bpermute_b32 v6, v21, v3
	s_waitcnt lgkmcnt(1)
	v_max_f32_e32 v7, v7, v7
	v_max_f32_e32 v1, v1, v7
	s_waitcnt lgkmcnt(0)
	v_max_f32_e32 v6, v6, v6
	v_max_f32_e32 v3, v3, v6
	;; [unrolled: 8-line block ×5, first 2 shown]
	v_sub_f32_e32 v1, v10, v6
	v_mul_f32_e32 v3, 0x3fb8aa3b, v1
	v_fma_f32 v10, v1, s18, -v3
	v_rndne_f32_e32 v11, v3
	v_fmac_f32_e32 v10, 0x32a5705f, v1
	v_sub_f32_e32 v3, v3, v11
	v_add_f32_e32 v3, v3, v10
	v_exp_f32_e32 v3, v3
	v_cvt_i32_f32_e32 v10, v11
	v_cmp_ngt_f32_e32 vcc, s19, v1
	v_pk_add_f32 v[14:15], v[18:19], v[6:7] neg_lo:[0,1] neg_hi:[0,1]
	v_mov_b32_e32 v30, v7
	v_ldexp_f32 v3, v3, v10
	v_cndmask_b32_e32 v3, 0, v3, vcc
	v_cmp_nlt_f32_e32 vcc, s24, v1
	v_sub_f32_e32 v1, v12, v6
	v_cndmask_b32_e32 v10, v102, v3, vcc
	v_mul_f32_e32 v3, 0x3fb8aa3b, v1
	v_fma_f32 v11, v1, s18, -v3
	v_rndne_f32_e32 v12, v3
	v_fmac_f32_e32 v11, 0x32a5705f, v1
	v_sub_f32_e32 v3, v3, v12
	v_add_f32_e32 v3, v3, v11
	v_exp_f32_e32 v3, v3
	v_cvt_i32_f32_e32 v11, v12
	v_cmp_ngt_f32_e32 vcc, s19, v1
	v_pk_add_f32 v[16:17], v[16:17], v[30:31] op_sel_hi:[1,0] neg_lo:[0,1] neg_hi:[0,1]
	v_cvt_f16_f32_e32 v27, v10
	v_ldexp_f32 v3, v3, v11
	v_cndmask_b32_e32 v3, 0, v3, vcc
	v_cmp_nlt_f32_e32 vcc, s24, v1
	v_mul_f32_e32 v1, 0x3fb8aa3b, v15
	v_cndmask_b32_e32 v12, v102, v3, vcc
	v_fma_f32 v3, v15, s18, -v1
	v_rndne_f32_e32 v11, v1
	v_fmac_f32_e32 v3, 0x32a5705f, v15
	v_sub_f32_e32 v1, v1, v11
	v_add_f32_e32 v1, v1, v3
	v_exp_f32_e32 v1, v1
	v_cvt_i32_f32_e32 v3, v11
	v_cmp_ngt_f32_e32 vcc, s19, v15
	v_cvt_f16_f32_e32 v28, v12
	v_ldexp_f32 v1, v1, v3
	v_cndmask_b32_e32 v1, 0, v1, vcc
	v_cmp_nlt_f32_e32 vcc, s24, v15
	v_cndmask_b32_e32 v19, v102, v1, vcc
	v_mul_f32_e32 v1, 0x3fb8aa3b, v14
	v_fma_f32 v3, v14, s18, -v1
	v_rndne_f32_e32 v11, v1
	v_fmac_f32_e32 v3, 0x32a5705f, v14
	v_sub_f32_e32 v1, v1, v11
	v_add_f32_e32 v1, v1, v3
	v_exp_f32_e32 v1, v1
	v_cvt_i32_f32_e32 v3, v11
	v_cmp_ngt_f32_e32 vcc, s19, v14
	v_ldexp_f32 v1, v1, v3
	v_cndmask_b32_e32 v1, 0, v1, vcc
	v_cmp_nlt_f32_e32 vcc, s24, v14
	v_cndmask_b32_e32 v18, v102, v1, vcc
	v_cvt_f16_f32_e32 v1, v18
	v_cmp_ngt_f32_e32 vcc, s19, v17
	v_pk_mul_f16 v14, v1, v115 op_sel_hi:[0,1]
	v_mul_f32_e32 v1, 0x3fb8aa3b, v17
	v_fma_f32 v3, v17, s18, -v1
	v_rndne_f32_e32 v11, v1
	v_fmac_f32_e32 v3, 0x32a5705f, v17
	v_sub_f32_e32 v1, v1, v11
	v_add_f32_e32 v1, v1, v3
	v_exp_f32_e32 v1, v1
	v_cvt_i32_f32_e32 v3, v11
	v_ldexp_f32 v1, v1, v3
	v_cndmask_b32_e32 v1, 0, v1, vcc
	v_cmp_nlt_f32_e32 vcc, s24, v17
	v_cndmask_b32_e32 v13, v102, v1, vcc
	v_mul_f32_e32 v1, 0x3fb8aa3b, v16
	v_fma_f32 v3, v16, s18, -v1
	v_rndne_f32_e32 v11, v1
	v_fmac_f32_e32 v3, 0x32a5705f, v16
	v_sub_f32_e32 v1, v1, v11
	v_add_f32_e32 v1, v1, v3
	v_exp_f32_e32 v1, v1
	v_cvt_i32_f32_e32 v3, v11
	v_cmp_ngt_f32_e32 vcc, s19, v16
	v_cvt_f16_f32_e32 v29, v13
	v_ldexp_f32 v1, v1, v3
	v_cndmask_b32_e32 v1, 0, v1, vcc
	v_cmp_nlt_f32_e32 vcc, s24, v16
	v_cndmask_b32_e32 v11, v102, v1, vcc
	v_cvt_f16_f32_e32 v1, v19
	v_cvt_f16_f32_e32 v30, v11
	v_pk_add_f32 v[10:11], v[10:11], v[12:13]
	v_pk_fma_f32 v[44:45], v[44:45], v[18:19], v[10:11]
	v_pk_add_f32 v[10:11], v[66:67], v[2:3] op_sel_hi:[1,0]
	v_pk_add_f32 v[12:13], v[68:69], v[2:3] op_sel_hi:[1,0]
	;; [unrolled: 1-line block ×4, first 2 shown]
	v_pk_mul_f16 v15, v1, v113 op_sel_hi:[0,1]
	v_pk_add_f32 v[2:3], v[12:13], s[6:7] op_sel_hi:[1,0]
	v_pk_add_f32 v[16:17], v[10:11], s[6:7] op_sel_hi:[1,0]
	;; [unrolled: 1-line block ×4, first 2 shown]
	v_max3_f32 v2, v60, v2, v34
	v_max3_f32 v0, v62, v16, v0
	ds_bpermute_b32 v16, v20, v0
	ds_bpermute_b32 v31, v20, v2
	v_max3_f32 v3, v61, v3, v35
	v_max3_f32 v1, v63, v17, v1
	ds_bpermute_b32 v17, v20, v1
	ds_bpermute_b32 v34, v20, v3
	s_waitcnt lgkmcnt(2)
	v_max_f32_e32 v31, v31, v31
	v_max_f32_e32 v16, v16, v16
	v_max_f32_e32 v2, v2, v31
	v_max_f32_e32 v0, v0, v16
	s_waitcnt lgkmcnt(0)
	v_max_f32_e32 v34, v34, v34
	v_max_f32_e32 v17, v17, v17
	ds_bpermute_b32 v16, v21, v0
	ds_bpermute_b32 v31, v21, v2
	v_max_f32_e32 v3, v3, v34
	v_max_f32_e32 v1, v1, v17
	ds_bpermute_b32 v17, v21, v1
	ds_bpermute_b32 v34, v21, v3
	s_waitcnt lgkmcnt(2)
	v_max_f32_e32 v31, v31, v31
	v_max_f32_e32 v16, v16, v16
	v_max_f32_e32 v2, v2, v31
	v_max_f32_e32 v0, v0, v16
	s_waitcnt lgkmcnt(0)
	v_max_f32_e32 v34, v34, v34
	v_max_f32_e32 v17, v17, v17
	ds_bpermute_b32 v16, v22, v0
	ds_bpermute_b32 v31, v22, v2
	v_max_f32_e32 v3, v3, v34
	v_max_f32_e32 v1, v1, v17
	;; [unrolled: 14-line block ×4, first 2 shown]
	ds_bpermute_b32 v17, v26, v1
	ds_bpermute_b32 v34, v26, v3
	s_waitcnt lgkmcnt(2)
	v_max_f32_e32 v31, v31, v31
	v_max_f32_e32 v16, v16, v16
	;; [unrolled: 1-line block ×4, first 2 shown]
	s_waitcnt lgkmcnt(0)
	v_max_f32_e32 v31, v34, v34
	v_max_f32_e32 v17, v17, v17
	v_sub_f32_e32 v16, v10, v0
	v_sub_f32_e32 v10, v12, v2
	v_max_f32_e32 v3, v3, v31
	v_max_f32_e32 v1, v1, v17
	v_mul_f32_e32 v12, 0x3fb8aa3b, v10
	v_sub_f32_e32 v17, v11, v1
	v_sub_f32_e32 v11, v13, v3
	v_fma_f32 v13, v10, s18, -v12
	v_rndne_f32_e32 v31, v12
	v_fmac_f32_e32 v13, 0x32a5705f, v10
	v_sub_f32_e32 v12, v12, v31
	v_add_f32_e32 v12, v12, v13
	v_exp_f32_e32 v12, v12
	v_cvt_i32_f32_e32 v13, v31
	v_cmp_ngt_f32_e32 vcc, s19, v10
	v_sub_f32_e32 v37, v18, v2
	v_sub_f32_e32 v38, v19, v3
	v_ldexp_f32 v12, v12, v13
	v_cndmask_b32_e32 v12, 0, v12, vcc
	v_cmp_nlt_f32_e32 vcc, s24, v10
	v_cndmask_b32_e32 v10, v102, v12, vcc
	v_mul_f32_e32 v12, 0x3fb8aa3b, v11
	v_fma_f32 v13, v11, s18, -v12
	v_rndne_f32_e32 v31, v12
	v_fmac_f32_e32 v13, 0x32a5705f, v11
	v_sub_f32_e32 v12, v12, v31
	v_add_f32_e32 v12, v12, v13
	v_exp_f32_e32 v12, v12
	v_cvt_i32_f32_e32 v13, v31
	v_cmp_ngt_f32_e32 vcc, s19, v11
	v_cvt_f16_f32_e32 v36, v10
	v_mov_b32_e32 v40, v4
	v_ldexp_f32 v12, v12, v13
	v_cndmask_b32_e32 v12, 0, v12, vcc
	v_cmp_nlt_f32_e32 vcc, s24, v11
	v_cndmask_b32_e32 v11, v102, v12, vcc
	v_mul_f32_e32 v12, 0x3fb8aa3b, v17
	v_fma_f32 v13, v17, s18, -v12
	v_rndne_f32_e32 v31, v12
	v_fmac_f32_e32 v13, 0x32a5705f, v17
	v_sub_f32_e32 v12, v12, v31
	v_add_f32_e32 v12, v12, v13
	v_exp_f32_e32 v12, v12
	v_cvt_i32_f32_e32 v13, v31
	v_cmp_ngt_f32_e32 vcc, s19, v17
	v_mov_b32_e32 v41, v5
	v_ldexp_f32 v12, v12, v13
	v_cndmask_b32_e32 v12, 0, v12, vcc
	v_cmp_nlt_f32_e32 vcc, s24, v17
	v_cndmask_b32_e32 v13, v102, v12, vcc
	v_mul_f32_e32 v12, 0x3fb8aa3b, v16
	v_fma_f32 v17, v16, s18, -v12
	v_rndne_f32_e32 v31, v12
	v_fmac_f32_e32 v17, 0x32a5705f, v16
	v_sub_f32_e32 v12, v12, v31
	v_add_f32_e32 v12, v12, v17
	v_exp_f32_e32 v12, v12
	v_cvt_i32_f32_e32 v17, v31
	v_cmp_ngt_f32_e32 vcc, s19, v16
	v_ldexp_f32 v12, v12, v17
	v_sub_f32_e32 v17, v33, v1
	v_mul_f32_e32 v18, 0x3fb8aa3b, v17
	v_fma_f32 v19, v17, s18, -v18
	v_rndne_f32_e32 v31, v18
	v_fmac_f32_e32 v19, 0x32a5705f, v17
	v_sub_f32_e32 v18, v18, v31
	v_add_f32_e32 v18, v18, v19
	v_exp_f32_e32 v18, v18
	v_cvt_i32_f32_e32 v19, v31
	v_cndmask_b32_e32 v12, 0, v12, vcc
	v_cmp_nlt_f32_e32 vcc, s24, v16
	v_cndmask_b32_e32 v12, v102, v12, vcc
	v_ldexp_f32 v18, v18, v19
	v_cmp_ngt_f32_e32 vcc, s19, v17
	v_sub_f32_e32 v16, v32, v0
	v_cndmask_b32_e32 v18, 0, v18, vcc
	v_cmp_nlt_f32_e32 vcc, s24, v17
	v_cndmask_b32_e32 v17, v102, v18, vcc
	v_mul_f32_e32 v18, 0x3fb8aa3b, v16
	v_fma_f32 v19, v16, s18, -v18
	v_rndne_f32_e32 v31, v18
	v_fmac_f32_e32 v19, 0x32a5705f, v16
	v_sub_f32_e32 v18, v18, v31
	v_add_f32_e32 v18, v18, v19
	v_exp_f32_e32 v18, v18
	v_cvt_i32_f32_e32 v19, v31
	v_cmp_ngt_f32_e32 vcc, s19, v16
	v_ldexp_f32 v18, v18, v19
	v_cndmask_b32_e32 v18, 0, v18, vcc
	v_cmp_nlt_f32_e32 vcc, s24, v16
	v_cndmask_b32_e32 v16, v102, v18, vcc
	v_pk_add_f32 v[18:19], v[62:63], v[0:1] neg_lo:[0,1] neg_hi:[0,1]
	v_cvt_f16_f32_e32 v31, v16
	v_pk_add_f32 v[32:33], v[12:13], v[16:17]
	v_mul_f32_e32 v16, 0x3fb8aa3b, v19
	v_fma_f32 v34, v19, s18, -v16
	v_rndne_f32_e32 v35, v16
	v_fmac_f32_e32 v34, 0x32a5705f, v19
	v_sub_f32_e32 v16, v16, v35
	v_add_f32_e32 v16, v16, v34
	v_exp_f32_e32 v16, v16
	v_cvt_i32_f32_e32 v34, v35
	v_cmp_ngt_f32_e32 vcc, s19, v19
	v_ldexp_f32 v16, v16, v34
	v_cndmask_b32_e32 v16, 0, v16, vcc
	v_cmp_nlt_f32_e32 vcc, s24, v19
	v_cndmask_b32_e32 v19, v102, v16, vcc
	v_mul_f32_e32 v16, 0x3fb8aa3b, v18
	v_fma_f32 v34, v18, s18, -v16
	v_rndne_f32_e32 v35, v16
	v_fmac_f32_e32 v34, 0x32a5705f, v18
	v_sub_f32_e32 v16, v16, v35
	v_add_f32_e32 v16, v16, v34
	v_exp_f32_e32 v16, v16
	v_cvt_i32_f32_e32 v34, v35
	v_cmp_ngt_f32_e32 vcc, s19, v18
	v_cvt_f16_f32_e32 v35, v11
	v_ldexp_f32 v16, v16, v34
	v_cndmask_b32_e32 v16, 0, v16, vcc
	v_cmp_nlt_f32_e32 vcc, s24, v18
	v_cndmask_b32_e32 v18, v102, v16, vcc
	v_cvt_f16_f32_e32 v34, v12
	v_mul_f32_e32 v12, 0x3fb8aa3b, v38
	v_pk_fma_f32 v[50:51], v[50:51], v[18:19], v[32:33]
	v_cvt_f16_f32_e32 v16, v18
	v_cvt_f16_f32_e32 v33, v13
	v_fma_f32 v13, v38, s18, -v12
	v_rndne_f32_e32 v18, v12
	v_fmac_f32_e32 v13, 0x32a5705f, v38
	v_sub_f32_e32 v12, v12, v18
	v_add_f32_e32 v12, v12, v13
	v_exp_f32_e32 v12, v12
	v_cvt_i32_f32_e32 v13, v18
	v_cmp_ngt_f32_e32 vcc, s19, v38
	v_cvt_f16_f32_e32 v32, v17
	v_cvt_f16_f32_e32 v17, v19
	v_ldexp_f32 v12, v12, v13
	v_cndmask_b32_e32 v12, 0, v12, vcc
	v_cmp_nlt_f32_e32 vcc, s24, v38
	v_cndmask_b32_e32 v13, v102, v12, vcc
	v_mul_f32_e32 v12, 0x3fb8aa3b, v37
	v_fma_f32 v18, v37, s18, -v12
	v_rndne_f32_e32 v19, v12
	v_fmac_f32_e32 v18, 0x32a5705f, v37
	v_sub_f32_e32 v12, v12, v19
	v_add_f32_e32 v12, v12, v18
	v_exp_f32_e32 v12, v12
	v_cvt_i32_f32_e32 v18, v19
	v_cmp_ngt_f32_e32 vcc, s19, v37
	v_pk_mul_f16 v16, v16, v118 op_sel_hi:[0,1]
	v_pk_mul_f16 v17, v17, v117 op_sel_hi:[0,1]
	v_ldexp_f32 v12, v12, v18
	v_cndmask_b32_e32 v12, 0, v12, vcc
	v_cmp_nlt_f32_e32 vcc, s24, v37
	v_cndmask_b32_e32 v12, v102, v12, vcc
	v_pk_add_f32 v[18:19], v[60:61], v[2:3] neg_lo:[0,1] neg_hi:[0,1]
	v_cvt_f16_f32_e32 v37, v12
	v_pk_add_f32 v[10:11], v[10:11], v[12:13]
	v_mul_f32_e32 v12, 0x3fb8aa3b, v19
	v_fma_f32 v38, v19, s18, -v12
	v_rndne_f32_e32 v39, v12
	v_fmac_f32_e32 v38, 0x32a5705f, v19
	v_sub_f32_e32 v12, v12, v39
	v_add_f32_e32 v12, v12, v38
	v_exp_f32_e32 v12, v12
	v_cvt_i32_f32_e32 v38, v39
	v_cmp_ngt_f32_e32 vcc, s19, v19
	v_ldexp_f32 v12, v12, v38
	v_cndmask_b32_e32 v12, 0, v12, vcc
	v_cmp_nlt_f32_e32 vcc, s24, v19
	v_cndmask_b32_e32 v19, v102, v12, vcc
	v_mul_f32_e32 v12, 0x3fb8aa3b, v18
	v_fma_f32 v38, v18, s18, -v12
	v_rndne_f32_e32 v39, v12
	v_fmac_f32_e32 v38, 0x32a5705f, v18
	v_sub_f32_e32 v12, v12, v39
	v_add_f32_e32 v12, v12, v38
	v_exp_f32_e32 v12, v12
	v_cvt_i32_f32_e32 v38, v39
	v_cmp_ngt_f32_e32 vcc, s19, v18
	v_ldexp_f32 v12, v12, v38
	v_cndmask_b32_e32 v12, 0, v12, vcc
	v_cmp_nlt_f32_e32 vcc, s24, v18
	v_cndmask_b32_e32 v18, v102, v12, vcc
	v_pk_fma_f32 v[48:49], v[48:49], v[18:19], v[10:11]
	v_cvt_f16_f32_e32 v10, v18
	v_cvt_f16_f32_e32 v38, v13
	v_pk_mul_f16 v18, v10, v116 op_sel_hi:[0,1]
	v_cvt_f16_f32_e32 v10, v19
	v_pk_mul_f16 v19, v10, v114 op_sel_hi:[0,1]
	v_pk_add_f32 v[10:11], v[64:65], v[8:9] op_sel_hi:[1,0]
	v_mov_b32_e32 v8, v9
	v_pk_add_f32 v[8:9], v[24:25], v[8:9] op_sel_hi:[1,0]
	v_pk_add_f32 v[12:13], v[10:11], s[6:7] op_sel_hi:[1,0]
	v_pk_add_f32 v[24:25], v[8:9], s[6:7] op_sel_hi:[1,0]
	v_max3_f32 v5, v5, v13, v25
	v_max3_f32 v4, v4, v12, v24
	ds_bpermute_b32 v12, v20, v4
	ds_bpermute_b32 v13, v20, v5
	s_waitcnt lgkmcnt(1)
	v_max_f32_e32 v12, v12, v12
	s_waitcnt lgkmcnt(0)
	v_max_f32_e32 v13, v13, v13
	v_max_f32_e32 v5, v5, v13
	v_max_f32_e32 v4, v4, v12
	ds_bpermute_b32 v12, v21, v4
	ds_bpermute_b32 v13, v21, v5
	s_waitcnt lgkmcnt(1)
	v_max_f32_e32 v12, v12, v12
	s_waitcnt lgkmcnt(0)
	v_max_f32_e32 v13, v13, v13
	v_max_f32_e32 v5, v5, v13
	v_max_f32_e32 v4, v4, v12
	;; [unrolled: 8-line block ×5, first 2 shown]
	v_pk_add_f32 v[10:11], v[10:11], v[4:5] neg_lo:[0,1] neg_hi:[0,1]
	v_mul_f32_e32 v12, 0x3fb8aa3b, v11
	v_fma_f32 v13, v11, s18, -v12
	v_rndne_f32_e32 v20, v12
	v_fmac_f32_e32 v13, 0x32a5705f, v11
	v_sub_f32_e32 v12, v12, v20
	v_add_f32_e32 v12, v12, v13
	v_exp_f32_e32 v12, v12
	v_cvt_i32_f32_e32 v13, v20
	v_cmp_ngt_f32_e32 vcc, s19, v11
	v_pk_add_f32 v[8:9], v[8:9], v[4:5] neg_lo:[0,1] neg_hi:[0,1]
	v_ldexp_f32 v12, v12, v13
	v_cndmask_b32_e32 v12, 0, v12, vcc
	v_cmp_nlt_f32_e32 vcc, s24, v11
	v_cndmask_b32_e32 v11, v102, v12, vcc
	v_mul_f32_e32 v12, 0x3fb8aa3b, v10
	v_fma_f32 v13, v10, s18, -v12
	v_rndne_f32_e32 v20, v12
	v_fmac_f32_e32 v13, 0x32a5705f, v10
	v_sub_f32_e32 v12, v12, v20
	v_add_f32_e32 v12, v12, v13
	v_exp_f32_e32 v12, v12
	v_cvt_i32_f32_e32 v13, v20
	v_cmp_ngt_f32_e32 vcc, s19, v10
	v_cvt_f16_f32_e32 v22, v11
	v_ldexp_f32 v12, v12, v13
	v_cndmask_b32_e32 v12, 0, v12, vcc
	v_cmp_nlt_f32_e32 vcc, s24, v10
	v_cndmask_b32_e32 v10, v102, v12, vcc
	v_mul_f32_e32 v12, 0x3fb8aa3b, v9
	v_fma_f32 v13, v9, s18, -v12
	v_rndne_f32_e32 v20, v12
	v_fmac_f32_e32 v13, 0x32a5705f, v9
	v_sub_f32_e32 v12, v12, v20
	v_add_f32_e32 v12, v12, v13
	v_exp_f32_e32 v12, v12
	v_cvt_i32_f32_e32 v13, v20
	v_cmp_ngt_f32_e32 vcc, s19, v9
	v_cvt_f16_f32_e32 v23, v10
	v_ldexp_f32 v12, v12, v13
	v_cndmask_b32_e32 v12, 0, v12, vcc
	v_cmp_nlt_f32_e32 vcc, s24, v9
	v_cndmask_b32_e32 v9, v102, v12, vcc
	v_mul_f32_e32 v12, 0x3fb8aa3b, v8
	v_fma_f32 v13, v8, s18, -v12
	v_rndne_f32_e32 v20, v12
	v_fmac_f32_e32 v13, 0x32a5705f, v8
	v_sub_f32_e32 v12, v12, v20
	v_add_f32_e32 v12, v12, v13
	v_exp_f32_e32 v12, v12
	v_cvt_i32_f32_e32 v13, v20
	v_cmp_ngt_f32_e32 vcc, s19, v8
	v_ldexp_f32 v12, v12, v13
	v_cndmask_b32_e32 v12, 0, v12, vcc
	v_cmp_nlt_f32_e32 vcc, s24, v8
	v_cndmask_b32_e32 v8, v102, v12, vcc
	v_pk_add_f32 v[12:13], v[40:41], v[4:5] neg_lo:[0,1] neg_hi:[0,1]
	v_mul_f32_e32 v20, 0x3fb8aa3b, v13
	v_fma_f32 v21, v13, s18, -v20
	v_rndne_f32_e32 v25, v20
	v_fmac_f32_e32 v21, 0x32a5705f, v13
	v_sub_f32_e32 v20, v20, v25
	v_add_f32_e32 v20, v20, v21
	v_exp_f32_e32 v20, v20
	v_cvt_i32_f32_e32 v21, v25
	v_cmp_ngt_f32_e32 vcc, s19, v13
	v_cvt_f16_f32_e32 v24, v8
	v_pk_add_f32 v[10:11], v[10:11], v[8:9]
	v_ldexp_f32 v20, v20, v21
	v_cndmask_b32_e32 v20, 0, v20, vcc
	v_cmp_nlt_f32_e32 vcc, s24, v13
	v_mul_f32_e32 v13, 0x3fb8aa3b, v12
	v_cndmask_b32_e32 v21, v102, v20, vcc
	v_fma_f32 v20, v12, s18, -v13
	v_rndne_f32_e32 v25, v13
	v_fmac_f32_e32 v20, 0x32a5705f, v12
	v_sub_f32_e32 v13, v13, v25
	v_add_f32_e32 v13, v13, v20
	v_exp_f32_e32 v13, v13
	v_cvt_i32_f32_e32 v20, v25
	v_cvt_f16_f32_e32 v8, v21
	v_cmp_ngt_f32_e32 vcc, s19, v12
	v_cvt_f16_f32_e32 v25, v9
	v_ldexp_f32 v13, v13, v20
	v_cndmask_b32_e32 v13, 0, v13, vcc
	v_cmp_nlt_f32_e32 vcc, s24, v12
	v_cndmask_b32_e32 v20, v102, v13, vcc
	v_pk_fma_f32 v[46:47], v[46:47], v[20:21], v[10:11]
	v_pk_mul_f16 v13, v8, v111 op_sel_hi:[0,1]
	v_pack_b32_f16 v10, v23, v22
	v_pack_b32_f16 v11, v27, v30
	;; [unrolled: 1-line block ×4, first 2 shown]
	ds_write_b128 v103, v[8:11]
	v_pack_b32_f16 v10, v24, v25
	v_pack_b32_f16 v11, v28, v29
	;; [unrolled: 1-line block ×4, first 2 shown]
	ds_write_b128 v103, v[8:11] offset:512
	v_add_co_u32_e32 v8, vcc, s25, v56
	v_mov_b32_e32 v9, s26
	v_addc_co_u32_e32 v9, vcc, v9, v57, vcc
	v_add_co_u32_e32 v8, vcc, v8, v100
	v_addc_co_u32_e32 v9, vcc, 0, v9, vcc
	global_load_dwordx4 v[8:11], v[8:9], off
	v_cvt_f16_f32_e32 v12, v20
	v_pk_mul_f16 v12, v12, v112 op_sel_hi:[0,1]
	s_waitcnt vmcnt(0)
	ds_write_b128 v98, v[8:11]
	v_add_co_u32_e32 v8, vcc, s25, v58
	v_mov_b32_e32 v9, s26
	v_addc_co_u32_e32 v9, vcc, v9, v59, vcc
	v_add_co_u32_e32 v8, vcc, v8, v100
	v_addc_co_u32_e32 v9, vcc, 0, v9, vcc
	global_load_dwordx4 v[8:11], v[8:9], off
	s_waitcnt vmcnt(0)
	ds_write_b128 v99, v[8:11]
	s_waitcnt lgkmcnt(0)
	s_barrier
	ds_read2_b32 v[32:33], v83 offset1:32
	ds_read_b128 v[8:11], v97
	ds_read_b128 v[20:23], v97 offset:16
	ds_read_b128 v[24:27], v97 offset:32
	ds_read_b128 v[28:31], v97 offset:48
	s_waitcnt lgkmcnt(3)
	v_pk_fma_f16 v16, v32, v8, v16 op_sel_hi:[1,0,1]
	v_pk_fma_f16 v8, v32, v8, v17 op_sel:[0,1,0]
	v_pk_fma_f16 v17, v32, v9, v18 op_sel_hi:[1,0,1]
	v_pk_fma_f16 v9, v32, v9, v19 op_sel:[0,1,0]
	;; [unrolled: 2-line block ×4, first 2 shown]
	s_waitcnt lgkmcnt(2)
	v_pk_fma_f16 v14, v33, v20, v16 op_sel_hi:[1,0,1]
	v_pk_fma_f16 v15, v33, v20, v8 op_sel:[0,1,0]
	v_pk_fma_f16 v16, v33, v21, v17 op_sel_hi:[1,0,1]
	v_pk_fma_f16 v17, v33, v21, v9 op_sel:[0,1,0]
	ds_read2_b32 v[8:9], v83 offset0:64 offset1:96
	v_pk_fma_f16 v12, v33, v22, v12 op_sel_hi:[1,0,1]
	v_pk_fma_f16 v10, v33, v22, v10 op_sel:[0,1,0]
	v_pk_fma_f16 v13, v33, v23, v13 op_sel_hi:[1,0,1]
	v_pk_fma_f16 v11, v33, v23, v11 op_sel:[0,1,0]
	s_waitcnt lgkmcnt(0)
	v_pk_fma_f16 v14, v8, v24, v14 op_sel_hi:[1,0,1]
	v_pk_fma_f16 v15, v8, v24, v15 op_sel:[0,1,0]
	v_pk_fma_f16 v16, v8, v25, v16 op_sel_hi:[1,0,1]
	v_pk_fma_f16 v17, v8, v25, v17 op_sel:[0,1,0]
	;; [unrolled: 2-line block ×8, first 2 shown]
	ds_read2_b32 v[12:13], v83 offset0:128 offset1:160
	ds_read_b128 v[8:11], v97 offset:64
	s_waitcnt lgkmcnt(0)
	v_pk_fma_f16 v14, v12, v8, v14 op_sel_hi:[1,0,1]
	v_pk_fma_f16 v15, v12, v8, v15 op_sel:[0,1,0]
	v_pk_fma_f16 v16, v12, v9, v16 op_sel_hi:[1,0,1]
	v_pk_fma_f16 v17, v12, v9, v17 op_sel:[0,1,0]
	v_pk_fma_f16 v18, v12, v10, v18 op_sel_hi:[1,0,1]
	v_pk_fma_f16 v19, v12, v10, v19 op_sel:[0,1,0]
	v_pk_fma_f16 v20, v12, v11, v20 op_sel_hi:[1,0,1]
	v_pk_fma_f16 v12, v12, v11, v21 op_sel:[0,1,0]
	ds_read_b128 v[8:11], v97 offset:80
	s_waitcnt lgkmcnt(0)
	v_pk_fma_f16 v14, v13, v8, v14 op_sel_hi:[1,0,1]
	v_pk_fma_f16 v15, v13, v8, v15 op_sel:[0,1,0]
	v_pk_fma_f16 v16, v13, v9, v16 op_sel_hi:[1,0,1]
	v_pk_fma_f16 v17, v13, v9, v17 op_sel:[0,1,0]
	;; [unrolled: 2-line block ×4, first 2 shown]
	ds_read2_b32 v[12:13], v83 offset0:192 offset1:224
	ds_read_b128 v[8:11], v97 offset:96
	s_waitcnt lgkmcnt(0)
	v_pk_fma_f16 v14, v12, v8, v14 op_sel_hi:[1,0,1]
	v_pk_fma_f16 v15, v12, v8, v15 op_sel:[0,1,0]
	v_pk_fma_f16 v16, v12, v9, v16 op_sel_hi:[1,0,1]
	v_pk_fma_f16 v17, v12, v9, v17 op_sel:[0,1,0]
	;; [unrolled: 2-line block ×4, first 2 shown]
	ds_read_b128 v[8:11], v97 offset:112
	s_waitcnt lgkmcnt(0)
	v_pk_fma_f16 v14, v13, v8, v14 op_sel_hi:[1,0,1]
	v_pk_fma_f16 v15, v13, v8, v15 op_sel:[0,1,0]
	v_pk_fma_f16 v16, v13, v9, v16 op_sel_hi:[1,0,1]
	v_pk_fma_f16 v17, v13, v9, v17 op_sel:[0,1,0]
	;; [unrolled: 2-line block ×4, first 2 shown]
	ds_read2_b32 v[12:13], v104 offset1:32
	ds_read_b128 v[8:11], v97 offset:128
	s_waitcnt lgkmcnt(0)
	v_pk_fma_f16 v14, v12, v8, v14 op_sel_hi:[1,0,1]
	v_pk_fma_f16 v15, v12, v8, v15 op_sel:[0,1,0]
	v_pk_fma_f16 v16, v12, v9, v16 op_sel_hi:[1,0,1]
	v_pk_fma_f16 v17, v12, v9, v17 op_sel:[0,1,0]
	v_pk_fma_f16 v18, v12, v10, v18 op_sel_hi:[1,0,1]
	v_pk_fma_f16 v19, v12, v10, v19 op_sel:[0,1,0]
	v_pk_fma_f16 v20, v12, v11, v20 op_sel_hi:[1,0,1]
	v_pk_fma_f16 v12, v12, v11, v21 op_sel:[0,1,0]
	ds_read_b128 v[8:11], v97 offset:144
	s_waitcnt lgkmcnt(0)
	v_pk_fma_f16 v14, v13, v8, v14 op_sel_hi:[1,0,1]
	v_pk_fma_f16 v15, v13, v8, v15 op_sel:[0,1,0]
	v_pk_fma_f16 v16, v13, v9, v16 op_sel_hi:[1,0,1]
	v_pk_fma_f16 v17, v13, v9, v17 op_sel:[0,1,0]
	v_pk_fma_f16 v18, v13, v10, v18 op_sel_hi:[1,0,1]
	v_pk_fma_f16 v19, v13, v10, v19 op_sel:[0,1,0]
	v_pk_fma_f16 v20, v13, v11, v20 op_sel_hi:[1,0,1]
	v_pk_fma_f16 v21, v13, v11, v12 op_sel:[0,1,0]
	ds_read2_b32 v[12:13], v104 offset0:64 offset1:96
	ds_read_b128 v[8:11], v97 offset:160
	s_waitcnt lgkmcnt(0)
	v_pk_fma_f16 v14, v12, v8, v14 op_sel_hi:[1,0,1]
	v_pk_fma_f16 v15, v12, v8, v15 op_sel:[0,1,0]
	v_pk_fma_f16 v16, v12, v9, v16 op_sel_hi:[1,0,1]
	v_pk_fma_f16 v17, v12, v9, v17 op_sel:[0,1,0]
	v_pk_fma_f16 v18, v12, v10, v18 op_sel_hi:[1,0,1]
	v_pk_fma_f16 v19, v12, v10, v19 op_sel:[0,1,0]
	v_pk_fma_f16 v20, v12, v11, v20 op_sel_hi:[1,0,1]
	v_pk_fma_f16 v12, v12, v11, v21 op_sel:[0,1,0]
	ds_read_b128 v[8:11], v97 offset:176
	s_waitcnt lgkmcnt(0)
	v_pk_fma_f16 v14, v13, v8, v14 op_sel_hi:[1,0,1]
	v_pk_fma_f16 v15, v13, v8, v15 op_sel:[0,1,0]
	v_pk_fma_f16 v16, v13, v9, v16 op_sel_hi:[1,0,1]
	v_pk_fma_f16 v17, v13, v9, v17 op_sel:[0,1,0]
	v_pk_fma_f16 v18, v13, v10, v18 op_sel_hi:[1,0,1]
	v_pk_fma_f16 v19, v13, v10, v19 op_sel:[0,1,0]
	v_pk_fma_f16 v20, v13, v11, v20 op_sel_hi:[1,0,1]
	v_pk_fma_f16 v21, v13, v11, v12 op_sel:[0,1,0]
	ds_read2_b32 v[12:13], v104 offset0:128 offset1:160
	;; [unrolled: 21-line block ×3, first 2 shown]
	ds_read_b128 v[8:11], v97 offset:224
	s_waitcnt lgkmcnt(0)
	v_pk_fma_f16 v14, v12, v8, v14 op_sel_hi:[1,0,1]
	v_pk_fma_f16 v15, v12, v8, v15 op_sel:[0,1,0]
	v_pk_fma_f16 v16, v12, v9, v16 op_sel_hi:[1,0,1]
	v_pk_fma_f16 v17, v12, v9, v17 op_sel:[0,1,0]
	;; [unrolled: 2-line block ×4, first 2 shown]
	ds_read_b128 v[8:11], v97 offset:240
	s_waitcnt lgkmcnt(0)
	v_pk_fma_f16 v14, v13, v8, v14 op_sel_hi:[1,0,1]
	v_pk_fma_f16 v15, v13, v8, v15 op_sel:[0,1,0]
	v_pk_fma_f16 v16, v13, v9, v16 op_sel_hi:[1,0,1]
	v_pk_fma_f16 v17, v13, v9, v17 op_sel:[0,1,0]
	;; [unrolled: 2-line block ×4, first 2 shown]
	ds_read2_b32 v[12:13], v105 offset1:32
	ds_read_b128 v[8:11], v97 offset:256
	s_waitcnt lgkmcnt(0)
	v_pk_fma_f16 v14, v12, v8, v14 op_sel_hi:[1,0,1]
	v_pk_fma_f16 v15, v12, v8, v15 op_sel:[0,1,0]
	v_pk_fma_f16 v16, v12, v9, v16 op_sel_hi:[1,0,1]
	v_pk_fma_f16 v17, v12, v9, v17 op_sel:[0,1,0]
	v_pk_fma_f16 v18, v12, v10, v18 op_sel_hi:[1,0,1]
	v_pk_fma_f16 v19, v12, v10, v19 op_sel:[0,1,0]
	v_pk_fma_f16 v20, v12, v11, v20 op_sel_hi:[1,0,1]
	v_pk_fma_f16 v12, v12, v11, v21 op_sel:[0,1,0]
	ds_read_b128 v[8:11], v97 offset:272
	s_waitcnt lgkmcnt(0)
	v_pk_fma_f16 v14, v13, v8, v14 op_sel_hi:[1,0,1]
	v_pk_fma_f16 v15, v13, v8, v15 op_sel:[0,1,0]
	v_pk_fma_f16 v16, v13, v9, v16 op_sel_hi:[1,0,1]
	v_pk_fma_f16 v17, v13, v9, v17 op_sel:[0,1,0]
	v_pk_fma_f16 v18, v13, v10, v18 op_sel_hi:[1,0,1]
	v_pk_fma_f16 v19, v13, v10, v19 op_sel:[0,1,0]
	v_pk_fma_f16 v20, v13, v11, v20 op_sel_hi:[1,0,1]
	v_pk_fma_f16 v21, v13, v11, v12 op_sel:[0,1,0]
	ds_read2_b32 v[12:13], v105 offset0:64 offset1:96
	ds_read_b128 v[8:11], v97 offset:288
	s_waitcnt lgkmcnt(0)
	v_pk_fma_f16 v14, v12, v8, v14 op_sel_hi:[1,0,1]
	v_pk_fma_f16 v15, v12, v8, v15 op_sel:[0,1,0]
	v_pk_fma_f16 v16, v12, v9, v16 op_sel_hi:[1,0,1]
	v_pk_fma_f16 v17, v12, v9, v17 op_sel:[0,1,0]
	v_pk_fma_f16 v18, v12, v10, v18 op_sel_hi:[1,0,1]
	v_pk_fma_f16 v19, v12, v10, v19 op_sel:[0,1,0]
	v_pk_fma_f16 v20, v12, v11, v20 op_sel_hi:[1,0,1]
	v_pk_fma_f16 v12, v12, v11, v21 op_sel:[0,1,0]
	ds_read_b128 v[8:11], v97 offset:304
	s_waitcnt lgkmcnt(0)
	v_pk_fma_f16 v14, v13, v8, v14 op_sel_hi:[1,0,1]
	v_pk_fma_f16 v15, v13, v8, v15 op_sel:[0,1,0]
	v_pk_fma_f16 v16, v13, v9, v16 op_sel_hi:[1,0,1]
	v_pk_fma_f16 v17, v13, v9, v17 op_sel:[0,1,0]
	v_pk_fma_f16 v18, v13, v10, v18 op_sel_hi:[1,0,1]
	v_pk_fma_f16 v19, v13, v10, v19 op_sel:[0,1,0]
	v_pk_fma_f16 v20, v13, v11, v20 op_sel_hi:[1,0,1]
	v_pk_fma_f16 v21, v13, v11, v12 op_sel:[0,1,0]
	ds_read2_b32 v[12:13], v105 offset0:128 offset1:160
	;; [unrolled: 21-line block ×3, first 2 shown]
	ds_read_b128 v[8:11], v97 offset:352
	s_waitcnt lgkmcnt(0)
	v_pk_fma_f16 v14, v12, v8, v14 op_sel_hi:[1,0,1]
	v_pk_fma_f16 v15, v12, v8, v15 op_sel:[0,1,0]
	v_pk_fma_f16 v16, v12, v9, v16 op_sel_hi:[1,0,1]
	v_pk_fma_f16 v17, v12, v9, v17 op_sel:[0,1,0]
	;; [unrolled: 2-line block ×4, first 2 shown]
	ds_read_b128 v[8:11], v97 offset:368
	s_waitcnt lgkmcnt(0)
	v_pk_fma_f16 v14, v13, v8, v14 op_sel_hi:[1,0,1]
	v_pk_fma_f16 v15, v13, v8, v15 op_sel:[0,1,0]
	v_pk_fma_f16 v16, v13, v9, v16 op_sel_hi:[1,0,1]
	v_pk_fma_f16 v17, v13, v9, v17 op_sel:[0,1,0]
	;; [unrolled: 2-line block ×4, first 2 shown]
	ds_read2_b32 v[12:13], v106 offset1:32
	ds_read_b128 v[8:11], v97 offset:384
	s_waitcnt lgkmcnt(0)
	v_pk_fma_f16 v14, v12, v8, v14 op_sel_hi:[1,0,1]
	v_pk_fma_f16 v15, v12, v8, v15 op_sel:[0,1,0]
	v_pk_fma_f16 v16, v12, v9, v16 op_sel_hi:[1,0,1]
	v_pk_fma_f16 v17, v12, v9, v17 op_sel:[0,1,0]
	v_pk_fma_f16 v18, v12, v10, v18 op_sel_hi:[1,0,1]
	v_pk_fma_f16 v19, v12, v10, v19 op_sel:[0,1,0]
	v_pk_fma_f16 v20, v12, v11, v20 op_sel_hi:[1,0,1]
	v_pk_fma_f16 v12, v12, v11, v21 op_sel:[0,1,0]
	ds_read_b128 v[8:11], v97 offset:400
	s_waitcnt lgkmcnt(0)
	v_pk_fma_f16 v14, v13, v8, v14 op_sel_hi:[1,0,1]
	v_pk_fma_f16 v15, v13, v8, v15 op_sel:[0,1,0]
	v_pk_fma_f16 v16, v13, v9, v16 op_sel_hi:[1,0,1]
	v_pk_fma_f16 v17, v13, v9, v17 op_sel:[0,1,0]
	v_pk_fma_f16 v18, v13, v10, v18 op_sel_hi:[1,0,1]
	v_pk_fma_f16 v19, v13, v10, v19 op_sel:[0,1,0]
	v_pk_fma_f16 v20, v13, v11, v20 op_sel_hi:[1,0,1]
	v_pk_fma_f16 v21, v13, v11, v12 op_sel:[0,1,0]
	ds_read2_b32 v[12:13], v106 offset0:64 offset1:96
	ds_read_b128 v[8:11], v97 offset:416
	s_waitcnt lgkmcnt(0)
	v_pk_fma_f16 v14, v12, v8, v14 op_sel_hi:[1,0,1]
	v_pk_fma_f16 v15, v12, v8, v15 op_sel:[0,1,0]
	v_pk_fma_f16 v16, v12, v9, v16 op_sel_hi:[1,0,1]
	v_pk_fma_f16 v17, v12, v9, v17 op_sel:[0,1,0]
	v_pk_fma_f16 v18, v12, v10, v18 op_sel_hi:[1,0,1]
	v_pk_fma_f16 v19, v12, v10, v19 op_sel:[0,1,0]
	v_pk_fma_f16 v20, v12, v11, v20 op_sel_hi:[1,0,1]
	v_pk_fma_f16 v12, v12, v11, v21 op_sel:[0,1,0]
	ds_read_b128 v[8:11], v97 offset:432
	s_waitcnt lgkmcnt(0)
	v_pk_fma_f16 v14, v13, v8, v14 op_sel_hi:[1,0,1]
	v_pk_fma_f16 v15, v13, v8, v15 op_sel:[0,1,0]
	v_pk_fma_f16 v16, v13, v9, v16 op_sel_hi:[1,0,1]
	v_pk_fma_f16 v17, v13, v9, v17 op_sel:[0,1,0]
	v_pk_fma_f16 v18, v13, v10, v18 op_sel_hi:[1,0,1]
	v_pk_fma_f16 v19, v13, v10, v19 op_sel:[0,1,0]
	v_pk_fma_f16 v20, v13, v11, v20 op_sel_hi:[1,0,1]
	v_pk_fma_f16 v21, v13, v11, v12 op_sel:[0,1,0]
	ds_read2_b32 v[12:13], v106 offset0:128 offset1:160
	ds_read_b128 v[8:11], v97 offset:448
	s_waitcnt lgkmcnt(0)
	v_pk_fma_f16 v14, v12, v8, v14 op_sel_hi:[1,0,1]
	v_pk_fma_f16 v15, v12, v8, v15 op_sel:[0,1,0]
	v_pk_fma_f16 v16, v12, v9, v16 op_sel_hi:[1,0,1]
	v_pk_fma_f16 v17, v12, v9, v17 op_sel:[0,1,0]
	v_pk_fma_f16 v18, v12, v10, v18 op_sel_hi:[1,0,1]
	v_pk_fma_f16 v19, v12, v10, v19 op_sel:[0,1,0]
	v_pk_fma_f16 v20, v12, v11, v20 op_sel_hi:[1,0,1]
	v_pk_fma_f16 v12, v12, v11, v21 op_sel:[0,1,0]
	ds_read_b128 v[8:11], v97 offset:464
	s_waitcnt lgkmcnt(0)
	v_pk_fma_f16 v14, v13, v8, v14 op_sel_hi:[1,0,1]
	v_pk_fma_f16 v15, v13, v8, v15 op_sel:[0,1,0]
	v_pk_fma_f16 v16, v13, v9, v16 op_sel_hi:[1,0,1]
	v_pk_fma_f16 v17, v13, v9, v17 op_sel:[0,1,0]
	v_pk_fma_f16 v18, v13, v10, v18 op_sel_hi:[1,0,1]
	v_pk_fma_f16 v19, v13, v10, v19 op_sel:[0,1,0]
	v_pk_fma_f16 v20, v13, v11, v20 op_sel_hi:[1,0,1]
	v_pk_fma_f16 v21, v13, v11, v12 op_sel:[0,1,0]
	ds_read2_b32 v[12:13], v106 offset0:192 offset1:224
	ds_read_b128 v[8:11], v97 offset:480
	s_waitcnt lgkmcnt(0)
	v_pk_fma_f16 v14, v12, v8, v14 op_sel_hi:[1,0,1]
	v_pk_fma_f16 v15, v12, v8, v15 op_sel:[0,1,0]
	v_pk_fma_f16 v16, v12, v9, v16 op_sel_hi:[1,0,1]
	v_pk_fma_f16 v17, v12, v9, v17 op_sel:[0,1,0]
	;; [unrolled: 2-line block ×4, first 2 shown]
	ds_read_b128 v[8:11], v97 offset:496
	s_waitcnt lgkmcnt(0)
	v_pk_fma_f16 v14, v13, v8, v14 op_sel_hi:[1,0,1]
	v_pk_fma_f16 v15, v13, v8, v15 op_sel:[0,1,0]
	v_pk_fma_f16 v16, v13, v9, v16 op_sel_hi:[1,0,1]
	v_pk_fma_f16 v17, v13, v9, v17 op_sel:[0,1,0]
	;; [unrolled: 2-line block ×4, first 2 shown]
	ds_read2_b32 v[12:13], v107 offset1:32
	ds_read_b128 v[8:11], v97 offset:512
	s_waitcnt lgkmcnt(0)
	v_pk_fma_f16 v14, v12, v8, v14 op_sel_hi:[1,0,1]
	v_pk_fma_f16 v15, v12, v8, v15 op_sel:[0,1,0]
	v_pk_fma_f16 v16, v12, v9, v16 op_sel_hi:[1,0,1]
	v_pk_fma_f16 v17, v12, v9, v17 op_sel:[0,1,0]
	v_pk_fma_f16 v18, v12, v10, v18 op_sel_hi:[1,0,1]
	v_pk_fma_f16 v19, v12, v10, v19 op_sel:[0,1,0]
	v_pk_fma_f16 v20, v12, v11, v20 op_sel_hi:[1,0,1]
	v_pk_fma_f16 v12, v12, v11, v21 op_sel:[0,1,0]
	ds_read_b128 v[8:11], v97 offset:528
	s_waitcnt lgkmcnt(0)
	v_pk_fma_f16 v14, v13, v8, v14 op_sel_hi:[1,0,1]
	v_pk_fma_f16 v15, v13, v8, v15 op_sel:[0,1,0]
	v_pk_fma_f16 v16, v13, v9, v16 op_sel_hi:[1,0,1]
	v_pk_fma_f16 v17, v13, v9, v17 op_sel:[0,1,0]
	v_pk_fma_f16 v18, v13, v10, v18 op_sel_hi:[1,0,1]
	v_pk_fma_f16 v19, v13, v10, v19 op_sel:[0,1,0]
	v_pk_fma_f16 v20, v13, v11, v20 op_sel_hi:[1,0,1]
	v_pk_fma_f16 v21, v13, v11, v12 op_sel:[0,1,0]
	ds_read2_b32 v[12:13], v107 offset0:64 offset1:96
	ds_read_b128 v[8:11], v97 offset:544
	s_waitcnt lgkmcnt(0)
	v_pk_fma_f16 v14, v12, v8, v14 op_sel_hi:[1,0,1]
	v_pk_fma_f16 v15, v12, v8, v15 op_sel:[0,1,0]
	v_pk_fma_f16 v16, v12, v9, v16 op_sel_hi:[1,0,1]
	v_pk_fma_f16 v17, v12, v9, v17 op_sel:[0,1,0]
	v_pk_fma_f16 v18, v12, v10, v18 op_sel_hi:[1,0,1]
	v_pk_fma_f16 v19, v12, v10, v19 op_sel:[0,1,0]
	v_pk_fma_f16 v20, v12, v11, v20 op_sel_hi:[1,0,1]
	v_pk_fma_f16 v12, v12, v11, v21 op_sel:[0,1,0]
	ds_read_b128 v[8:11], v97 offset:560
	s_waitcnt lgkmcnt(0)
	v_pk_fma_f16 v14, v13, v8, v14 op_sel_hi:[1,0,1]
	v_pk_fma_f16 v15, v13, v8, v15 op_sel:[0,1,0]
	v_pk_fma_f16 v16, v13, v9, v16 op_sel_hi:[1,0,1]
	v_pk_fma_f16 v17, v13, v9, v17 op_sel:[0,1,0]
	v_pk_fma_f16 v18, v13, v10, v18 op_sel_hi:[1,0,1]
	v_pk_fma_f16 v19, v13, v10, v19 op_sel:[0,1,0]
	v_pk_fma_f16 v20, v13, v11, v20 op_sel_hi:[1,0,1]
	v_pk_fma_f16 v21, v13, v11, v12 op_sel:[0,1,0]
	ds_read2_b32 v[12:13], v107 offset0:128 offset1:160
	;; [unrolled: 21-line block ×3, first 2 shown]
	ds_read_b128 v[8:11], v97 offset:608
	s_waitcnt lgkmcnt(0)
	v_pk_fma_f16 v14, v12, v8, v14 op_sel_hi:[1,0,1]
	v_pk_fma_f16 v15, v12, v8, v15 op_sel:[0,1,0]
	v_pk_fma_f16 v16, v12, v9, v16 op_sel_hi:[1,0,1]
	v_pk_fma_f16 v17, v12, v9, v17 op_sel:[0,1,0]
	;; [unrolled: 2-line block ×4, first 2 shown]
	ds_read_b128 v[8:11], v97 offset:624
	s_waitcnt lgkmcnt(0)
	v_pk_fma_f16 v14, v13, v8, v14 op_sel_hi:[1,0,1]
	v_pk_fma_f16 v15, v13, v8, v15 op_sel:[0,1,0]
	v_pk_fma_f16 v16, v13, v9, v16 op_sel_hi:[1,0,1]
	v_pk_fma_f16 v17, v13, v9, v17 op_sel:[0,1,0]
	;; [unrolled: 2-line block ×4, first 2 shown]
	ds_read2_b32 v[12:13], v108 offset1:32
	ds_read_b128 v[8:11], v97 offset:640
	s_waitcnt lgkmcnt(0)
	v_pk_fma_f16 v14, v12, v8, v14 op_sel_hi:[1,0,1]
	v_pk_fma_f16 v15, v12, v8, v15 op_sel:[0,1,0]
	v_pk_fma_f16 v16, v12, v9, v16 op_sel_hi:[1,0,1]
	v_pk_fma_f16 v17, v12, v9, v17 op_sel:[0,1,0]
	v_pk_fma_f16 v18, v12, v10, v18 op_sel_hi:[1,0,1]
	v_pk_fma_f16 v19, v12, v10, v19 op_sel:[0,1,0]
	v_pk_fma_f16 v20, v12, v11, v20 op_sel_hi:[1,0,1]
	v_pk_fma_f16 v12, v12, v11, v21 op_sel:[0,1,0]
	ds_read_b128 v[8:11], v97 offset:656
	s_waitcnt lgkmcnt(0)
	v_pk_fma_f16 v14, v13, v8, v14 op_sel_hi:[1,0,1]
	v_pk_fma_f16 v15, v13, v8, v15 op_sel:[0,1,0]
	v_pk_fma_f16 v16, v13, v9, v16 op_sel_hi:[1,0,1]
	v_pk_fma_f16 v17, v13, v9, v17 op_sel:[0,1,0]
	v_pk_fma_f16 v18, v13, v10, v18 op_sel_hi:[1,0,1]
	v_pk_fma_f16 v19, v13, v10, v19 op_sel:[0,1,0]
	v_pk_fma_f16 v20, v13, v11, v20 op_sel_hi:[1,0,1]
	v_pk_fma_f16 v21, v13, v11, v12 op_sel:[0,1,0]
	ds_read2_b32 v[12:13], v108 offset0:64 offset1:96
	ds_read_b128 v[8:11], v97 offset:672
	s_waitcnt lgkmcnt(0)
	v_pk_fma_f16 v14, v12, v8, v14 op_sel_hi:[1,0,1]
	v_pk_fma_f16 v15, v12, v8, v15 op_sel:[0,1,0]
	v_pk_fma_f16 v16, v12, v9, v16 op_sel_hi:[1,0,1]
	v_pk_fma_f16 v17, v12, v9, v17 op_sel:[0,1,0]
	v_pk_fma_f16 v18, v12, v10, v18 op_sel_hi:[1,0,1]
	v_pk_fma_f16 v19, v12, v10, v19 op_sel:[0,1,0]
	v_pk_fma_f16 v20, v12, v11, v20 op_sel_hi:[1,0,1]
	v_pk_fma_f16 v12, v12, v11, v21 op_sel:[0,1,0]
	ds_read_b128 v[8:11], v97 offset:688
	s_waitcnt lgkmcnt(0)
	v_pk_fma_f16 v14, v13, v8, v14 op_sel_hi:[1,0,1]
	v_pk_fma_f16 v15, v13, v8, v15 op_sel:[0,1,0]
	v_pk_fma_f16 v16, v13, v9, v16 op_sel_hi:[1,0,1]
	v_pk_fma_f16 v17, v13, v9, v17 op_sel:[0,1,0]
	v_pk_fma_f16 v18, v13, v10, v18 op_sel_hi:[1,0,1]
	v_pk_fma_f16 v19, v13, v10, v19 op_sel:[0,1,0]
	v_pk_fma_f16 v20, v13, v11, v20 op_sel_hi:[1,0,1]
	v_pk_fma_f16 v21, v13, v11, v12 op_sel:[0,1,0]
	ds_read2_b32 v[12:13], v108 offset0:128 offset1:160
	;; [unrolled: 21-line block ×3, first 2 shown]
	ds_read_b128 v[8:11], v97 offset:736
	s_waitcnt lgkmcnt(0)
	v_pk_fma_f16 v14, v12, v8, v14 op_sel_hi:[1,0,1]
	v_pk_fma_f16 v15, v12, v8, v15 op_sel:[0,1,0]
	v_pk_fma_f16 v16, v12, v9, v16 op_sel_hi:[1,0,1]
	v_pk_fma_f16 v17, v12, v9, v17 op_sel:[0,1,0]
	;; [unrolled: 2-line block ×4, first 2 shown]
	ds_read_b128 v[8:11], v97 offset:752
	s_waitcnt lgkmcnt(0)
	v_pk_fma_f16 v14, v13, v8, v14 op_sel_hi:[1,0,1]
	v_pk_fma_f16 v15, v13, v8, v15 op_sel:[0,1,0]
	v_pk_fma_f16 v16, v13, v9, v16 op_sel_hi:[1,0,1]
	v_pk_fma_f16 v17, v13, v9, v17 op_sel:[0,1,0]
	;; [unrolled: 2-line block ×4, first 2 shown]
	ds_read2_b32 v[12:13], v109 offset1:32
	ds_read_b128 v[8:11], v97 offset:768
	s_waitcnt lgkmcnt(0)
	v_pk_fma_f16 v14, v12, v8, v14 op_sel_hi:[1,0,1]
	v_pk_fma_f16 v15, v12, v8, v15 op_sel:[0,1,0]
	v_pk_fma_f16 v16, v12, v9, v16 op_sel_hi:[1,0,1]
	v_pk_fma_f16 v17, v12, v9, v17 op_sel:[0,1,0]
	v_pk_fma_f16 v18, v12, v10, v18 op_sel_hi:[1,0,1]
	v_pk_fma_f16 v19, v12, v10, v19 op_sel:[0,1,0]
	v_pk_fma_f16 v20, v12, v11, v20 op_sel_hi:[1,0,1]
	v_pk_fma_f16 v12, v12, v11, v21 op_sel:[0,1,0]
	ds_read_b128 v[8:11], v97 offset:784
	s_waitcnt lgkmcnt(0)
	v_pk_fma_f16 v14, v13, v8, v14 op_sel_hi:[1,0,1]
	v_pk_fma_f16 v15, v13, v8, v15 op_sel:[0,1,0]
	v_pk_fma_f16 v16, v13, v9, v16 op_sel_hi:[1,0,1]
	v_pk_fma_f16 v17, v13, v9, v17 op_sel:[0,1,0]
	v_pk_fma_f16 v18, v13, v10, v18 op_sel_hi:[1,0,1]
	v_pk_fma_f16 v19, v13, v10, v19 op_sel:[0,1,0]
	v_pk_fma_f16 v20, v13, v11, v20 op_sel_hi:[1,0,1]
	v_pk_fma_f16 v21, v13, v11, v12 op_sel:[0,1,0]
	ds_read2_b32 v[12:13], v109 offset0:64 offset1:96
	ds_read_b128 v[8:11], v97 offset:800
	s_waitcnt lgkmcnt(0)
	v_pk_fma_f16 v14, v12, v8, v14 op_sel_hi:[1,0,1]
	v_pk_fma_f16 v15, v12, v8, v15 op_sel:[0,1,0]
	v_pk_fma_f16 v16, v12, v9, v16 op_sel_hi:[1,0,1]
	v_pk_fma_f16 v17, v12, v9, v17 op_sel:[0,1,0]
	v_pk_fma_f16 v18, v12, v10, v18 op_sel_hi:[1,0,1]
	v_pk_fma_f16 v19, v12, v10, v19 op_sel:[0,1,0]
	v_pk_fma_f16 v20, v12, v11, v20 op_sel_hi:[1,0,1]
	v_pk_fma_f16 v12, v12, v11, v21 op_sel:[0,1,0]
	ds_read_b128 v[8:11], v97 offset:816
	s_waitcnt lgkmcnt(0)
	v_pk_fma_f16 v14, v13, v8, v14 op_sel_hi:[1,0,1]
	v_pk_fma_f16 v15, v13, v8, v15 op_sel:[0,1,0]
	v_pk_fma_f16 v16, v13, v9, v16 op_sel_hi:[1,0,1]
	v_pk_fma_f16 v17, v13, v9, v17 op_sel:[0,1,0]
	v_pk_fma_f16 v18, v13, v10, v18 op_sel_hi:[1,0,1]
	v_pk_fma_f16 v19, v13, v10, v19 op_sel:[0,1,0]
	v_pk_fma_f16 v20, v13, v11, v20 op_sel_hi:[1,0,1]
	v_pk_fma_f16 v21, v13, v11, v12 op_sel:[0,1,0]
	ds_read2_b32 v[12:13], v109 offset0:128 offset1:160
	;; [unrolled: 21-line block ×3, first 2 shown]
	ds_read_b128 v[8:11], v97 offset:864
	s_waitcnt lgkmcnt(0)
	v_pk_fma_f16 v14, v12, v8, v14 op_sel_hi:[1,0,1]
	v_pk_fma_f16 v15, v12, v8, v15 op_sel:[0,1,0]
	v_pk_fma_f16 v16, v12, v9, v16 op_sel_hi:[1,0,1]
	v_pk_fma_f16 v17, v12, v9, v17 op_sel:[0,1,0]
	;; [unrolled: 2-line block ×4, first 2 shown]
	ds_read_b128 v[8:11], v97 offset:880
	s_waitcnt lgkmcnt(0)
	v_pk_fma_f16 v14, v13, v8, v14 op_sel_hi:[1,0,1]
	v_pk_fma_f16 v15, v13, v8, v15 op_sel:[0,1,0]
	v_pk_fma_f16 v16, v13, v9, v16 op_sel_hi:[1,0,1]
	v_pk_fma_f16 v17, v13, v9, v17 op_sel:[0,1,0]
	v_pk_fma_f16 v18, v13, v10, v18 op_sel_hi:[1,0,1]
	v_pk_fma_f16 v19, v13, v10, v19 op_sel:[0,1,0]
	v_pk_fma_f16 v20, v13, v11, v20 op_sel_hi:[1,0,1]
	v_pk_fma_f16 v21, v13, v11, v12 op_sel:[0,1,0]
	ds_read2_b32 v[12:13], v110 offset1:32
	ds_read_b128 v[8:11], v97 offset:896
	s_waitcnt lgkmcnt(0)
	v_pk_fma_f16 v14, v12, v8, v14 op_sel_hi:[1,0,1]
	v_pk_fma_f16 v15, v12, v8, v15 op_sel:[0,1,0]
	v_pk_fma_f16 v16, v12, v9, v16 op_sel_hi:[1,0,1]
	v_pk_fma_f16 v17, v12, v9, v17 op_sel:[0,1,0]
	v_pk_fma_f16 v18, v12, v10, v18 op_sel_hi:[1,0,1]
	v_pk_fma_f16 v19, v12, v10, v19 op_sel:[0,1,0]
	v_pk_fma_f16 v20, v12, v11, v20 op_sel_hi:[1,0,1]
	v_pk_fma_f16 v12, v12, v11, v21 op_sel:[0,1,0]
	ds_read_b128 v[8:11], v97 offset:912
	s_waitcnt lgkmcnt(0)
	v_pk_fma_f16 v14, v13, v8, v14 op_sel_hi:[1,0,1]
	v_pk_fma_f16 v15, v13, v8, v15 op_sel:[0,1,0]
	v_pk_fma_f16 v16, v13, v9, v16 op_sel_hi:[1,0,1]
	v_pk_fma_f16 v17, v13, v9, v17 op_sel:[0,1,0]
	v_pk_fma_f16 v18, v13, v10, v18 op_sel_hi:[1,0,1]
	v_pk_fma_f16 v19, v13, v10, v19 op_sel:[0,1,0]
	v_pk_fma_f16 v20, v13, v11, v20 op_sel_hi:[1,0,1]
	v_pk_fma_f16 v21, v13, v11, v12 op_sel:[0,1,0]
	ds_read2_b32 v[12:13], v110 offset0:64 offset1:96
	ds_read_b128 v[8:11], v97 offset:928
	s_waitcnt lgkmcnt(0)
	v_pk_fma_f16 v14, v12, v8, v14 op_sel_hi:[1,0,1]
	v_pk_fma_f16 v15, v12, v8, v15 op_sel:[0,1,0]
	v_pk_fma_f16 v16, v12, v9, v16 op_sel_hi:[1,0,1]
	v_pk_fma_f16 v17, v12, v9, v17 op_sel:[0,1,0]
	v_pk_fma_f16 v18, v12, v10, v18 op_sel_hi:[1,0,1]
	v_pk_fma_f16 v19, v12, v10, v19 op_sel:[0,1,0]
	v_pk_fma_f16 v20, v12, v11, v20 op_sel_hi:[1,0,1]
	v_pk_fma_f16 v12, v12, v11, v21 op_sel:[0,1,0]
	ds_read_b128 v[8:11], v97 offset:944
	s_waitcnt lgkmcnt(0)
	v_pk_fma_f16 v14, v13, v8, v14 op_sel_hi:[1,0,1]
	v_pk_fma_f16 v15, v13, v8, v15 op_sel:[0,1,0]
	v_pk_fma_f16 v16, v13, v9, v16 op_sel_hi:[1,0,1]
	v_pk_fma_f16 v17, v13, v9, v17 op_sel:[0,1,0]
	v_pk_fma_f16 v18, v13, v10, v18 op_sel_hi:[1,0,1]
	v_pk_fma_f16 v19, v13, v10, v19 op_sel:[0,1,0]
	v_pk_fma_f16 v20, v13, v11, v20 op_sel_hi:[1,0,1]
	v_pk_fma_f16 v21, v13, v11, v12 op_sel:[0,1,0]
	ds_read2_b32 v[12:13], v110 offset0:128 offset1:160
	;; [unrolled: 21-line block ×3, first 2 shown]
	ds_read_b128 v[8:11], v97 offset:992
	s_waitcnt lgkmcnt(0)
	v_pk_fma_f16 v14, v12, v8, v14 op_sel_hi:[1,0,1]
	v_pk_fma_f16 v15, v12, v8, v15 op_sel:[0,1,0]
	v_pk_fma_f16 v16, v12, v9, v16 op_sel_hi:[1,0,1]
	v_pk_fma_f16 v17, v12, v9, v17 op_sel:[0,1,0]
	;; [unrolled: 2-line block ×4, first 2 shown]
	ds_read_b128 v[8:11], v97 offset:1008
	s_waitcnt lgkmcnt(0)
	s_barrier
	s_load_dword s25, s[0:1], 0x4
	v_pk_fma_f16 v118, v13, v8, v14 op_sel_hi:[1,0,1]
	v_pk_fma_f16 v117, v13, v8, v15 op_sel:[0,1,0]
	v_pk_fma_f16 v116, v13, v9, v16 op_sel_hi:[1,0,1]
	v_pk_fma_f16 v114, v13, v9, v17 op_sel:[0,1,0]
	s_waitcnt lgkmcnt(0)
	s_lshl_b32 s25, s25, 6
	s_add_i32 s15, s25, s15
	v_pk_fma_f16 v112, v13, v10, v18 op_sel_hi:[1,0,1]
	v_pk_fma_f16 v111, v13, v10, v19 op_sel:[0,1,0]
	v_pk_fma_f16 v115, v13, v11, v20 op_sel_hi:[1,0,1]
	v_pk_fma_f16 v113, v13, v11, v12 op_sel:[0,1,0]
	s_cmp_ge_i32 s15, s30
	s_cbranch_scc0 .LBB17_9
.LBB17_10:
	v_cmp_lt_i32_e32 vcc, v89, v85
	v_cndmask_b32_e32 v8, v84, v89, vcc
	v_lshlrev_b32_e32 v17, 2, v8
	ds_bpermute_b32 v12, v17, v48
	ds_bpermute_b32 v13, v17, v49
	v_cmp_lt_i32_e32 vcc, v90, v85
	v_cndmask_b32_e32 v10, v84, v90, vcc
	v_cmp_lt_i32_e32 vcc, v88, v85
	v_lshlrev_b32_e32 v23, 2, v10
	v_cndmask_b32_e32 v10, v84, v88, vcc
	v_cmp_lt_i32_e32 vcc, v87, v85
	v_cndmask_b32_e32 v14, v84, v87, vcc
	s_waitcnt lgkmcnt(0)
	v_pk_add_f32 v[12:13], v[48:49], v[12:13]
	v_lshlrev_b32_e32 v25, 2, v14
	ds_bpermute_b32 v14, v23, v12
	ds_bpermute_b32 v15, v23, v13
	v_lshlrev_b32_e32 v24, 2, v10
	ds_bpermute_b32 v8, v17, v50
	ds_bpermute_b32 v9, v17, v51
	;; [unrolled: 1-line block ×3, first 2 shown]
	s_waitcnt lgkmcnt(3)
	v_pk_add_f32 v[12:13], v[12:13], v[14:15]
	ds_bpermute_b32 v14, v24, v12
	ds_bpermute_b32 v15, v24, v13
	ds_bpermute_b32 v19, v17, v45
	s_waitcnt lgkmcnt(4)
	v_pk_add_f32 v[8:9], v[50:51], v[8:9]
	v_cmp_lt_i32_e32 vcc, v86, v85
	ds_bpermute_b32 v10, v23, v8
	s_waitcnt lgkmcnt(2)
	v_pk_add_f32 v[12:13], v[12:13], v[14:15]
	ds_bpermute_b32 v14, v17, v46
	ds_bpermute_b32 v15, v17, v47
	s_waitcnt lgkmcnt(3)
	v_pk_add_f32 v[18:19], v[44:45], v[18:19]
	ds_bpermute_b32 v11, v23, v9
	v_cndmask_b32_e32 v16, v84, v86, vcc
	ds_bpermute_b32 v22, v23, v18
	s_waitcnt lgkmcnt(2)
	v_pk_add_f32 v[14:15], v[46:47], v[14:15]
	ds_bpermute_b32 v20, v23, v14
	ds_bpermute_b32 v21, v23, v15
	;; [unrolled: 1-line block ×3, first 2 shown]
	v_lshlrev_b32_e32 v27, 2, v16
	ds_bpermute_b32 v16, v25, v12
	ds_bpermute_b32 v17, v25, v13
	s_waitcnt lgkmcnt(6)
	v_pk_add_f32 v[8:9], v[8:9], v[10:11]
	s_waitcnt lgkmcnt(3)
	v_pk_add_f32 v[14:15], v[14:15], v[20:21]
	;; [unrolled: 2-line block ×3, first 2 shown]
	ds_bpermute_b32 v10, v24, v8
	ds_bpermute_b32 v11, v24, v9
	s_waitcnt lgkmcnt(2)
	v_pk_add_f32 v[12:13], v[12:13], v[16:17]
	ds_bpermute_b32 v16, v24, v14
	ds_bpermute_b32 v17, v24, v15
	;; [unrolled: 1-line block ×4, first 2 shown]
	s_waitcnt lgkmcnt(4)
	v_pk_add_f32 v[8:9], v[8:9], v[10:11]
	ds_bpermute_b32 v10, v25, v8
	s_waitcnt lgkmcnt(3)
	v_pk_add_f32 v[14:15], v[14:15], v[16:17]
	ds_bpermute_b32 v11, v25, v9
	;; [unrolled: 3-line block ×3, first 2 shown]
	ds_bpermute_b32 v17, v25, v15
	ds_bpermute_b32 v20, v25, v18
	;; [unrolled: 1-line block ×3, first 2 shown]
	s_waitcnt lgkmcnt(4)
	v_pk_add_f32 v[8:9], v[8:9], v[10:11]
	ds_bpermute_b32 v10, v27, v8
	s_waitcnt lgkmcnt(3)
	v_pk_add_f32 v[14:15], v[14:15], v[16:17]
	ds_bpermute_b32 v11, v27, v9
	;; [unrolled: 3-line block ×3, first 2 shown]
	ds_bpermute_b32 v23, v27, v13
	ds_bpermute_b32 v16, v27, v14
	ds_bpermute_b32 v17, v27, v15
	ds_bpermute_b32 v28, v27, v18
	ds_bpermute_b32 v29, v27, v19
	s_cmp_lg_u64 s[16:17], 0
	s_cselect_b64 s[0:1], -1, 0
	s_cmp_eq_u32 s7, 0
	s_cselect_b64 s[8:9], -1, 0
	s_and_b64 s[0:1], s[8:9], s[0:1]
	v_lshlrev_b32_e32 v26, 1, v81
	s_waitcnt lgkmcnt(6)
	v_pk_add_f32 v[24:25], v[8:9], v[10:11]
	s_waitcnt lgkmcnt(4)
	v_pk_add_f32 v[22:23], v[12:13], v[22:23]
	;; [unrolled: 2-line block ×4, first 2 shown]
	s_and_b64 vcc, exec, s[0:1]
	s_cbranch_vccz .LBB17_12
; %bb.11:
	s_ashr_i32 s29, s28, 31
	s_lshl_b64 s[0:1], s[28:29], 2
	s_add_u32 s0, s16, s0
	s_addc_u32 s1, s17, s1
	v_mov_b32_e32 v8, 0
	global_load_dwordx4 v[14:17], v8, s[0:1]
	v_max_f32_e32 v8, v1, v1
	v_max_f32_e32 v10, v0, v0
	s_mov_b32 s6, 0x3fb8aa3b
	v_max_f32_e32 v12, v2, v2
	v_max_f32_e32 v11, v3, v3
	s_mov_b32 s1, 0xc2ce8ed0
	s_mov_b32 s0, 0x42b17218
	v_mov_b32_e32 v27, 0x7f800000
	s_waitcnt vmcnt(0)
	v_max_f32_e32 v28, v15, v15
	v_max_f32_e32 v29, v14, v14
	v_max_f32_e32 v9, v8, v28
	v_max_f32_e32 v8, v10, v29
	v_pk_add_f32 v[0:1], v[0:1], v[8:9] neg_lo:[0,1] neg_hi:[0,1]
	v_max_f32_e32 v31, v16, v16
	v_mul_f32_e32 v32, 0x3fb8aa3b, v1
	v_max_f32_e32 v30, v17, v17
	v_max_f32_e32 v10, v12, v31
	v_pk_add_f32 v[12:13], v[14:15], v[8:9] neg_lo:[0,1] neg_hi:[0,1]
	v_mul_f32_e32 v33, 0x3fb8aa3b, v0
	v_fma_f32 v38, v1, s6, -v32
	v_rndne_f32_e32 v39, v32
	v_max_f32_e32 v11, v11, v30
	v_mul_f32_e32 v34, 0x3fb8aa3b, v13
	v_fma_f32 v40, v0, s6, -v33
	v_rndne_f32_e32 v41, v33
	v_fmac_f32_e32 v38, 0x32a5705f, v1
	v_sub_f32_e32 v32, v32, v39
	v_pk_add_f32 v[2:3], v[2:3], v[10:11] neg_lo:[0,1] neg_hi:[0,1]
	v_mul_f32_e32 v35, 0x3fb8aa3b, v12
	v_fma_f32 v42, v13, s6, -v34
	v_rndne_f32_e32 v43, v34
	v_fmac_f32_e32 v40, 0x32a5705f, v0
	v_sub_f32_e32 v33, v33, v41
	v_add_f32_e32 v32, v32, v38
	v_mul_f32_e32 v36, 0x3fb8aa3b, v3
	v_fma_f32 v44, v12, s6, -v35
	v_rndne_f32_e32 v45, v35
	v_cvt_i32_f32_e32 v39, v39
	v_fmac_f32_e32 v42, 0x32a5705f, v13
	v_sub_f32_e32 v34, v34, v43
	v_add_f32_e32 v33, v33, v40
	v_exp_f32_e32 v32, v32
	v_fma_f32 v46, v3, s6, -v36
	v_rndne_f32_e32 v47, v36
	v_cvt_i32_f32_e32 v41, v41
	v_fmac_f32_e32 v44, 0x32a5705f, v12
	v_sub_f32_e32 v35, v35, v45
	v_add_f32_e32 v34, v34, v42
	v_exp_f32_e32 v33, v33
	v_cvt_i32_f32_e32 v43, v43
	v_fmac_f32_e32 v46, 0x32a5705f, v3
	v_sub_f32_e32 v36, v36, v47
	v_add_f32_e32 v35, v35, v44
	v_exp_f32_e32 v34, v34
	v_cvt_i32_f32_e32 v45, v45
	v_add_f32_e32 v36, v36, v46
	v_exp_f32_e32 v35, v35
	v_cvt_i32_f32_e32 v47, v47
	v_exp_f32_e32 v36, v36
	v_ldexp_f32 v32, v32, v39
	v_cmp_ngt_f32_e32 vcc, s1, v1
	v_ldexp_f32 v33, v33, v41
	v_cndmask_b32_e32 v32, 0, v32, vcc
	v_cmp_ngt_f32_e32 vcc, s1, v0
	v_ldexp_f32 v34, v34, v43
	v_cndmask_b32_e32 v33, 0, v33, vcc
	;; [unrolled: 3-line block ×4, first 2 shown]
	v_cmp_ngt_f32_e32 vcc, s1, v3
	v_cndmask_b32_e32 v36, 0, v36, vcc
	v_cmp_nlt_f32_e32 vcc, s0, v1
	v_cndmask_b32_e32 v1, v27, v32, vcc
	v_cmp_nlt_f32_e32 vcc, s0, v0
	v_cndmask_b32_e32 v0, v27, v33, vcc
	v_cmp_nlt_f32_e32 vcc, s0, v13
	v_cndmask_b32_e32 v13, v27, v34, vcc
	v_cmp_nlt_f32_e32 vcc, s0, v12
	v_cvt_f16_f32_e32 v32, v0
	v_cvt_f16_f32_e32 v33, v1
	v_mul_f32_e32 v37, 0x3fb8aa3b, v2
	v_cndmask_b32_e32 v12, v27, v35, vcc
	v_fma_f32 v48, v2, s6, -v37
	v_rndne_f32_e32 v49, v37
	v_pk_fma_f32 v[24:25], v[24:25], v[0:1], v[12:13]
	v_pk_add_f32 v[0:1], v[16:17], v[10:11] neg_lo:[0,1] neg_hi:[0,1]
	v_fmac_f32_e32 v48, 0x32a5705f, v2
	v_sub_f32_e32 v37, v37, v49
	v_mul_f32_e32 v13, 0x3fb8aa3b, v1
	v_add_f32_e32 v37, v37, v48
	v_pk_mul_f16 v118, v118, v32 op_sel_hi:[1,0]
	v_pk_mul_f16 v117, v117, v33 op_sel_hi:[1,0]
	v_fma_f32 v32, v1, s6, -v13
	v_rndne_f32_e32 v33, v13
	v_cvt_i32_f32_e32 v49, v49
	v_exp_f32_e32 v37, v37
	v_fmac_f32_e32 v32, 0x32a5705f, v1
	v_sub_f32_e32 v13, v13, v33
	v_add_f32_e32 v13, v13, v32
	v_exp_f32_e32 v13, v13
	v_cvt_i32_f32_e32 v32, v33
	v_cmp_nlt_f32_e32 vcc, s0, v3
	v_cndmask_b32_e32 v3, v27, v36, vcc
	v_ldexp_f32 v12, v37, v49
	v_cmp_ngt_f32_e32 vcc, s1, v2
	v_cndmask_b32_e32 v12, 0, v12, vcc
	v_cmp_nlt_f32_e32 vcc, s0, v2
	v_cndmask_b32_e32 v2, v27, v12, vcc
	v_ldexp_f32 v12, v13, v32
	v_mul_f32_e32 v13, 0x3fb8aa3b, v0
	v_fma_f32 v32, v0, s6, -v13
	v_rndne_f32_e32 v33, v13
	v_fmac_f32_e32 v32, 0x32a5705f, v0
	v_sub_f32_e32 v13, v13, v33
	v_add_f32_e32 v13, v13, v32
	v_exp_f32_e32 v13, v13
	v_cvt_i32_f32_e32 v32, v33
	v_cmp_ngt_f32_e32 vcc, s1, v1
	v_cndmask_b32_e32 v12, 0, v12, vcc
	v_cmp_nlt_f32_e32 vcc, s0, v1
	v_cndmask_b32_e32 v1, v27, v12, vcc
	v_ldexp_f32 v12, v13, v32
	v_cmp_ngt_f32_e32 vcc, s1, v0
	v_cndmask_b32_e32 v12, 0, v12, vcc
	v_cmp_nlt_f32_e32 vcc, s0, v0
	v_cndmask_b32_e32 v0, v27, v12, vcc
	v_max_f32_e32 v12, v5, v5
	v_max_f32_e32 v13, v12, v28
	;; [unrolled: 1-line block ×4, first 2 shown]
	v_pk_add_f32 v[4:5], v[4:5], v[12:13] neg_lo:[0,1] neg_hi:[0,1]
	v_mul_f32_e32 v28, 0x3fb8aa3b, v5
	v_fma_f32 v29, v5, s6, -v28
	v_rndne_f32_e32 v34, v28
	v_fmac_f32_e32 v29, 0x32a5705f, v5
	v_sub_f32_e32 v28, v28, v34
	v_pk_fma_f32 v[22:23], v[22:23], v[2:3], v[0:1]
	v_mul_f32_e32 v1, 0x3fb8aa3b, v4
	v_cvt_f16_f32_e32 v32, v2
	v_cvt_f16_f32_e32 v33, v3
	v_add_f32_e32 v28, v28, v29
	v_fma_f32 v2, v4, s6, -v1
	v_rndne_f32_e32 v3, v1
	v_exp_f32_e32 v28, v28
	v_cvt_i32_f32_e32 v29, v34
	v_fmac_f32_e32 v2, 0x32a5705f, v4
	v_sub_f32_e32 v1, v1, v3
	v_add_f32_e32 v1, v1, v2
	v_exp_f32_e32 v2, v1
	v_cvt_i32_f32_e32 v3, v3
	v_ldexp_f32 v0, v28, v29
	v_cmp_ngt_f32_e32 vcc, s1, v5
	v_cndmask_b32_e32 v0, 0, v0, vcc
	v_cmp_nlt_f32_e32 vcc, s0, v5
	v_cndmask_b32_e32 v1, v27, v0, vcc
	v_ldexp_f32 v0, v2, v3
	v_pk_add_f32 v[2:3], v[14:15], v[12:13] neg_lo:[0,1] neg_hi:[0,1]
	v_mul_f32_e32 v5, 0x3fb8aa3b, v3
	v_fma_f32 v14, v3, s6, -v5
	v_rndne_f32_e32 v15, v5
	v_fmac_f32_e32 v14, 0x32a5705f, v3
	v_sub_f32_e32 v5, v5, v15
	v_add_f32_e32 v5, v5, v14
	v_exp_f32_e32 v5, v5
	v_cvt_i32_f32_e32 v14, v15
	v_cmp_ngt_f32_e32 vcc, s1, v4
	v_cndmask_b32_e32 v0, 0, v0, vcc
	v_cmp_nlt_f32_e32 vcc, s0, v4
	v_ldexp_f32 v4, v5, v14
	v_mul_f32_e32 v5, 0x3fb8aa3b, v2
	v_fma_f32 v14, v2, s6, -v5
	v_rndne_f32_e32 v15, v5
	v_fmac_f32_e32 v14, 0x32a5705f, v2
	v_sub_f32_e32 v5, v5, v15
	v_add_f32_e32 v5, v5, v14
	v_exp_f32_e32 v5, v5
	v_cvt_i32_f32_e32 v14, v15
	v_cndmask_b32_e32 v0, v27, v0, vcc
	v_cmp_ngt_f32_e32 vcc, s1, v3
	v_cndmask_b32_e32 v4, 0, v4, vcc
	v_cmp_nlt_f32_e32 vcc, s0, v3
	v_cndmask_b32_e32 v3, v27, v4, vcc
	v_ldexp_f32 v4, v5, v14
	v_cmp_ngt_f32_e32 vcc, s1, v2
	v_cndmask_b32_e32 v4, 0, v4, vcc
	v_cmp_nlt_f32_e32 vcc, s0, v2
	v_cndmask_b32_e32 v2, v27, v4, vcc
	v_max_f32_e32 v4, v7, v7
	v_max_f32_e32 v15, v4, v30
	v_max_f32_e32 v4, v6, v6
	v_max_f32_e32 v14, v4, v31
	v_pk_add_f32 v[4:5], v[6:7], v[14:15] neg_lo:[0,1] neg_hi:[0,1]
	v_mul_f32_e32 v6, 0x3fb8aa3b, v5
	v_fma_f32 v7, v5, s6, -v6
	v_rndne_f32_e32 v30, v6
	v_cvt_f16_f32_e32 v29, v1
	v_fmac_f32_e32 v7, 0x32a5705f, v5
	v_sub_f32_e32 v6, v6, v30
	v_pk_fma_f32 v[20:21], v[20:21], v[0:1], v[2:3]
	v_mul_f32_e32 v1, 0x3fb8aa3b, v4
	v_add_f32_e32 v6, v6, v7
	v_fma_f32 v2, v4, s6, -v1
	v_rndne_f32_e32 v3, v1
	v_exp_f32_e32 v6, v6
	v_cvt_i32_f32_e32 v7, v30
	v_fmac_f32_e32 v2, 0x32a5705f, v4
	v_sub_f32_e32 v1, v1, v3
	v_add_f32_e32 v1, v1, v2
	v_exp_f32_e32 v2, v1
	v_cvt_i32_f32_e32 v3, v3
	v_cvt_f16_f32_e32 v28, v0
	v_ldexp_f32 v0, v6, v7
	v_cmp_ngt_f32_e32 vcc, s1, v5
	v_cndmask_b32_e32 v0, 0, v0, vcc
	v_cmp_nlt_f32_e32 vcc, s0, v5
	v_cndmask_b32_e32 v1, v27, v0, vcc
	v_ldexp_f32 v0, v2, v3
	v_pk_add_f32 v[2:3], v[16:17], v[14:15] neg_lo:[0,1] neg_hi:[0,1]
	v_mul_f32_e32 v5, 0x3fb8aa3b, v3
	v_fma_f32 v6, v3, s6, -v5
	v_rndne_f32_e32 v7, v5
	v_fmac_f32_e32 v6, 0x32a5705f, v3
	v_sub_f32_e32 v5, v5, v7
	v_add_f32_e32 v5, v5, v6
	v_exp_f32_e32 v5, v5
	v_cvt_i32_f32_e32 v6, v7
	v_cmp_ngt_f32_e32 vcc, s1, v4
	v_cndmask_b32_e32 v0, 0, v0, vcc
	v_cmp_nlt_f32_e32 vcc, s0, v4
	v_ldexp_f32 v4, v5, v6
	v_mul_f32_e32 v5, 0x3fb8aa3b, v2
	v_fma_f32 v6, v2, s6, -v5
	v_rndne_f32_e32 v7, v5
	v_fmac_f32_e32 v6, 0x32a5705f, v2
	v_sub_f32_e32 v5, v5, v7
	v_add_f32_e32 v5, v5, v6
	v_exp_f32_e32 v5, v5
	v_cvt_i32_f32_e32 v6, v7
	v_cndmask_b32_e32 v0, v27, v0, vcc
	v_cmp_ngt_f32_e32 vcc, s1, v3
	v_cndmask_b32_e32 v4, 0, v4, vcc
	v_cmp_nlt_f32_e32 vcc, s0, v3
	v_cndmask_b32_e32 v3, v27, v4, vcc
	v_ldexp_f32 v4, v5, v6
	v_cvt_f16_f32_e32 v5, v0
	v_cvt_f16_f32_e32 v6, v1
	v_cmp_ngt_f32_e32 vcc, s1, v2
	v_cndmask_b32_e32 v4, 0, v4, vcc
	v_cmp_nlt_f32_e32 vcc, s0, v2
	v_cndmask_b32_e32 v2, v27, v4, vcc
	v_pk_fma_f32 v[18:19], v[18:19], v[0:1], v[2:3]
	v_pk_mul_f16 v115, v115, v5 op_sel_hi:[1,0]
	v_pk_mul_f16 v113, v113, v6 op_sel_hi:[1,0]
	v_pk_mov_b32 v[0:1], v[8:9], v[8:9] op_sel:[0,1]
	v_pk_mul_f16 v116, v116, v32 op_sel_hi:[1,0]
	v_pk_mul_f16 v114, v114, v33 op_sel_hi:[1,0]
	;; [unrolled: 1-line block ×4, first 2 shown]
	v_pk_mov_b32 v[2:3], v[10:11], v[10:11] op_sel:[0,1]
	v_pk_mov_b32 v[4:5], v[12:13], v[12:13] op_sel:[0,1]
	;; [unrolled: 1-line block ×3, first 2 shown]
.LBB17_12:
	v_cmp_gt_i32_e32 vcc, s2, v82
	s_and_saveexec_b64 s[0:1], vcc
	s_cbranch_execz .LBB17_49
; %bb.13:
	s_load_dword s6, s[4:5], 0xd4
	v_mov_b32_e32 v8, 1.0
	s_waitcnt lgkmcnt(0)
	s_cmp_lg_u32 s6, 1
	s_cselect_b64 s[4:5], -1, 0
	s_cmp_eq_u32 s6, 1
	s_cselect_b64 s[8:9], -1, 0
	s_and_b64 vcc, exec, s[4:5]
	s_cbranch_vccnz .LBB17_15
; %bb.14:
	v_div_scale_f32 v8, s[0:1], v24, v24, 1.0
	v_rcp_f32_e32 v9, v8
	v_div_scale_f32 v10, vcc, 1.0, v24, 1.0
	v_fma_f32 v11, -v8, v9, 1.0
	v_fmac_f32_e32 v9, v11, v9
	v_mul_f32_e32 v11, v10, v9
	v_fma_f32 v12, -v8, v11, v10
	v_fmac_f32_e32 v11, v12, v9
	v_fma_f32 v8, -v8, v11, v10
	v_div_fmas_f32 v8, v8, v9, v11
	v_div_fixup_f32 v8, v8, v24, 1.0
.LBB17_15:
	s_mul_i32 s10, s33, s2
	s_add_i32 s10, s10, s14
	v_add_u32_e32 v9, s10, v80
	v_mul_lo_u32 v12, v9, s3
	v_add_u32_e32 v9, s28, v12
	v_mul_lo_u32 v9, s6, v9
	v_add_u32_e32 v10, s7, v9
	v_cvt_f32_f16_sdwa v17, v118 dst_sel:DWORD dst_unused:UNUSED_PAD src0_sel:WORD_1
	v_cvt_f32_f16_e32 v16, v118
	v_lshl_add_u32 v14, v10, 6, v26
	v_mov_b32_e32 v15, 0
	v_lshlrev_b64 v[14:15], 2, v[14:15]
	v_cmp_eq_u32_e32 vcc, 0, v81
	v_mov_b32_e32 v9, s21
	v_add_co_u32_e64 v14, s[0:1], s20, v14
	v_addc_co_u32_e64 v15, s[0:1], v9, v15, s[0:1]
	v_pk_mul_f32 v[8:9], v[8:9], v[16:17] op_sel_hi:[0,1]
	s_and_b64 s[4:5], vcc, s[4:5]
	global_store_dwordx2 v[14:15], v[8:9], off
	s_and_saveexec_b64 s[0:1], s[4:5]
	s_cbranch_execz .LBB17_17
; %bb.16:
	v_ashrrev_i32_e32 v11, 31, v10
	v_lshlrev_b64 v[8:9], 3, v[10:11]
	v_mov_b32_e32 v10, s23
	v_add_co_u32_e32 v8, vcc, s22, v8
	v_addc_co_u32_e32 v9, vcc, v10, v9, vcc
	v_mov_b32_e32 v10, v0
	v_mov_b32_e32 v11, v24
	global_store_dwordx2 v[8:9], v[10:11], off
.LBB17_17:
	s_or_b64 exec, exec, s[0:1]
	v_cndmask_b32_e64 v0, 0, 1, s[8:9]
	v_cmp_ne_u32_e64 s[0:1], 1, v0
	s_andn2_b64 vcc, exec, s[8:9]
	v_mov_b32_e32 v0, 1.0
	s_cbranch_vccnz .LBB17_19
; %bb.18:
	v_div_scale_f32 v0, s[8:9], v25, v25, 1.0
	v_rcp_f32_e32 v8, v0
	v_div_scale_f32 v9, vcc, 1.0, v25, 1.0
	v_fma_f32 v10, -v0, v8, 1.0
	v_fmac_f32_e32 v8, v10, v8
	v_mul_f32_e32 v10, v9, v8
	v_fma_f32 v11, -v0, v10, v9
	v_fmac_f32_e32 v10, v11, v8
	v_fma_f32 v0, -v0, v10, v9
	v_div_fmas_f32 v0, v0, v8, v10
	v_div_fixup_f32 v0, v0, v25, 1.0
.LBB17_19:
	s_add_i32 s13, s28, 1
	v_add_u32_e32 v8, s13, v12
	v_mul_lo_u32 v8, s6, v8
	v_add_u32_e32 v8, s7, v8
	v_cvt_f32_f16_sdwa v15, v117 dst_sel:DWORD dst_unused:UNUSED_PAD src0_sel:WORD_1
	v_cvt_f32_f16_e32 v14, v117
	v_lshl_add_u32 v10, v8, 6, v26
	v_mov_b32_e32 v11, 0
	v_lshlrev_b64 v[10:11], 2, v[10:11]
	v_mov_b32_e32 v9, s21
	v_add_co_u32_e32 v10, vcc, s20, v10
	v_addc_co_u32_e32 v11, vcc, v9, v11, vcc
	v_pk_mul_f32 v[14:15], v[0:1], v[14:15] op_sel_hi:[0,1]
	global_store_dwordx2 v[10:11], v[14:15], off
	s_and_saveexec_b64 s[8:9], s[4:5]
	s_cbranch_execz .LBB17_21
; %bb.20:
	v_ashrrev_i32_e32 v9, 31, v8
	v_lshlrev_b64 v[8:9], 3, v[8:9]
	v_mov_b32_e32 v0, s23
	v_add_co_u32_e32 v8, vcc, s22, v8
	v_addc_co_u32_e32 v9, vcc, v0, v9, vcc
	v_mov_b32_e32 v24, v1
	global_store_dwordx2 v[8:9], v[24:25], off
.LBB17_21:
	s_or_b64 exec, exec, s[8:9]
	s_and_b64 vcc, exec, s[0:1]
	v_mov_b32_e32 v8, 1.0
	s_cbranch_vccnz .LBB17_23
; %bb.22:
	v_div_scale_f32 v0, s[8:9], v22, v22, 1.0
	v_rcp_f32_e32 v1, v0
	v_div_scale_f32 v8, vcc, 1.0, v22, 1.0
	v_fma_f32 v9, -v0, v1, 1.0
	v_fmac_f32_e32 v1, v9, v1
	v_mul_f32_e32 v9, v8, v1
	v_fma_f32 v10, -v0, v9, v8
	v_fmac_f32_e32 v9, v10, v1
	v_fma_f32 v0, -v0, v9, v8
	v_div_fmas_f32 v0, v0, v1, v9
	v_div_fixup_f32 v8, v0, v22, 1.0
.LBB17_23:
	s_add_i32 s12, s28, 2
	v_add_u32_e32 v0, s12, v12
	v_mul_lo_u32 v0, s6, v0
	v_add_u32_e32 v0, s7, v0
	v_cvt_f32_f16_sdwa v15, v116 dst_sel:DWORD dst_unused:UNUSED_PAD src0_sel:WORD_1
	v_cvt_f32_f16_e32 v14, v116
	v_lshl_add_u32 v10, v0, 6, v26
	v_mov_b32_e32 v11, 0
	v_lshlrev_b64 v[10:11], 2, v[10:11]
	v_mov_b32_e32 v1, s21
	v_add_co_u32_e32 v10, vcc, s20, v10
	v_addc_co_u32_e32 v11, vcc, v1, v11, vcc
	v_pk_mul_f32 v[8:9], v[8:9], v[14:15] op_sel_hi:[0,1]
	global_store_dwordx2 v[10:11], v[8:9], off
	s_and_saveexec_b64 s[8:9], s[4:5]
	s_cbranch_execz .LBB17_25
; %bb.24:
	v_ashrrev_i32_e32 v1, 31, v0
	v_lshlrev_b64 v[0:1], 3, v[0:1]
	v_mov_b32_e32 v8, s23
	v_add_co_u32_e32 v0, vcc, s22, v0
	v_addc_co_u32_e32 v1, vcc, v8, v1, vcc
	v_mov_b32_e32 v8, v2
	v_mov_b32_e32 v9, v22
	global_store_dwordx2 v[0:1], v[8:9], off
.LBB17_25:
	s_or_b64 exec, exec, s[8:9]
	s_and_b64 vcc, exec, s[0:1]
	v_mov_b32_e32 v2, 1.0
	s_cbranch_vccnz .LBB17_27
; %bb.26:
	v_div_scale_f32 v0, s[8:9], v23, v23, 1.0
	v_rcp_f32_e32 v1, v0
	v_div_scale_f32 v2, vcc, 1.0, v23, 1.0
	v_fma_f32 v8, -v0, v1, 1.0
	v_fmac_f32_e32 v1, v8, v1
	v_mul_f32_e32 v8, v2, v1
	v_fma_f32 v9, -v0, v8, v2
	v_fmac_f32_e32 v8, v9, v1
	v_fma_f32 v0, -v0, v8, v2
	v_div_fmas_f32 v0, v0, v1, v8
	v_div_fixup_f32 v2, v0, v23, 1.0
.LBB17_27:
	s_add_i32 s11, s28, 3
	v_add_u32_e32 v0, s11, v12
	v_mul_lo_u32 v0, s6, v0
	v_add_u32_e32 v0, s7, v0
	v_cvt_f32_f16_sdwa v11, v114 dst_sel:DWORD dst_unused:UNUSED_PAD src0_sel:WORD_1
	v_cvt_f32_f16_e32 v10, v114
	v_lshl_add_u32 v8, v0, 6, v26
	v_mov_b32_e32 v9, 0
	v_lshlrev_b64 v[8:9], 2, v[8:9]
	v_mov_b32_e32 v1, s21
	v_add_co_u32_e32 v8, vcc, s20, v8
	v_addc_co_u32_e32 v9, vcc, v1, v9, vcc
	v_pk_mul_f32 v[10:11], v[2:3], v[10:11] op_sel_hi:[0,1]
	global_store_dwordx2 v[8:9], v[10:11], off
	s_and_saveexec_b64 s[8:9], s[4:5]
	s_cbranch_execz .LBB17_29
; %bb.28:
	v_ashrrev_i32_e32 v1, 31, v0
	v_lshlrev_b64 v[0:1], 3, v[0:1]
	v_mov_b32_e32 v2, s23
	v_add_co_u32_e32 v0, vcc, s22, v0
	v_addc_co_u32_e32 v1, vcc, v2, v1, vcc
	v_mov_b32_e32 v22, v3
	global_store_dwordx2 v[0:1], v[22:23], off
.LBB17_29:
	s_or_b64 exec, exec, s[8:9]
	v_cmp_gt_i32_e32 vcc, s2, v79
	s_and_b64 exec, exec, vcc
	s_cbranch_execz .LBB17_49
; %bb.30:
	s_and_b64 vcc, exec, s[0:1]
	v_mov_b32_e32 v0, 1.0
	s_cbranch_vccnz .LBB17_32
; %bb.31:
	v_div_scale_f32 v0, s[8:9], v20, v20, 1.0
	v_rcp_f32_e32 v1, v0
	v_div_scale_f32 v2, vcc, 1.0, v20, 1.0
	v_fma_f32 v3, -v0, v1, 1.0
	v_fmac_f32_e32 v1, v3, v1
	v_mul_f32_e32 v3, v2, v1
	v_fma_f32 v8, -v0, v3, v2
	v_fmac_f32_e32 v3, v8, v1
	v_fma_f32 v0, -v0, v3, v2
	v_div_fmas_f32 v0, v0, v1, v3
	v_div_fixup_f32 v0, v0, v20, 1.0
.LBB17_32:
	v_add_u32_e32 v1, s10, v78
	v_mul_lo_u32 v1, v1, s3
	v_add_u32_e32 v1, s28, v1
	v_mul_lo_u32 v1, s6, v1
	v_add_u32_e32 v2, s7, v1
	v_cvt_f32_f16_sdwa v11, v112 dst_sel:DWORD dst_unused:UNUSED_PAD src0_sel:WORD_1
	v_cvt_f32_f16_e32 v10, v112
	v_lshl_add_u32 v8, v2, 6, v26
	v_mov_b32_e32 v9, 0
	v_lshlrev_b64 v[8:9], 2, v[8:9]
	v_mov_b32_e32 v1, s21
	v_add_co_u32_e32 v8, vcc, s20, v8
	v_addc_co_u32_e32 v9, vcc, v1, v9, vcc
	v_pk_mul_f32 v[0:1], v[0:1], v[10:11] op_sel_hi:[0,1]
	global_store_dwordx2 v[8:9], v[0:1], off
	s_and_saveexec_b64 s[8:9], s[4:5]
	s_cbranch_execz .LBB17_34
; %bb.33:
	v_ashrrev_i32_e32 v3, 31, v2
	v_lshlrev_b64 v[0:1], 3, v[2:3]
	v_mov_b32_e32 v2, s23
	v_add_co_u32_e32 v0, vcc, s22, v0
	v_addc_co_u32_e32 v1, vcc, v2, v1, vcc
	v_mov_b32_e32 v2, v4
	v_mov_b32_e32 v3, v20
	global_store_dwordx2 v[0:1], v[2:3], off
.LBB17_34:
	s_or_b64 exec, exec, s[8:9]
	v_cmp_gt_i32_e32 vcc, s2, v77
	s_and_b64 exec, exec, vcc
	s_cbranch_execz .LBB17_49
; %bb.35:
	s_and_b64 vcc, exec, s[0:1]
	v_mov_b32_e32 v0, 1.0
	s_cbranch_vccnz .LBB17_37
; %bb.36:
	v_div_scale_f32 v0, s[8:9], v21, v21, 1.0
	v_rcp_f32_e32 v1, v0
	v_div_scale_f32 v2, vcc, 1.0, v21, 1.0
	v_fma_f32 v3, -v0, v1, 1.0
	v_fmac_f32_e32 v1, v3, v1
	v_mul_f32_e32 v3, v2, v1
	v_fma_f32 v4, -v0, v3, v2
	v_fmac_f32_e32 v3, v4, v1
	v_fma_f32 v0, -v0, v3, v2
	v_div_fmas_f32 v0, v0, v1, v3
	v_div_fixup_f32 v0, v0, v21, 1.0
.LBB17_37:
	v_add_u32_e32 v1, s10, v76
	v_mul_lo_u32 v1, v1, s3
	v_add_u32_e32 v1, s13, v1
	v_mul_lo_u32 v1, s6, v1
	v_add_u32_e32 v2, s7, v1
	v_cvt_f32_f16_sdwa v11, v111 dst_sel:DWORD dst_unused:UNUSED_PAD src0_sel:WORD_1
	v_cvt_f32_f16_e32 v10, v111
	v_lshl_add_u32 v8, v2, 6, v26
	v_mov_b32_e32 v9, 0
	v_lshlrev_b64 v[8:9], 2, v[8:9]
	v_mov_b32_e32 v1, s21
	v_add_co_u32_e32 v8, vcc, s20, v8
	v_addc_co_u32_e32 v9, vcc, v1, v9, vcc
	v_pk_mul_f32 v[0:1], v[0:1], v[10:11] op_sel_hi:[0,1]
	global_store_dwordx2 v[8:9], v[0:1], off
	s_and_saveexec_b64 s[8:9], s[4:5]
	s_cbranch_execz .LBB17_39
; %bb.38:
	v_ashrrev_i32_e32 v3, 31, v2
	v_lshlrev_b64 v[0:1], 3, v[2:3]
	v_mov_b32_e32 v2, s23
	v_add_co_u32_e32 v0, vcc, s22, v0
	v_addc_co_u32_e32 v1, vcc, v2, v1, vcc
	v_mov_b32_e32 v20, v5
	global_store_dwordx2 v[0:1], v[20:21], off
.LBB17_39:
	s_or_b64 exec, exec, s[8:9]
	v_cmp_gt_i32_e32 vcc, s2, v75
	s_and_b64 exec, exec, vcc
	s_cbranch_execz .LBB17_49
; %bb.40:
	s_and_b64 vcc, exec, s[0:1]
	v_mov_b32_e32 v0, 1.0
	s_cbranch_vccnz .LBB17_42
; %bb.41:
	v_div_scale_f32 v0, s[8:9], v18, v18, 1.0
	v_rcp_f32_e32 v1, v0
	v_div_scale_f32 v2, vcc, 1.0, v18, 1.0
	v_fma_f32 v3, -v0, v1, 1.0
	v_fmac_f32_e32 v1, v3, v1
	v_mul_f32_e32 v3, v2, v1
	v_fma_f32 v4, -v0, v3, v2
	v_fmac_f32_e32 v3, v4, v1
	v_fma_f32 v0, -v0, v3, v2
	v_div_fmas_f32 v0, v0, v1, v3
	v_div_fixup_f32 v0, v0, v18, 1.0
.LBB17_42:
	v_add_u32_e32 v1, s10, v74
	v_mul_lo_u32 v1, v1, s3
	v_add_u32_e32 v1, s12, v1
	v_mul_lo_u32 v1, s6, v1
	v_add_u32_e32 v2, s7, v1
	v_cvt_f32_f16_sdwa v9, v115 dst_sel:DWORD dst_unused:UNUSED_PAD src0_sel:WORD_1
	v_cvt_f32_f16_e32 v8, v115
	v_lshl_add_u32 v4, v2, 6, v26
	v_mov_b32_e32 v5, 0
	v_lshlrev_b64 v[4:5], 2, v[4:5]
	v_mov_b32_e32 v1, s21
	v_add_co_u32_e32 v4, vcc, s20, v4
	v_addc_co_u32_e32 v5, vcc, v1, v5, vcc
	v_pk_mul_f32 v[0:1], v[0:1], v[8:9] op_sel_hi:[0,1]
	global_store_dwordx2 v[4:5], v[0:1], off
	s_and_saveexec_b64 s[8:9], s[4:5]
	s_cbranch_execz .LBB17_44
; %bb.43:
	v_ashrrev_i32_e32 v3, 31, v2
	v_lshlrev_b64 v[0:1], 3, v[2:3]
	v_mov_b32_e32 v2, s23
	v_add_co_u32_e32 v0, vcc, s22, v0
	v_addc_co_u32_e32 v1, vcc, v2, v1, vcc
	v_mov_b32_e32 v2, v6
	v_mov_b32_e32 v3, v18
	global_store_dwordx2 v[0:1], v[2:3], off
.LBB17_44:
	s_or_b64 exec, exec, s[8:9]
	v_cmp_gt_i32_e32 vcc, s2, v73
	s_and_b64 exec, exec, vcc
	s_cbranch_execz .LBB17_49
; %bb.45:
	s_and_b64 vcc, exec, s[0:1]
	v_mov_b32_e32 v0, 1.0
	s_cbranch_vccnz .LBB17_47
; %bb.46:
	v_div_scale_f32 v0, s[0:1], v19, v19, 1.0
	v_rcp_f32_e32 v1, v0
	v_div_scale_f32 v2, vcc, 1.0, v19, 1.0
	v_fma_f32 v3, -v0, v1, 1.0
	v_fmac_f32_e32 v1, v3, v1
	v_mul_f32_e32 v3, v2, v1
	v_fma_f32 v4, -v0, v3, v2
	v_fmac_f32_e32 v3, v4, v1
	v_fma_f32 v0, -v0, v3, v2
	v_div_fmas_f32 v0, v0, v1, v3
	v_div_fixup_f32 v0, v0, v19, 1.0
.LBB17_47:
	v_add_u32_e32 v1, s10, v72
	v_mul_lo_u32 v1, v1, s3
	v_add_u32_e32 v1, s11, v1
	v_mul_lo_u32 v1, s6, v1
	v_add_u32_e32 v2, s7, v1
	v_cvt_f32_f16_sdwa v9, v113 dst_sel:DWORD dst_unused:UNUSED_PAD src0_sel:WORD_1
	v_cvt_f32_f16_e32 v8, v113
	v_lshl_add_u32 v4, v2, 6, v26
	v_mov_b32_e32 v5, 0
	v_lshlrev_b64 v[4:5], 2, v[4:5]
	v_mov_b32_e32 v1, s21
	v_add_co_u32_e32 v4, vcc, s20, v4
	v_addc_co_u32_e32 v5, vcc, v1, v5, vcc
	v_pk_mul_f32 v[0:1], v[0:1], v[8:9] op_sel_hi:[0,1]
	global_store_dwordx2 v[4:5], v[0:1], off
	s_and_b64 exec, exec, s[4:5]
	s_cbranch_execz .LBB17_49
; %bb.48:
	v_ashrrev_i32_e32 v3, 31, v2
	v_lshlrev_b64 v[0:1], 3, v[2:3]
	v_mov_b32_e32 v2, s23
	v_add_co_u32_e32 v0, vcc, s22, v0
	v_addc_co_u32_e32 v1, vcc, v2, v1, vcc
	v_mov_b32_e32 v18, v7
	global_store_dwordx2 v[0:1], v[18:19], off
.LBB17_49:
	s_endpgm
	.section	.rodata,"a",@progbits
	.p2align	6, 0x0
	.amdhsa_kernel _ZL15flash_attn_tileILi64ELi64ELi16ELi4ELb0EEvPKcS1_S1_S1_S1_PKiPfP15HIP_vector_typeIfLj2EEffffjfiS5_IjLj3EEiiiiiiiiiiiliiliiiiil
		.amdhsa_group_segment_fixed_size 25600
		.amdhsa_private_segment_fixed_size 0
		.amdhsa_kernarg_size 464
		.amdhsa_user_sgpr_count 6
		.amdhsa_user_sgpr_private_segment_buffer 1
		.amdhsa_user_sgpr_dispatch_ptr 0
		.amdhsa_user_sgpr_queue_ptr 0
		.amdhsa_user_sgpr_kernarg_segment_ptr 1
		.amdhsa_user_sgpr_dispatch_id 0
		.amdhsa_user_sgpr_flat_scratch_init 0
		.amdhsa_user_sgpr_kernarg_preload_length 0
		.amdhsa_user_sgpr_kernarg_preload_offset 0
		.amdhsa_user_sgpr_private_segment_size 0
		.amdhsa_uses_dynamic_stack 0
		.amdhsa_system_sgpr_private_segment_wavefront_offset 0
		.amdhsa_system_sgpr_workgroup_id_x 1
		.amdhsa_system_sgpr_workgroup_id_y 1
		.amdhsa_system_sgpr_workgroup_id_z 1
		.amdhsa_system_sgpr_workgroup_info 0
		.amdhsa_system_vgpr_workitem_id 1
		.amdhsa_next_free_vgpr 136
		.amdhsa_next_free_sgpr 42
		.amdhsa_accum_offset 136
		.amdhsa_reserve_vcc 1
		.amdhsa_reserve_flat_scratch 0
		.amdhsa_float_round_mode_32 0
		.amdhsa_float_round_mode_16_64 0
		.amdhsa_float_denorm_mode_32 3
		.amdhsa_float_denorm_mode_16_64 3
		.amdhsa_dx10_clamp 1
		.amdhsa_ieee_mode 1
		.amdhsa_fp16_overflow 0
		.amdhsa_tg_split 0
		.amdhsa_exception_fp_ieee_invalid_op 0
		.amdhsa_exception_fp_denorm_src 0
		.amdhsa_exception_fp_ieee_div_zero 0
		.amdhsa_exception_fp_ieee_overflow 0
		.amdhsa_exception_fp_ieee_underflow 0
		.amdhsa_exception_fp_ieee_inexact 0
		.amdhsa_exception_int_div_zero 0
	.end_amdhsa_kernel
	.section	.text._ZL15flash_attn_tileILi64ELi64ELi16ELi4ELb0EEvPKcS1_S1_S1_S1_PKiPfP15HIP_vector_typeIfLj2EEffffjfiS5_IjLj3EEiiiiiiiiiiiliiliiiiil,"axG",@progbits,_ZL15flash_attn_tileILi64ELi64ELi16ELi4ELb0EEvPKcS1_S1_S1_S1_PKiPfP15HIP_vector_typeIfLj2EEffffjfiS5_IjLj3EEiiiiiiiiiiiliiliiiiil,comdat
.Lfunc_end17:
	.size	_ZL15flash_attn_tileILi64ELi64ELi16ELi4ELb0EEvPKcS1_S1_S1_S1_PKiPfP15HIP_vector_typeIfLj2EEffffjfiS5_IjLj3EEiiiiiiiiiiiliiliiiiil, .Lfunc_end17-_ZL15flash_attn_tileILi64ELi64ELi16ELi4ELb0EEvPKcS1_S1_S1_S1_PKiPfP15HIP_vector_typeIfLj2EEffffjfiS5_IjLj3EEiiiiiiiiiiiliiliiiiil
                                        ; -- End function
	.section	.AMDGPU.csdata,"",@progbits
; Kernel info:
; codeLenInByte = 20056
; NumSgprs: 46
; NumVgprs: 136
; NumAgprs: 0
; TotalNumVgprs: 136
; ScratchSize: 0
; MemoryBound: 0
; FloatMode: 240
; IeeeMode: 1
; LDSByteSize: 25600 bytes/workgroup (compile time only)
; SGPRBlocks: 5
; VGPRBlocks: 16
; NumSGPRsForWavesPerEU: 46
; NumVGPRsForWavesPerEU: 136
; AccumOffset: 136
; Occupancy: 2
; WaveLimiterHint : 1
; COMPUTE_PGM_RSRC2:SCRATCH_EN: 0
; COMPUTE_PGM_RSRC2:USER_SGPR: 6
; COMPUTE_PGM_RSRC2:TRAP_HANDLER: 0
; COMPUTE_PGM_RSRC2:TGID_X_EN: 1
; COMPUTE_PGM_RSRC2:TGID_Y_EN: 1
; COMPUTE_PGM_RSRC2:TGID_Z_EN: 1
; COMPUTE_PGM_RSRC2:TIDIG_COMP_CNT: 1
; COMPUTE_PGM_RSRC3_GFX90A:ACCUM_OFFSET: 33
; COMPUTE_PGM_RSRC3_GFX90A:TG_SPLIT: 0
	.section	.text._ZL25flash_attn_mask_to_KV_maxILi16EEvPK7__half2Piiii,"axG",@progbits,_ZL25flash_attn_mask_to_KV_maxILi16EEvPK7__half2Piiii,comdat
	.globl	_ZL25flash_attn_mask_to_KV_maxILi16EEvPK7__half2Piiii ; -- Begin function _ZL25flash_attn_mask_to_KV_maxILi16EEvPK7__half2Piiii
	.p2align	8
	.type	_ZL25flash_attn_mask_to_KV_maxILi16EEvPK7__half2Piiii,@function
_ZL25flash_attn_mask_to_KV_maxILi16EEvPK7__half2Piiii: ; @_ZL25flash_attn_mask_to_KV_maxILi16EEvPK7__half2Piiii
; %bb.0:
	s_load_dwordx4 s[8:11], s[4:5], 0x0
	v_cmp_gt_u32_e32 vcc, 32, v0
	s_and_saveexec_b64 s[0:1], vcc
	s_cbranch_execz .LBB18_2
; %bb.1:
	v_lshlrev_b32_e32 v1, 2, v0
	v_mov_b32_e32 v2, 1
	ds_write_b32 v1, v2
.LBB18_2:
	s_or_b64 exec, exec, s[0:1]
	s_load_dwordx4 s[12:15], s[4:5], 0x10
	s_load_dword s33, s[4:5], 0x20
	v_and_b32_e32 v2, 31, v0
	v_lshlrev_b32_e32 v6, 2, v2
	v_lshrrev_b32_e32 v1, 3, v0
	s_waitcnt lgkmcnt(0)
	s_mul_i32 s1, s6, s13
	s_mul_i32 s0, s7, s14
	s_lshl_b32 s1, s1, 4
	s_add_i32 s0, s0, s1
	s_ashr_i32 s1, s0, 31
	s_lshl_b64 s[0:1], s[0:1], 2
	s_add_u32 s74, s8, s0
	s_addc_u32 s75, s9, s1
	v_cmp_eq_u32_e64 s[0:1], 0, v2
	v_mbcnt_lo_u32_b32 v2, -1, 0
	s_lshl_b32 s12, s12, 8
	s_mov_b64 s[4:5], 0
	v_mov_b32_e32 v3, 0
	s_movk_i32 s76, 0x204
	s_movk_i32 s77, 0x7fff
	;; [unrolled: 1-line block ×3, first 2 shown]
	v_mbcnt_hi_u32_b32 v7, -1, v2
	s_barrier
	s_waitcnt lgkmcnt(0)
                                        ; implicit-def: $sgpr2_sgpr3
	s_branch .LBB18_5
.LBB18_3:                               ;   in Loop: Header=BB18_5 Depth=1
	s_or_b64 exec, exec, s[8:9]
	s_waitcnt lgkmcnt(0)
	s_barrier
	ds_read_b32 v10, v6
	s_waitcnt lgkmcnt(0)
	s_barrier
	ds_bpermute_b32 v2, v2, v10
	v_cmp_ne_u32_e32 vcc, 0, v10
	s_waitcnt lgkmcnt(0)
	v_cmp_ne_u32_e64 s[2:3], 0, v2
	s_and_b64 s[2:3], vcc, s[2:3]
	v_cndmask_b32_e64 v2, 0, 1, s[2:3]
	ds_bpermute_b32 v2, v4, v2
	s_waitcnt lgkmcnt(0)
	v_cmp_ne_u32_e32 vcc, 0, v2
	s_and_b64 s[2:3], vcc, s[2:3]
	v_cndmask_b32_e64 v2, 0, 1, s[2:3]
	ds_bpermute_b32 v2, v5, v2
	s_waitcnt lgkmcnt(0)
	v_cmp_ne_u32_e32 vcc, 0, v2
	;; [unrolled: 5-line block ×3, first 2 shown]
	s_and_b64 s[2:3], vcc, s[2:3]
	v_cndmask_b32_e64 v2, 0, 1, s[2:3]
	ds_bpermute_b32 v2, v9, v2
	s_xor_b64 s[2:3], s[2:3], -1
	s_waitcnt lgkmcnt(0)
	v_cmp_eq_u32_e32 vcc, 0, v2
	s_or_b64 s[2:3], vcc, s[2:3]
.LBB18_4:                               ;   in Loop: Header=BB18_5 Depth=1
	s_and_b64 s[8:9], exec, s[2:3]
	s_or_b64 s[4:5], s[8:9], s[4:5]
	v_mov_b32_e32 v2, s12
	s_mov_b32 s12, s79
	s_andn2_b64 exec, exec, s[4:5]
	s_cbranch_execz .LBB18_68
.LBB18_5:                               ; =>This Inner Loop Header: Depth=1
	s_add_i32 s79, s12, 0xffffff00
	s_or_b64 s[2:3], s[2:3], exec
	s_cmp_lt_i32 s79, 0
	s_cbranch_scc1 .LBB18_4
; %bb.6:                                ;   in Loop: Header=BB18_5 Depth=1
	s_lshr_b32 s2, s79, 1
	v_add_u32_e32 v2, s2, v0
	v_lshlrev_b64 v[4:5], 2, v[2:3]
	v_mov_b32_e32 v8, s75
	v_add_co_u32_e32 v4, vcc, s74, v4
	v_addc_co_u32_e32 v5, vcc, v8, v5, vcc
	global_load_dword v4, v[4:5], off
	s_mov_b64 s[8:9], 0
	s_waitcnt vmcnt(0)
	v_cmp_class_f16_e64 s[2:3], v4, s76
	v_and_b32_sdwa v4, s77, v4 dst_sel:DWORD dst_unused:UNUSED_PAD src0_sel:DWORD src1_sel:WORD_1
	v_cmp_eq_f16_e32 vcc, s78, v4
	s_and_b64 s[14:15], s[2:3], vcc
	s_and_saveexec_b64 s[2:3], s[14:15]
	s_cbranch_execz .LBB18_66
; %bb.7:                                ;   in Loop: Header=BB18_5 Depth=1
	v_add_u32_e32 v4, s13, v2
	v_ashrrev_i32_e32 v5, 31, v4
	v_lshlrev_b64 v[8:9], 2, v[4:5]
	v_mov_b32_e32 v2, s75
	v_add_co_u32_e32 v8, vcc, s74, v8
	v_addc_co_u32_e32 v9, vcc, v2, v9, vcc
	global_load_dword v2, v[8:9], off
	s_mov_b64 s[14:15], 0
	s_waitcnt vmcnt(0)
	v_cmp_class_f16_e64 s[16:17], v2, s76
	s_and_saveexec_b64 s[8:9], s[16:17]
	s_cbranch_execz .LBB18_65
; %bb.8:                                ;   in Loop: Header=BB18_5 Depth=1
	v_cmp_class_f16_sdwa s[18:19], v2, s76 src0_sel:WORD_1 src1_sel:DWORD
	s_mov_b64 s[16:17], 0
	s_and_saveexec_b64 s[14:15], s[18:19]
	s_cbranch_execz .LBB18_64
; %bb.9:                                ;   in Loop: Header=BB18_5 Depth=1
	v_add_u32_e32 v4, s13, v4
	v_ashrrev_i32_e32 v5, 31, v4
	v_lshlrev_b64 v[8:9], 2, v[4:5]
	v_mov_b32_e32 v2, s75
	v_add_co_u32_e32 v8, vcc, s74, v8
	v_addc_co_u32_e32 v9, vcc, v2, v9, vcc
	global_load_dword v2, v[8:9], off
	s_mov_b64 s[18:19], 0
	s_waitcnt vmcnt(0)
	v_cmp_class_f16_e64 s[20:21], v2, s76
	s_and_saveexec_b64 s[16:17], s[20:21]
	s_cbranch_execz .LBB18_63
; %bb.10:                               ;   in Loop: Header=BB18_5 Depth=1
	v_cmp_class_f16_sdwa s[22:23], v2, s76 src0_sel:WORD_1 src1_sel:DWORD
	s_mov_b64 s[20:21], 0
	s_and_saveexec_b64 s[18:19], s[22:23]
	s_cbranch_execz .LBB18_62
; %bb.11:                               ;   in Loop: Header=BB18_5 Depth=1
	v_add_u32_e32 v4, s13, v4
	v_ashrrev_i32_e32 v5, 31, v4
	v_lshlrev_b64 v[8:9], 2, v[4:5]
	v_mov_b32_e32 v2, s75
	v_add_co_u32_e32 v8, vcc, s74, v8
	v_addc_co_u32_e32 v9, vcc, v2, v9, vcc
	global_load_dword v2, v[8:9], off
	s_mov_b64 s[22:23], 0
	s_waitcnt vmcnt(0)
	v_cmp_class_f16_e64 s[24:25], v2, s76
	s_and_saveexec_b64 s[20:21], s[24:25]
	s_cbranch_execz .LBB18_61
; %bb.12:                               ;   in Loop: Header=BB18_5 Depth=1
	v_cmp_class_f16_sdwa s[26:27], v2, s76 src0_sel:WORD_1 src1_sel:DWORD
	s_mov_b64 s[24:25], 0
	s_and_saveexec_b64 s[22:23], s[26:27]
	s_cbranch_execz .LBB18_60
; %bb.13:                               ;   in Loop: Header=BB18_5 Depth=1
	;; [unrolled: 18-line block ×13, first 2 shown]
	v_add_u32_e32 v4, s13, v4
	v_ashrrev_i32_e32 v5, 31, v4
	v_lshlrev_b64 v[4:5], 2, v[4:5]
	v_mov_b32_e32 v2, s75
	v_add_co_u32_e32 v4, vcc, s74, v4
	v_addc_co_u32_e32 v5, vcc, v2, v5, vcc
	global_load_dword v2, v[4:5], off
	s_waitcnt vmcnt(0)
	v_cmp_class_f16_e64 s[80:81], v2, s76
	s_and_saveexec_b64 s[72:73], s[80:81]
; %bb.36:                               ;   in Loop: Header=BB18_5 Depth=1
	v_cmp_class_f16_sdwa s[70:71], v2, s76 src0_sel:WORD_1 src1_sel:DWORD
	s_and_b64 s[70:71], s[70:71], exec
; %bb.37:                               ;   in Loop: Header=BB18_5 Depth=1
	s_or_b64 exec, exec, s[72:73]
	s_and_b64 s[70:71], s[70:71], exec
.LBB18_38:                              ;   in Loop: Header=BB18_5 Depth=1
	s_or_b64 exec, exec, s[68:69]
	s_and_b64 s[68:69], s[70:71], exec
.LBB18_39:                              ;   in Loop: Header=BB18_5 Depth=1
	s_or_b64 exec, exec, s[66:67]
	s_and_b64 s[66:67], s[68:69], exec
.LBB18_40:                              ;   in Loop: Header=BB18_5 Depth=1
	s_or_b64 exec, exec, s[64:65]
	s_and_b64 s[64:65], s[66:67], exec
.LBB18_41:                              ;   in Loop: Header=BB18_5 Depth=1
	s_or_b64 exec, exec, s[62:63]
	s_and_b64 s[62:63], s[64:65], exec
.LBB18_42:                              ;   in Loop: Header=BB18_5 Depth=1
	s_or_b64 exec, exec, s[60:61]
	s_and_b64 s[60:61], s[62:63], exec
.LBB18_43:                              ;   in Loop: Header=BB18_5 Depth=1
	s_or_b64 exec, exec, s[58:59]
	s_and_b64 s[58:59], s[60:61], exec
.LBB18_44:                              ;   in Loop: Header=BB18_5 Depth=1
	s_or_b64 exec, exec, s[56:57]
	s_and_b64 s[56:57], s[58:59], exec
.LBB18_45:                              ;   in Loop: Header=BB18_5 Depth=1
	s_or_b64 exec, exec, s[54:55]
	s_and_b64 s[54:55], s[56:57], exec
.LBB18_46:                              ;   in Loop: Header=BB18_5 Depth=1
	s_or_b64 exec, exec, s[52:53]
	s_and_b64 s[52:53], s[54:55], exec
.LBB18_47:                              ;   in Loop: Header=BB18_5 Depth=1
	s_or_b64 exec, exec, s[50:51]
	s_and_b64 s[50:51], s[52:53], exec
.LBB18_48:                              ;   in Loop: Header=BB18_5 Depth=1
	s_or_b64 exec, exec, s[48:49]
	s_and_b64 s[48:49], s[50:51], exec
.LBB18_49:                              ;   in Loop: Header=BB18_5 Depth=1
	s_or_b64 exec, exec, s[46:47]
	s_and_b64 s[46:47], s[48:49], exec
.LBB18_50:                              ;   in Loop: Header=BB18_5 Depth=1
	s_or_b64 exec, exec, s[44:45]
	s_and_b64 s[44:45], s[46:47], exec
.LBB18_51:                              ;   in Loop: Header=BB18_5 Depth=1
	s_or_b64 exec, exec, s[42:43]
	s_and_b64 s[42:43], s[44:45], exec
.LBB18_52:                              ;   in Loop: Header=BB18_5 Depth=1
	s_or_b64 exec, exec, s[40:41]
	s_and_b64 s[40:41], s[42:43], exec
.LBB18_53:                              ;   in Loop: Header=BB18_5 Depth=1
	s_or_b64 exec, exec, s[38:39]
	s_and_b64 s[38:39], s[40:41], exec
.LBB18_54:                              ;   in Loop: Header=BB18_5 Depth=1
	s_or_b64 exec, exec, s[36:37]
	s_and_b64 s[36:37], s[38:39], exec
.LBB18_55:                              ;   in Loop: Header=BB18_5 Depth=1
	s_or_b64 exec, exec, s[34:35]
	s_and_b64 s[34:35], s[36:37], exec
.LBB18_56:                              ;   in Loop: Header=BB18_5 Depth=1
	s_or_b64 exec, exec, s[30:31]
	s_and_b64 s[30:31], s[34:35], exec
.LBB18_57:                              ;   in Loop: Header=BB18_5 Depth=1
	s_or_b64 exec, exec, s[28:29]
	s_and_b64 s[28:29], s[30:31], exec
.LBB18_58:                              ;   in Loop: Header=BB18_5 Depth=1
	s_or_b64 exec, exec, s[26:27]
	s_and_b64 s[26:27], s[28:29], exec
.LBB18_59:                              ;   in Loop: Header=BB18_5 Depth=1
	s_or_b64 exec, exec, s[24:25]
	s_and_b64 s[24:25], s[26:27], exec
.LBB18_60:                              ;   in Loop: Header=BB18_5 Depth=1
	s_or_b64 exec, exec, s[22:23]
	s_and_b64 s[22:23], s[24:25], exec
.LBB18_61:                              ;   in Loop: Header=BB18_5 Depth=1
	s_or_b64 exec, exec, s[20:21]
	s_and_b64 s[20:21], s[22:23], exec
.LBB18_62:                              ;   in Loop: Header=BB18_5 Depth=1
	s_or_b64 exec, exec, s[18:19]
	s_and_b64 s[18:19], s[20:21], exec
.LBB18_63:                              ;   in Loop: Header=BB18_5 Depth=1
	s_or_b64 exec, exec, s[16:17]
	s_and_b64 s[16:17], s[18:19], exec
.LBB18_64:                              ;   in Loop: Header=BB18_5 Depth=1
	s_or_b64 exec, exec, s[14:15]
	s_and_b64 s[14:15], s[16:17], exec
.LBB18_65:                              ;   in Loop: Header=BB18_5 Depth=1
	s_or_b64 exec, exec, s[8:9]
	s_and_b64 s[8:9], s[14:15], exec
.LBB18_66:                              ;   in Loop: Header=BB18_5 Depth=1
	s_or_b64 exec, exec, s[2:3]
	v_and_b32_e32 v2, 0x60, v7
	v_add_u32_e32 v9, 32, v2
	v_xor_b32_e32 v2, 16, v7
	v_cmp_lt_i32_e32 vcc, v2, v9
	v_cndmask_b32_e32 v2, v7, v2, vcc
	v_cndmask_b32_e64 v4, 0, 1, s[8:9]
	v_lshlrev_b32_e32 v2, 2, v2
	ds_bpermute_b32 v4, v2, v4
	v_xor_b32_e32 v11, 1, v7
	s_waitcnt lgkmcnt(0)
	v_cmp_ne_u32_e32 vcc, 0, v4
	v_xor_b32_e32 v4, 8, v7
	s_and_b64 s[2:3], s[8:9], vcc
	v_cmp_lt_i32_e32 vcc, v4, v9
	v_cndmask_b32_e32 v4, v7, v4, vcc
	v_cndmask_b32_e64 v5, 0, 1, s[2:3]
	v_lshlrev_b32_e32 v4, 2, v4
	ds_bpermute_b32 v5, v4, v5
	s_waitcnt lgkmcnt(0)
	v_cmp_ne_u32_e32 vcc, 0, v5
	v_xor_b32_e32 v5, 4, v7
	s_and_b64 s[2:3], vcc, s[2:3]
	v_cmp_lt_i32_e32 vcc, v5, v9
	v_cndmask_b32_e32 v5, v7, v5, vcc
	v_cndmask_b32_e64 v8, 0, 1, s[2:3]
	v_lshlrev_b32_e32 v5, 2, v5
	ds_bpermute_b32 v8, v5, v8
	s_waitcnt lgkmcnt(0)
	v_cmp_ne_u32_e32 vcc, 0, v8
	v_xor_b32_e32 v8, 2, v7
	s_and_b64 s[2:3], vcc, s[2:3]
	v_cmp_lt_i32_e32 vcc, v8, v9
	v_cndmask_b32_e32 v8, v7, v8, vcc
	v_cndmask_b32_e64 v10, 0, 1, s[2:3]
	v_lshlrev_b32_e32 v8, 2, v8
	ds_bpermute_b32 v10, v8, v10
	s_waitcnt lgkmcnt(0)
	v_cmp_ne_u32_e32 vcc, 0, v10
	s_and_b64 s[2:3], vcc, s[2:3]
	v_cmp_lt_i32_e32 vcc, v11, v9
	v_cndmask_b32_e32 v9, v7, v11, vcc
	v_cndmask_b32_e64 v10, 0, 1, s[2:3]
	v_lshlrev_b32_e32 v9, 2, v9
	ds_bpermute_b32 v10, v9, v10
	s_and_saveexec_b64 s[8:9], s[0:1]
	s_cbranch_execz .LBB18_3
; %bb.67:                               ;   in Loop: Header=BB18_5 Depth=1
	s_waitcnt lgkmcnt(0)
	v_cmp_ne_u32_e32 vcc, 0, v10
	s_and_b64 s[2:3], vcc, s[2:3]
	v_cndmask_b32_e64 v10, 0, 1, s[2:3]
	ds_write_b32 v1, v10
	s_branch .LBB18_3
.LBB18_68:
	s_or_b64 exec, exec, s[4:5]
	v_cmp_eq_u32_e32 vcc, 0, v0
	s_and_saveexec_b64 s[0:1], vcc
	s_cbranch_execz .LBB18_70
; %bb.69:
	s_mul_i32 s0, s33, s7
	s_add_i32 s0, s0, s6
	s_ashr_i32 s1, s0, 31
	s_lshl_b64 s[0:1], s[0:1], 2
	s_add_u32 s0, s10, s0
	s_addc_u32 s1, s11, s1
	v_mov_b32_e32 v0, 0
	global_store_dword v0, v2, s[0:1]
.LBB18_70:
	s_endpgm
	.section	.rodata,"a",@progbits
	.p2align	6, 0x0
	.amdhsa_kernel _ZL25flash_attn_mask_to_KV_maxILi16EEvPK7__half2Piiii
		.amdhsa_group_segment_fixed_size 128
		.amdhsa_private_segment_fixed_size 0
		.amdhsa_kernarg_size 288
		.amdhsa_user_sgpr_count 6
		.amdhsa_user_sgpr_private_segment_buffer 1
		.amdhsa_user_sgpr_dispatch_ptr 0
		.amdhsa_user_sgpr_queue_ptr 0
		.amdhsa_user_sgpr_kernarg_segment_ptr 1
		.amdhsa_user_sgpr_dispatch_id 0
		.amdhsa_user_sgpr_flat_scratch_init 0
		.amdhsa_user_sgpr_kernarg_preload_length 0
		.amdhsa_user_sgpr_kernarg_preload_offset 0
		.amdhsa_user_sgpr_private_segment_size 0
		.amdhsa_uses_dynamic_stack 0
		.amdhsa_system_sgpr_private_segment_wavefront_offset 0
		.amdhsa_system_sgpr_workgroup_id_x 1
		.amdhsa_system_sgpr_workgroup_id_y 1
		.amdhsa_system_sgpr_workgroup_id_z 0
		.amdhsa_system_sgpr_workgroup_info 0
		.amdhsa_system_vgpr_workitem_id 0
		.amdhsa_next_free_vgpr 12
		.amdhsa_next_free_sgpr 82
		.amdhsa_accum_offset 12
		.amdhsa_reserve_vcc 1
		.amdhsa_reserve_flat_scratch 0
		.amdhsa_float_round_mode_32 0
		.amdhsa_float_round_mode_16_64 0
		.amdhsa_float_denorm_mode_32 3
		.amdhsa_float_denorm_mode_16_64 3
		.amdhsa_dx10_clamp 1
		.amdhsa_ieee_mode 1
		.amdhsa_fp16_overflow 0
		.amdhsa_tg_split 0
		.amdhsa_exception_fp_ieee_invalid_op 0
		.amdhsa_exception_fp_denorm_src 0
		.amdhsa_exception_fp_ieee_div_zero 0
		.amdhsa_exception_fp_ieee_overflow 0
		.amdhsa_exception_fp_ieee_underflow 0
		.amdhsa_exception_fp_ieee_inexact 0
		.amdhsa_exception_int_div_zero 0
	.end_amdhsa_kernel
	.section	.text._ZL25flash_attn_mask_to_KV_maxILi16EEvPK7__half2Piiii,"axG",@progbits,_ZL25flash_attn_mask_to_KV_maxILi16EEvPK7__half2Piiii,comdat
.Lfunc_end18:
	.size	_ZL25flash_attn_mask_to_KV_maxILi16EEvPK7__half2Piiii, .Lfunc_end18-_ZL25flash_attn_mask_to_KV_maxILi16EEvPK7__half2Piiii
                                        ; -- End function
	.section	.AMDGPU.csdata,"",@progbits
; Kernel info:
; codeLenInByte = 2192
; NumSgprs: 86
; NumVgprs: 12
; NumAgprs: 0
; TotalNumVgprs: 12
; ScratchSize: 0
; MemoryBound: 0
; FloatMode: 240
; IeeeMode: 1
; LDSByteSize: 128 bytes/workgroup (compile time only)
; SGPRBlocks: 10
; VGPRBlocks: 1
; NumSGPRsForWavesPerEU: 86
; NumVGPRsForWavesPerEU: 12
; AccumOffset: 12
; Occupancy: 8
; WaveLimiterHint : 0
; COMPUTE_PGM_RSRC2:SCRATCH_EN: 0
; COMPUTE_PGM_RSRC2:USER_SGPR: 6
; COMPUTE_PGM_RSRC2:TRAP_HANDLER: 0
; COMPUTE_PGM_RSRC2:TGID_X_EN: 1
; COMPUTE_PGM_RSRC2:TGID_Y_EN: 1
; COMPUTE_PGM_RSRC2:TGID_Z_EN: 0
; COMPUTE_PGM_RSRC2:TIDIG_COMP_CNT: 0
; COMPUTE_PGM_RSRC3_GFX90A:ACCUM_OFFSET: 2
; COMPUTE_PGM_RSRC3_GFX90A:TG_SPLIT: 0
	.section	.text._ZL33flash_attn_stream_k_fixup_uniformILi64ELi16ELi4EEvPfPK15HIP_vector_typeIfLj2EEiiiiiiS1_IjLj3EES5_S5_,"axG",@progbits,_ZL33flash_attn_stream_k_fixup_uniformILi64ELi16ELi4EEvPfPK15HIP_vector_typeIfLj2EEiiiiiiS1_IjLj3EES5_S5_,comdat
	.globl	_ZL33flash_attn_stream_k_fixup_uniformILi64ELi16ELi4EEvPfPK15HIP_vector_typeIfLj2EEiiiiiiS1_IjLj3EES5_S5_ ; -- Begin function _ZL33flash_attn_stream_k_fixup_uniformILi64ELi16ELi4EEvPfPK15HIP_vector_typeIfLj2EEiiiiiiS1_IjLj3EES5_S5_
	.p2align	8
	.type	_ZL33flash_attn_stream_k_fixup_uniformILi64ELi16ELi4EEvPfPK15HIP_vector_typeIfLj2EEiiiiiiS1_IjLj3EES5_S5_,@function
_ZL33flash_attn_stream_k_fixup_uniformILi64ELi16ELi4EEvPfPK15HIP_vector_typeIfLj2EEiiiiiiS1_IjLj3EES5_S5_: ; @_ZL33flash_attn_stream_k_fixup_uniformILi64ELi16ELi4EEvPfPK15HIP_vector_typeIfLj2EEiiiiiiS1_IjLj3EES5_S5_
; %bb.0:
	s_load_dwordx8 s[12:19], s[4:5], 0x1c
	s_load_dwordx2 s[10:11], s[4:5], 0x10
	s_load_dwordx4 s[0:3], s[4:5], 0x3c
	s_waitcnt lgkmcnt(0)
	s_mul_hi_u32 s9, s15, s6
	s_add_i32 s9, s6, s9
	s_lshr_b32 s9, s9, s16
	s_mul_i32 s15, s9, s17
	s_sub_i32 s15, s6, s15
	s_mul_hi_u32 s16, s15, s18
	s_add_i32 s16, s15, s16
	s_lshr_b32 s16, s16, s19
	s_mul_i32 s0, s16, s0
	s_sub_i32 s0, s15, s0
	;; [unrolled: 5-line block ×3, first 2 shown]
	s_lshl_b32 s0, s17, 4
	s_lshl_b32 s15, s1, 2
	s_add_i32 s0, s0, s7
	s_cmp_lt_i32 s0, s10
	s_cselect_b64 s[0:1], -1, 0
	s_add_i32 s2, s15, s8
	s_cmp_lt_i32 s2, s13
	s_cselect_b64 s[2:3], -1, 0
	s_and_b64 s[0:1], s[0:1], s[2:3]
	s_andn2_b64 vcc, exec, s[0:1]
	s_cbranch_vccnz .LBB19_6
; %bb.1:
	s_load_dwordx4 s[0:3], s[4:5], 0x0
	s_mul_i32 s4, s9, s10
	s_add_i32 s4, s4, s7
	s_mul_i32 s4, s4, s11
	s_mul_i32 s16, s16, s13
	s_add_i32 s4, s4, s8
	s_add_i32 s4, s4, s16
	s_mul_i32 s5, s11, s17
	s_add_i32 s4, s4, s15
	s_lshl_b32 s5, s5, 10
	s_lshl_b32 s4, s4, 6
	s_add_i32 s5, s5, s4
	v_or_b32_e32 v2, s5, v0
	v_ashrrev_i32_e32 v3, 31, v2
	v_lshlrev_b64 v[2:3], 2, v[2:3]
	s_waitcnt lgkmcnt(0)
	v_mov_b32_e32 v1, s1
	v_add_co_u32_e32 v2, vcc, s0, v2
	v_addc_co_u32_e32 v3, vcc, v1, v3, vcc
	global_load_dword v8, v[2:3], off
	s_mul_i32 s9, s6, s14
	s_lshl_b32 s4, s7, 2
	s_add_i32 s11, s9, s14
	s_add_i32 s0, s4, s8
	s_lshl_b32 s1, s11, 6
	s_add_i32 s0, s0, s1
	s_sub_i32 s0, s0, 64
	s_ashr_i32 s1, s0, 31
	s_lshl_b64 s[0:1], s[0:1], 3
	s_add_u32 s0, s2, s0
	s_addc_u32 s1, s3, s1
	s_load_dword s5, s[0:1], 0x4
	s_add_i32 s10, s11, -2
	s_cmp_lt_i32 s10, s9
	s_cbranch_scc1 .LBB19_4
; %bb.2:
	s_lshl_b32 s16, s12, 8
	s_ashr_i32 s17, s16, 31
	s_lshl_b64 s[16:17], s[16:17], 2
	s_add_u32 s10, s2, s16
	s_addc_u32 s13, s3, s17
	s_add_i32 s6, s6, 1
	s_load_dword s0, s[0:1], 0x0
	s_mul_i32 s1, s14, s6
	s_lshl_b32 s7, s7, 8
	s_lshl_b32 s14, s8, 6
	;; [unrolled: 1-line block ×3, first 2 shown]
	s_add_i32 s7, s14, s7
	s_lshl_b32 s1, s1, 6
	s_add_i32 s7, s7, s6
	s_add_i32 s1, s8, s1
	s_lshl_b32 s6, s12, 6
	s_add_i32 s1, s1, s6
	v_or_b32_e32 v0, s7, v0
	s_add_i32 s1, s1, s4
	s_add_i32 s11, s11, -1
	v_add_u32_e32 v0, 0xffffe000, v0
	s_add_i32 s4, s1, 0xffffff80
	s_waitcnt lgkmcnt(0)
	v_mov_b32_e32 v7, s5
	v_mov_b32_e32 v6, s0
	;; [unrolled: 1-line block ×3, first 2 shown]
	s_mov_b32 s6, 0x3fb8aa3b
	s_mov_b32 s7, 0xc2ce8ed0
	;; [unrolled: 1-line block ×3, first 2 shown]
	v_mov_b32_e32 v5, 0x7f800000
	s_mov_b32 s12, 0xc1a00000
.LBB19_3:                               ; =>This Inner Loop Header: Depth=1
	v_ashrrev_i32_e32 v1, 31, v0
	v_lshlrev_b64 v[10:11], 2, v[0:1]
	v_add_co_u32_e32 v10, vcc, s10, v10
	v_addc_co_u32_e32 v11, vcc, v4, v11, vcc
	global_load_dword v1, v[10:11], off
	s_ashr_i32 s5, s4, 31
	s_lshl_b64 s[0:1], s[4:5], 3
	s_add_u32 s0, s2, s0
	s_addc_u32 s1, s3, s1
	s_load_dwordx2 s[14:15], s[0:1], 0x0
	s_waitcnt vmcnt(1)
	v_mov_b32_e32 v9, v8
	v_max_f32_e32 v8, v6, v6
	v_mov_b32_e32 v10, v7
	s_add_i32 s11, s11, -1
	s_waitcnt lgkmcnt(0)
	v_max_f32_e64 v7, s14, s14
	v_max_f32_e32 v7, v8, v7
	v_sub_f32_e32 v11, s14, v7
	v_sub_f32_e32 v8, v6, v7
	v_mul_f32_e32 v12, 0x3fb8aa3b, v11
	v_mov_b32_e32 v6, v7
	v_mul_f32_e32 v7, 0x3fb8aa3b, v8
	v_fma_f32 v15, v11, s6, -v12
	v_rndne_f32_e32 v16, v12
	v_fma_f32 v13, v8, s6, -v7
	v_rndne_f32_e32 v14, v7
	v_fmac_f32_e32 v15, 0x32a5705f, v11
	v_sub_f32_e32 v12, v12, v16
	v_fmac_f32_e32 v13, 0x32a5705f, v8
	v_sub_f32_e32 v7, v7, v14
	v_add_f32_e32 v12, v12, v15
	v_cvt_i32_f32_e32 v16, v16
	v_add_f32_e32 v7, v7, v13
	v_exp_f32_e32 v12, v12
	v_cvt_i32_f32_e32 v14, v14
	v_exp_f32_e32 v7, v7
	v_cmp_ngt_f32_e32 vcc, s7, v11
	v_ldexp_f32 v12, v12, v16
	v_cmp_ngt_f32_e64 s[0:1], s7, v8
	v_ldexp_f32 v7, v7, v14
	v_cndmask_b32_e32 v12, 0, v12, vcc
	v_cmp_nlt_f32_e32 vcc, s8, v11
	v_cndmask_b32_e64 v7, 0, v7, s[0:1]
	v_cmp_nlt_f32_e64 s[0:1], s8, v8
	v_cndmask_b32_e32 v12, v5, v12, vcc
	v_cmp_le_f32_e32 vcc, s12, v11
	v_cndmask_b32_e64 v7, v5, v7, s[0:1]
	v_cmp_le_f32_e64 s[0:1], s12, v8
	v_cndmask_b32_e32 v8, 0, v12, vcc
	s_sub_i32 s4, s4, 64
	v_cndmask_b32_e64 v11, 0, v7, s[0:1]
	v_mul_f32_e32 v7, s15, v8
	v_add_u32_e32 v0, 0xfffff000, v0
	s_cmp_le_i32 s11, s9
	v_fmac_f32_e32 v7, v10, v11
	s_waitcnt vmcnt(0)
	v_mul_f32_e32 v8, v1, v8
	v_fmac_f32_e32 v8, v9, v11
	s_cbranch_scc0 .LBB19_3
	s_branch .LBB19_5
.LBB19_4:
	s_waitcnt lgkmcnt(0)
	v_mov_b32_e32 v7, s5
.LBB19_5:
	s_waitcnt vmcnt(0)
	v_div_scale_f32 v0, s[0:1], v7, v7, v8
	v_rcp_f32_e32 v1, v0
	v_div_scale_f32 v4, vcc, v8, v7, v8
	v_fma_f32 v5, -v0, v1, 1.0
	v_fmac_f32_e32 v1, v5, v1
	v_mul_f32_e32 v5, v4, v1
	v_fma_f32 v6, -v0, v5, v4
	v_fmac_f32_e32 v5, v6, v1
	v_fma_f32 v0, -v0, v5, v4
	v_div_fmas_f32 v0, v0, v1, v5
	v_div_fixup_f32 v0, v0, v7, v8
	global_store_dword v[2:3], v0, off
.LBB19_6:
	s_endpgm
	.section	.rodata,"a",@progbits
	.p2align	6, 0x0
	.amdhsa_kernel _ZL33flash_attn_stream_k_fixup_uniformILi64ELi16ELi4EEvPfPK15HIP_vector_typeIfLj2EEiiiiiiS1_IjLj3EES5_S5_
		.amdhsa_group_segment_fixed_size 0
		.amdhsa_private_segment_fixed_size 0
		.amdhsa_kernarg_size 76
		.amdhsa_user_sgpr_count 6
		.amdhsa_user_sgpr_private_segment_buffer 1
		.amdhsa_user_sgpr_dispatch_ptr 0
		.amdhsa_user_sgpr_queue_ptr 0
		.amdhsa_user_sgpr_kernarg_segment_ptr 1
		.amdhsa_user_sgpr_dispatch_id 0
		.amdhsa_user_sgpr_flat_scratch_init 0
		.amdhsa_user_sgpr_kernarg_preload_length 0
		.amdhsa_user_sgpr_kernarg_preload_offset 0
		.amdhsa_user_sgpr_private_segment_size 0
		.amdhsa_uses_dynamic_stack 0
		.amdhsa_system_sgpr_private_segment_wavefront_offset 0
		.amdhsa_system_sgpr_workgroup_id_x 1
		.amdhsa_system_sgpr_workgroup_id_y 1
		.amdhsa_system_sgpr_workgroup_id_z 1
		.amdhsa_system_sgpr_workgroup_info 0
		.amdhsa_system_vgpr_workitem_id 0
		.amdhsa_next_free_vgpr 17
		.amdhsa_next_free_sgpr 20
		.amdhsa_accum_offset 20
		.amdhsa_reserve_vcc 1
		.amdhsa_reserve_flat_scratch 0
		.amdhsa_float_round_mode_32 0
		.amdhsa_float_round_mode_16_64 0
		.amdhsa_float_denorm_mode_32 3
		.amdhsa_float_denorm_mode_16_64 3
		.amdhsa_dx10_clamp 1
		.amdhsa_ieee_mode 1
		.amdhsa_fp16_overflow 0
		.amdhsa_tg_split 0
		.amdhsa_exception_fp_ieee_invalid_op 0
		.amdhsa_exception_fp_denorm_src 0
		.amdhsa_exception_fp_ieee_div_zero 0
		.amdhsa_exception_fp_ieee_overflow 0
		.amdhsa_exception_fp_ieee_underflow 0
		.amdhsa_exception_fp_ieee_inexact 0
		.amdhsa_exception_int_div_zero 0
	.end_amdhsa_kernel
	.section	.text._ZL33flash_attn_stream_k_fixup_uniformILi64ELi16ELi4EEvPfPK15HIP_vector_typeIfLj2EEiiiiiiS1_IjLj3EES5_S5_,"axG",@progbits,_ZL33flash_attn_stream_k_fixup_uniformILi64ELi16ELi4EEvPfPK15HIP_vector_typeIfLj2EEiiiiiiS1_IjLj3EES5_S5_,comdat
.Lfunc_end19:
	.size	_ZL33flash_attn_stream_k_fixup_uniformILi64ELi16ELi4EEvPfPK15HIP_vector_typeIfLj2EEiiiiiiS1_IjLj3EES5_S5_, .Lfunc_end19-_ZL33flash_attn_stream_k_fixup_uniformILi64ELi16ELi4EEvPfPK15HIP_vector_typeIfLj2EEiiiiiiS1_IjLj3EES5_S5_
                                        ; -- End function
	.section	.AMDGPU.csdata,"",@progbits
; Kernel info:
; codeLenInByte = 860
; NumSgprs: 24
; NumVgprs: 17
; NumAgprs: 0
; TotalNumVgprs: 17
; ScratchSize: 0
; MemoryBound: 0
; FloatMode: 240
; IeeeMode: 1
; LDSByteSize: 0 bytes/workgroup (compile time only)
; SGPRBlocks: 2
; VGPRBlocks: 2
; NumSGPRsForWavesPerEU: 24
; NumVGPRsForWavesPerEU: 17
; AccumOffset: 20
; Occupancy: 8
; WaveLimiterHint : 0
; COMPUTE_PGM_RSRC2:SCRATCH_EN: 0
; COMPUTE_PGM_RSRC2:USER_SGPR: 6
; COMPUTE_PGM_RSRC2:TRAP_HANDLER: 0
; COMPUTE_PGM_RSRC2:TGID_X_EN: 1
; COMPUTE_PGM_RSRC2:TGID_Y_EN: 1
; COMPUTE_PGM_RSRC2:TGID_Z_EN: 1
; COMPUTE_PGM_RSRC2:TIDIG_COMP_CNT: 0
; COMPUTE_PGM_RSRC3_GFX90A:ACCUM_OFFSET: 4
; COMPUTE_PGM_RSRC3_GFX90A:TG_SPLIT: 0
	.section	.text._ZL33flash_attn_stream_k_fixup_generalILi64ELi16ELi4EEvPfPK15HIP_vector_typeIfLj2EEiiiiS1_IjLj3EES5_S5_S5_,"axG",@progbits,_ZL33flash_attn_stream_k_fixup_generalILi64ELi16ELi4EEvPfPK15HIP_vector_typeIfLj2EEiiiiS1_IjLj3EES5_S5_S5_,comdat
	.globl	_ZL33flash_attn_stream_k_fixup_generalILi64ELi16ELi4EEvPfPK15HIP_vector_typeIfLj2EEiiiiS1_IjLj3EES5_S5_S5_ ; -- Begin function _ZL33flash_attn_stream_k_fixup_generalILi64ELi16ELi4EEvPfPK15HIP_vector_typeIfLj2EEiiiiS1_IjLj3EES5_S5_S5_
	.p2align	8
	.type	_ZL33flash_attn_stream_k_fixup_generalILi64ELi16ELi4EEvPfPK15HIP_vector_typeIfLj2EEiiiiS1_IjLj3EES5_S5_S5_,@function
_ZL33flash_attn_stream_k_fixup_generalILi64ELi16ELi4EEvPfPK15HIP_vector_typeIfLj2EEiiiiS1_IjLj3EES5_S5_S5_: ; @_ZL33flash_attn_stream_k_fixup_generalILi64ELi16ELi4EEvPfPK15HIP_vector_typeIfLj2EEiiiiS1_IjLj3EES5_S5_S5_
; %bb.0:
	s_load_dwordx4 s[12:15], s[4:5], 0x10
	s_load_dword s9, s[4:5], 0x50
	s_mov_b32 s2, 0
	s_waitcnt lgkmcnt(0)
	s_mul_hi_i32 s3, s15, s6
	s_cmp_lg_u64 s[2:3], 0
	s_mul_i32 s2, s15, s6
	s_cbranch_scc0 .LBB20_21
; %bb.1:
	v_cvt_f32_u32_e32 v1, s9
	v_cvt_f32_ubyte0_e32 v2, 0
	s_sub_u32 s10, 0, s9
	s_subb_u32 s11, 0, 0
	v_madmk_f32 v1, v2, 0x4f800000, v1
	v_rcp_f32_e32 v1, v1
	v_mul_f32_e32 v1, 0x5f7ffffc, v1
	v_mul_f32_e32 v2, 0x2f800000, v1
	v_trunc_f32_e32 v2, v2
	v_madmk_f32 v1, v2, 0xcf800000, v1
	v_cvt_u32_f32_e32 v2, v2
	v_cvt_u32_f32_e32 v1, v1
	v_readfirstlane_b32 s16, v2
	v_readfirstlane_b32 s17, v1
	s_mul_i32 s18, s10, s16
	s_mul_hi_u32 s20, s10, s17
	s_mul_i32 s19, s11, s17
	s_add_i32 s18, s20, s18
	s_add_i32 s18, s18, s19
	s_mul_i32 s21, s10, s17
	s_mul_hi_u32 s19, s17, s18
	s_mul_i32 s20, s17, s18
	s_mul_hi_u32 s17, s17, s21
	s_add_u32 s17, s17, s20
	s_addc_u32 s19, 0, s19
	s_mul_hi_u32 s22, s16, s21
	s_mul_i32 s21, s16, s21
	s_add_u32 s17, s17, s21
	s_mul_hi_u32 s20, s16, s18
	s_addc_u32 s17, s19, s22
	s_addc_u32 s19, s20, 0
	s_mul_i32 s18, s16, s18
	s_add_u32 s17, s17, s18
	s_addc_u32 s18, 0, s19
	v_add_co_u32_e32 v1, vcc, s17, v1
	s_cmp_lg_u64 vcc, 0
	s_addc_u32 s16, s16, s18
	v_readfirstlane_b32 s18, v1
	s_mul_i32 s17, s10, s16
	s_mul_hi_u32 s19, s10, s18
	s_add_i32 s17, s19, s17
	s_mul_i32 s11, s11, s18
	s_add_i32 s17, s17, s11
	s_mul_i32 s10, s10, s18
	s_mul_hi_u32 s19, s16, s10
	s_mul_i32 s20, s16, s10
	s_mul_i32 s22, s18, s17
	s_mul_hi_u32 s10, s18, s10
	s_mul_hi_u32 s21, s18, s17
	s_add_u32 s10, s10, s22
	s_addc_u32 s18, 0, s21
	s_add_u32 s10, s10, s20
	s_mul_hi_u32 s11, s16, s17
	s_addc_u32 s10, s18, s19
	s_addc_u32 s11, s11, 0
	s_mul_i32 s17, s16, s17
	s_add_u32 s10, s10, s17
	s_addc_u32 s11, 0, s11
	v_add_co_u32_e32 v1, vcc, s10, v1
	s_cmp_lg_u64 vcc, 0
	s_addc_u32 s18, s16, s11
	s_ashr_i32 s10, s3, 31
	s_add_u32 s16, s2, s10
	s_mov_b32 s11, s10
	s_addc_u32 s17, s3, s10
	s_xor_b64 s[16:17], s[16:17], s[10:11]
	v_readfirstlane_b32 s20, v1
	s_mul_i32 s19, s16, s18
	s_mul_hi_u32 s21, s16, s20
	s_mul_hi_u32 s3, s16, s18
	s_add_u32 s19, s21, s19
	s_addc_u32 s3, 0, s3
	s_mul_hi_u32 s22, s17, s20
	s_mul_i32 s20, s17, s20
	s_add_u32 s19, s19, s20
	s_mul_hi_u32 s21, s17, s18
	s_addc_u32 s3, s3, s22
	s_addc_u32 s19, s21, 0
	s_mul_i32 s18, s17, s18
	s_add_u32 s3, s3, s18
	s_addc_u32 s18, 0, s19
	s_add_u32 s19, s3, 1
	s_addc_u32 s20, s18, 0
	s_add_u32 s21, s3, 2
	s_mul_i32 s23, s9, s18
	s_mul_hi_u32 s24, s9, s3
	s_addc_u32 s22, s18, 0
	s_add_i32 s24, s24, s23
	s_mul_i32 s23, s9, s3
	v_mov_b32_e32 v1, s23
	v_sub_co_u32_e32 v1, vcc, s16, v1
	s_cmp_lg_u64 vcc, 0
	s_subb_u32 s16, s17, s24
	v_subrev_co_u32_e32 v2, vcc, s9, v1
	s_cmp_lg_u64 vcc, 0
	s_subb_u32 s17, s16, 0
	v_readfirstlane_b32 s23, v2
	s_cmp_ge_u32 s23, s9
	s_cselect_b32 s23, -1, 0
	s_cmp_eq_u32 s17, 0
	s_cselect_b32 s17, s23, -1
	s_cmp_lg_u32 s17, 0
	s_cselect_b32 s17, s22, s20
	v_readfirstlane_b32 s20, v1
	s_cselect_b32 s19, s21, s19
	s_cmp_ge_u32 s20, s9
	s_cselect_b32 s20, -1, 0
	s_cmp_eq_u32 s16, 0
	s_cselect_b32 s16, s20, -1
	s_cmp_lg_u32 s16, 0
	s_cselect_b32 s17, s17, s18
	s_cselect_b32 s16, s19, s3
	s_xor_b64 s[16:17], s[16:17], s[10:11]
	s_sub_u32 s20, s16, s10
	s_load_dwordx4 s[16:19], s[4:5], 0x44
	s_cbranch_execnz .LBB20_3
.LBB20_2:
	v_cvt_f32_u32_e32 v1, s9
	s_sub_i32 s0, 0, s9
	v_rcp_iflag_f32_e32 v1, v1
	v_mul_f32_e32 v1, 0x4f7ffffe, v1
	v_cvt_u32_f32_e32 v1, v1
	v_readfirstlane_b32 s1, v1
	s_mul_i32 s0, s0, s1
	s_mul_hi_u32 s0, s1, s0
	s_add_i32 s1, s1, s0
	s_mul_hi_u32 s0, s2, s1
	s_mul_i32 s3, s0, s9
	s_sub_i32 s2, s2, s3
	s_add_i32 s1, s0, 1
	s_sub_i32 s3, s2, s9
	s_cmp_ge_u32 s2, s9
	s_cselect_b32 s0, s1, s0
	s_cselect_b32 s2, s3, s2
	s_add_i32 s1, s0, 1
	s_cmp_ge_u32 s2, s9
	s_cselect_b32 s20, s1, s0
.LBB20_3:
	s_add_i32 s0, s6, 1
	s_mul_hi_i32 s3, s15, s0
	s_mov_b32 s2, 0
	s_cmp_lg_u64 s[2:3], 0
	s_mul_i32 s2, s15, s0
	s_cbranch_scc0 .LBB20_22
; %bb.4:
	v_cvt_f32_u32_e32 v1, s9
	v_cvt_f32_ubyte0_e32 v2, 0
	s_sub_u32 s10, 0, s9
	s_subb_u32 s11, 0, 0
	v_madmk_f32 v1, v2, 0x4f800000, v1
	v_rcp_f32_e32 v1, v1
	v_mul_f32_e32 v1, 0x5f7ffffc, v1
	v_mul_f32_e32 v2, 0x2f800000, v1
	v_trunc_f32_e32 v2, v2
	v_madmk_f32 v1, v2, 0xcf800000, v1
	v_cvt_u32_f32_e32 v2, v2
	v_cvt_u32_f32_e32 v1, v1
	s_waitcnt lgkmcnt(0)
	v_readfirstlane_b32 s19, v2
	v_readfirstlane_b32 s21, v1
	s_mul_i32 s22, s10, s19
	s_mul_hi_u32 s24, s10, s21
	s_mul_i32 s23, s11, s21
	s_add_i32 s22, s24, s22
	s_add_i32 s22, s22, s23
	s_mul_i32 s25, s10, s21
	s_mul_hi_u32 s23, s21, s22
	s_mul_i32 s24, s21, s22
	s_mul_hi_u32 s21, s21, s25
	s_add_u32 s21, s21, s24
	s_addc_u32 s23, 0, s23
	s_mul_hi_u32 s26, s19, s25
	s_mul_i32 s25, s19, s25
	s_add_u32 s21, s21, s25
	s_mul_hi_u32 s24, s19, s22
	s_addc_u32 s21, s23, s26
	s_addc_u32 s23, s24, 0
	s_mul_i32 s22, s19, s22
	s_add_u32 s21, s21, s22
	s_addc_u32 s22, 0, s23
	v_add_co_u32_e32 v1, vcc, s21, v1
	s_cmp_lg_u64 vcc, 0
	s_addc_u32 s19, s19, s22
	v_readfirstlane_b32 s22, v1
	s_mul_i32 s21, s10, s19
	s_mul_hi_u32 s23, s10, s22
	s_add_i32 s21, s23, s21
	s_mul_i32 s11, s11, s22
	s_add_i32 s21, s21, s11
	s_mul_i32 s10, s10, s22
	s_mul_hi_u32 s23, s19, s10
	s_mul_i32 s24, s19, s10
	s_mul_i32 s26, s22, s21
	s_mul_hi_u32 s10, s22, s10
	s_mul_hi_u32 s25, s22, s21
	s_add_u32 s10, s10, s26
	s_addc_u32 s22, 0, s25
	s_add_u32 s10, s10, s24
	s_mul_hi_u32 s11, s19, s21
	s_addc_u32 s10, s22, s23
	s_addc_u32 s11, s11, 0
	s_mul_i32 s21, s19, s21
	s_add_u32 s10, s10, s21
	s_addc_u32 s11, 0, s11
	v_add_co_u32_e32 v1, vcc, s10, v1
	s_cmp_lg_u64 vcc, 0
	s_addc_u32 s19, s19, s11
	s_ashr_i32 s10, s3, 31
	s_add_u32 s22, s2, s10
	s_mov_b32 s11, s10
	s_addc_u32 s23, s3, s10
	s_xor_b64 s[22:23], s[22:23], s[10:11]
	v_readfirstlane_b32 s21, v1
	s_mul_i32 s11, s22, s19
	s_mul_hi_u32 s24, s22, s21
	s_mul_hi_u32 s3, s22, s19
	s_add_u32 s11, s24, s11
	s_addc_u32 s3, 0, s3
	s_mul_hi_u32 s25, s23, s21
	s_mul_i32 s21, s23, s21
	s_add_u32 s11, s11, s21
	s_mul_hi_u32 s24, s23, s19
	s_addc_u32 s3, s3, s25
	s_addc_u32 s11, s24, 0
	s_mul_i32 s19, s23, s19
	s_add_u32 s3, s3, s19
	s_addc_u32 s11, 0, s11
	s_mul_i32 s11, s9, s11
	s_mul_hi_u32 s24, s9, s3
	s_add_i32 s24, s24, s11
	s_mul_i32 s11, s9, s3
	v_mov_b32_e32 v1, s11
	s_add_u32 s19, s3, 1
	s_add_u32 s21, s3, 2
	v_sub_co_u32_e32 v1, vcc, s22, v1
	s_cmp_lg_u64 vcc, 0
	s_subb_u32 s11, s23, s24
	v_subrev_co_u32_e32 v2, vcc, s9, v1
	s_cmp_lg_u64 vcc, 0
	s_subb_u32 s22, s11, 0
	v_cmp_le_u32_e32 vcc, s9, v2
	s_cmp_eq_u32 s22, 0
	v_cndmask_b32_e64 v2, 0, -1, vcc
	s_cselect_b64 vcc, -1, 0
	v_cndmask_b32_e32 v2, -1, v2, vcc
	v_mov_b32_e32 v3, s19
	v_mov_b32_e32 v4, s21
	v_cmp_ne_u32_e32 vcc, 0, v2
	v_cndmask_b32_e32 v2, v3, v4, vcc
	v_cmp_le_u32_e32 vcc, s9, v1
	s_cmp_eq_u32 s11, 0
	v_cndmask_b32_e64 v1, 0, -1, vcc
	s_cselect_b64 vcc, -1, 0
	v_cndmask_b32_e32 v1, -1, v1, vcc
	v_mov_b32_e32 v3, s3
	v_cmp_ne_u32_e32 vcc, 0, v1
	v_cndmask_b32_e32 v1, v3, v2, vcc
	v_xor_b32_e32 v1, s10, v1
	v_subrev_co_u32_e32 v2, vcc, s10, v1
	s_cbranch_execnz .LBB20_6
.LBB20_5:
	v_cvt_f32_u32_e32 v1, s9
	s_sub_i32 s0, 0, s9
	s_mov_b32 s1, 0
	v_rcp_iflag_f32_e32 v1, v1
	v_mul_f32_e32 v1, 0x4f7ffffe, v1
	v_cvt_u32_f32_e32 v1, v1
	v_readfirstlane_b32 s3, v1
	s_mul_i32 s0, s0, s3
	s_mul_hi_u32 s0, s3, s0
	s_add_i32 s3, s3, s0
	s_mul_hi_u32 s0, s2, s3
	s_mul_i32 s10, s0, s9
	s_sub_i32 s2, s2, s10
	s_add_i32 s3, s0, 1
	s_sub_i32 s10, s2, s9
	s_cmp_ge_u32 s2, s9
	s_cselect_b32 s0, s3, s0
	s_cselect_b32 s2, s10, s2
	s_add_i32 s3, s0, 1
	s_cmp_ge_u32 s2, s9
	s_cselect_b32 s0, s3, s0
	v_pk_mov_b32 v[2:3], s[0:1], s[0:1] op_sel:[0,1]
.LBB20_6:
	s_waitcnt lgkmcnt(0)
	s_mul_hi_u32 s0, s20, s16
	s_add_i32 s0, s0, s20
	v_mul_hi_u32 v1, v2, s16
	s_lshr_b32 s19, s0, s17
	v_add_u32_e32 v1, v1, v2
	s_mul_i32 s0, s19, s18
	v_lshrrev_b32_e32 v1, s17, v1
	s_cmp_eq_u32 s0, s20
	v_cmp_eq_u32_e64 s[0:1], s19, v1
	v_mul_lo_u32 v1, v1, s18
	v_cmp_eq_u32_e32 vcc, s20, v2
	s_cselect_b64 s[10:11], -1, 0
	v_cmp_ne_u32_e64 s[2:3], v1, v2
	s_and_b64 s[0:1], s[0:1], s[2:3]
	s_or_b64 s[2:3], vcc, s[10:11]
	s_or_b64 s[0:1], s[2:3], s[0:1]
	s_and_b64 vcc, exec, s[0:1]
	s_cbranch_vccnz .LBB20_24
; %bb.7:
	s_load_dwordx8 s[24:31], s[4:5], 0x20
	s_load_dword s0, s[4:5], 0x40
	s_mov_b32 s10, 0
	s_waitcnt lgkmcnt(0)
	s_mul_hi_u32 s1, s20, s24
	s_add_i32 s1, s1, s20
	s_lshr_b32 s11, s1, s25
	s_mul_i32 s1, s11, s26
	s_sub_i32 s1, s20, s1
	s_mul_hi_u32 s2, s1, s27
	s_add_i32 s2, s1, s2
	s_lshr_b32 s24, s2, s28
	s_mul_i32 s2, s24, s29
	s_sub_i32 s1, s1, s2
	;; [unrolled: 5-line block ×3, first 2 shown]
	s_mul_hi_u32 s1, s0, s16
	s_add_i32 s0, s0, s1
	s_lshr_b32 s26, s0, s17
	s_lshl_b32 s0, s26, 4
	s_lshl_b32 s25, s2, 2
	s_add_i32 s0, s0, s7
	s_cmp_lt_i32 s0, s12
	s_cselect_b64 s[0:1], -1, 0
	s_add_i32 s2, s25, s8
	s_cmp_lt_i32 s2, s14
	s_cselect_b64 s[2:3], -1, 0
	s_and_b64 s[0:1], s[0:1], s[2:3]
	s_andn2_b64 vcc, exec, s[0:1]
	s_cbranch_vccnz .LBB20_24
; %bb.8:
	s_load_dwordx4 s[0:3], s[4:5], 0x0
	s_lshl_b32 s21, s7, 2
	s_lshl_b32 s4, s9, 8
	s_mov_b32 s5, s10
	s_add_i32 s21, s21, s8
	s_lshl_b64 s[4:5], s[4:5], 2
	s_waitcnt lgkmcnt(0)
	s_add_u32 s22, s2, s4
	s_mul_i32 s4, s11, s12
	s_addc_u32 s23, s3, s5
	s_add_i32 s4, s4, s7
	s_mul_i32 s4, s4, s13
	s_mul_i32 s24, s24, s14
	s_add_i32 s4, s4, s8
	s_add_i32 s4, s4, s24
	s_mul_i32 s5, s13, s26
	s_add_i32 s4, s4, s25
	s_lshl_b32 s5, s5, 10
	s_lshl_b32 s4, s4, 6
	s_add_i32 s5, s5, s4
	v_or_b32_e32 v2, s5, v0
	v_ashrrev_i32_e32 v3, 31, v2
	v_lshlrev_b64 v[2:3], 2, v[2:3]
	v_mov_b32_e32 v1, s1
	v_add_co_u32_e32 v2, vcc, s0, v2
	v_addc_co_u32_e32 v3, vcc, v1, v3, vcc
	global_load_dword v5, v[2:3], off
	v_lshl_or_b32 v4, s21, 6, v0
	v_cvt_f32_u32_e32 v0, s9
	v_cvt_f32_ubyte0_e32 v1, 0
	s_lshl_b32 s0, s6, 6
	s_add_i32 s0, s21, s0
	v_mac_f32_e32 v0, 0x4f800000, v1
	v_rcp_f32_e32 v0, v0
	v_cvt_f32_u32_e32 v1, s9
	s_ashr_i32 s1, s0, 31
	s_lshl_b64 s[0:1], s[0:1], 3
	v_mul_f32_e32 v0, 0x5f7ffffc, v0
	v_rcp_iflag_f32_e32 v1, v1
	s_add_u32 s0, s2, s0
	v_mul_f32_e32 v9, 0x2f800000, v0
	s_addc_u32 s1, s3, s1
	v_trunc_f32_e32 v10, v9
	s_load_dwordx2 s[0:1], s[0:1], 0x0
	v_mac_f32_e32 v0, 0xcf800000, v10
	v_cvt_u32_f32_e32 v9, v0
	v_mul_f32_e32 v0, 0x4f7ffffe, v1
	v_cvt_u32_f32_e32 v10, v10
	v_cvt_u32_f32_e32 v11, v0
	s_add_i32 s8, s6, -1
	s_waitcnt lgkmcnt(0)
	v_mov_b32_e32 v6, s1
	v_mov_b32_e32 v7, s0
	;; [unrolled: 1-line block ×3, first 2 shown]
	s_mov_b32 s6, 0x3fb8aa3b
	s_mov_b32 s7, 0xc2ce8ed0
	;; [unrolled: 1-line block ×4, first 2 shown]
	v_mov_b32_e32 v12, 0x7f800000
	s_mul_hi_i32 s11, s8, s15
	s_cmp_lg_u64 s[10:11], 0
	s_mul_i32 s4, s8, s15
	s_cbranch_scc0 .LBB20_15
.LBB20_9:
	s_sub_u32 s0, 0, s9
	v_readfirstlane_b32 s5, v9
	v_readfirstlane_b32 s24, v10
	s_subb_u32 s1, 0, 0
	s_mul_hi_u32 s20, s0, s5
	s_mul_i32 s25, s0, s24
	s_mul_i32 s14, s1, s5
	s_add_i32 s20, s20, s25
	s_add_i32 s20, s20, s14
	s_mul_i32 s26, s0, s5
	s_mul_hi_u32 s14, s5, s20
	s_mul_i32 s25, s5, s20
	s_mul_hi_u32 s5, s5, s26
	s_add_u32 s5, s5, s25
	s_addc_u32 s14, 0, s14
	s_mul_hi_u32 s27, s24, s26
	s_mul_i32 s26, s24, s26
	s_add_u32 s5, s5, s26
	s_mul_hi_u32 s25, s24, s20
	s_addc_u32 s5, s14, s27
	s_addc_u32 s14, s25, 0
	s_mul_i32 s20, s24, s20
	s_add_u32 s5, s5, s20
	s_addc_u32 s14, 0, s14
	v_add_co_u32_e32 v0, vcc, s5, v9
	s_cmp_lg_u64 vcc, 0
	s_addc_u32 s5, s24, s14
	v_readfirstlane_b32 s20, v0
	s_mul_i32 s14, s0, s5
	s_mul_hi_u32 s24, s0, s20
	s_add_i32 s14, s24, s14
	s_mul_i32 s1, s1, s20
	s_add_i32 s14, s14, s1
	s_mul_i32 s0, s0, s20
	s_mul_hi_u32 s24, s5, s0
	s_mul_i32 s25, s5, s0
	s_mul_i32 s27, s20, s14
	s_mul_hi_u32 s0, s20, s0
	s_mul_hi_u32 s26, s20, s14
	s_add_u32 s0, s0, s27
	s_addc_u32 s20, 0, s26
	s_add_u32 s0, s0, s25
	s_mul_hi_u32 s1, s5, s14
	s_addc_u32 s0, s20, s24
	s_addc_u32 s1, s1, 0
	s_mul_i32 s14, s5, s14
	s_add_u32 s0, s0, s14
	s_addc_u32 s1, 0, s1
	v_add_co_u32_e32 v0, vcc, s0, v0
	s_cmp_lg_u64 vcc, 0
	s_addc_u32 s5, s5, s1
	s_ashr_i32 s0, s11, 31
	s_add_u32 s24, s4, s0
	s_mov_b32 s1, s0
	s_addc_u32 s25, s11, s0
	s_xor_b64 s[24:25], s[24:25], s[0:1]
	v_readfirstlane_b32 s14, v0
	s_mul_i32 s11, s24, s5
	s_mul_hi_u32 s20, s24, s14
	s_mul_hi_u32 s1, s24, s5
	s_add_u32 s11, s20, s11
	s_addc_u32 s1, 0, s1
	s_mul_hi_u32 s26, s25, s14
	s_mul_i32 s14, s25, s14
	s_add_u32 s11, s11, s14
	s_mul_hi_u32 s20, s25, s5
	s_addc_u32 s1, s1, s26
	s_addc_u32 s11, s20, 0
	s_mul_i32 s5, s25, s5
	s_add_u32 s1, s1, s5
	s_addc_u32 s5, 0, s11
	s_mul_i32 s5, s9, s5
	s_mul_hi_u32 s20, s9, s1
	s_add_i32 s20, s20, s5
	s_mul_i32 s5, s9, s1
	v_mov_b32_e32 v0, s5
	s_add_u32 s11, s1, 1
	s_add_u32 s14, s1, 2
	v_sub_co_u32_e32 v0, vcc, s24, v0
	s_cmp_lg_u64 vcc, 0
	s_subb_u32 s5, s25, s20
	v_subrev_co_u32_e32 v1, vcc, s9, v0
	s_cmp_lg_u64 vcc, 0
	s_subb_u32 s20, s5, 0
	v_cmp_le_u32_e32 vcc, s9, v1
	s_cmp_eq_u32 s20, 0
	v_cndmask_b32_e64 v1, 0, -1, vcc
	s_cselect_b64 vcc, -1, 0
	v_cndmask_b32_e32 v1, -1, v1, vcc
	v_mov_b32_e32 v13, s11
	v_mov_b32_e32 v14, s14
	v_cmp_ne_u32_e32 vcc, 0, v1
	v_cndmask_b32_e32 v1, v13, v14, vcc
	v_cmp_le_u32_e32 vcc, s9, v0
	s_cmp_eq_u32 s5, 0
	v_cndmask_b32_e64 v0, 0, -1, vcc
	s_cselect_b64 vcc, -1, 0
	v_cndmask_b32_e32 v0, -1, v0, vcc
	v_mov_b32_e32 v13, s1
	v_cmp_ne_u32_e32 vcc, 0, v0
	v_cndmask_b32_e32 v0, v13, v1, vcc
	v_xor_b32_e32 v0, s0, v0
	v_subrev_co_u32_e32 v0, vcc, s0, v0
	s_cbranch_execnz .LBB20_11
.LBB20_10:
	s_sub_i32 s0, 0, s9
	v_mul_lo_u32 v0, s0, v11
	v_mul_hi_u32 v0, v11, v0
	v_add_u32_e32 v0, v11, v0
	v_mul_hi_u32 v0, s4, v0
	v_mul_lo_u32 v13, v0, s9
	v_sub_u32_e32 v13, s4, v13
	v_add_u32_e32 v1, 1, v0
	v_subrev_u32_e32 v14, s9, v13
	v_cmp_le_u32_e32 vcc, s9, v13
	v_cndmask_b32_e32 v13, v13, v14, vcc
	v_cndmask_b32_e32 v0, v0, v1, vcc
	v_add_u32_e32 v1, 1, v0
	v_cmp_le_u32_e32 vcc, s9, v13
	v_cndmask_b32_e32 v0, v0, v1, vcc
.LBB20_11:
	v_cmp_ne_u32_e32 vcc, v8, v0
	s_cbranch_vccz .LBB20_14
; %bb.12:
	s_add_i32 s0, s8, s9
	s_lshl_b32 s0, s0, 6
	v_mul_hi_u32 v1, v0, s16
	s_add_i32 s0, s0, s21
	s_mov_b32 s1, s10
	v_add_u32_e32 v1, v1, v0
	s_lshl_b64 s[0:1], s[0:1], 3
	v_lshrrev_b32_e32 v1, s17, v1
	s_add_u32 s4, s2, s0
	v_mul_lo_u32 v13, v1, s18
	s_addc_u32 s5, s3, s1
	v_cmp_eq_u32_e32 vcc, v13, v0
	v_cmp_gt_u32_e64 s[0:1], s19, v1
	s_or_b64 s[0:1], s[0:1], vcc
	s_and_b64 vcc, exec, s[0:1]
	s_cbranch_vccnz .LBB20_16
; %bb.13:
	s_add_i32 s11, s8, -1
	s_mov_b64 s[0:1], 0
	s_branch .LBB20_17
.LBB20_14:
                                        ; implicit-def: $sgpr0_sgpr1
                                        ; implicit-def: $vgpr14
                                        ; implicit-def: $vgpr1
                                        ; implicit-def: $vgpr13
                                        ; implicit-def: $sgpr11
                                        ; implicit-def: $vgpr0
	s_branch .LBB20_18
.LBB20_15:
                                        ; implicit-def: $vgpr0_vgpr1
	s_branch .LBB20_10
.LBB20_16:
	s_mov_b64 s[0:1], -1
	s_mov_b32 s11, s8
	v_mov_b32_e32 v0, v8
.LBB20_17:
	v_lshl_add_u32 v14, s8, 12, v4
	v_ashrrev_i32_e32 v15, 31, v14
	v_lshlrev_b64 v[14:15], 2, v[14:15]
	v_mov_b32_e32 v1, s23
	v_add_co_u32_e32 v14, vcc, s22, v14
	v_addc_co_u32_e32 v15, vcc, v1, v15, vcc
	global_load_dword v14, v[14:15], off
	s_load_dwordx2 s[4:5], s[4:5], 0x0
	v_max_f32_e32 v1, v7, v7
	s_waitcnt lgkmcnt(0)
	v_max_f32_e64 v13, s4, s4
	v_max_f32_e32 v1, v1, v13
	v_sub_f32_e32 v13, v7, v1
	v_sub_f32_e32 v15, s4, v1
	v_mul_f32_e32 v16, 0x3fb8aa3b, v13
	v_mul_f32_e32 v17, 0x3fb8aa3b, v15
	v_fma_f32 v18, v13, s6, -v16
	v_rndne_f32_e32 v19, v16
	v_fma_f32 v20, v15, s6, -v17
	v_rndne_f32_e32 v21, v17
	v_fmac_f32_e32 v18, 0x32a5705f, v13
	v_sub_f32_e32 v16, v16, v19
	v_fmac_f32_e32 v20, 0x32a5705f, v15
	v_sub_f32_e32 v17, v17, v21
	v_add_f32_e32 v16, v16, v18
	v_cvt_i32_f32_e32 v19, v19
	v_add_f32_e32 v17, v17, v20
	v_exp_f32_e32 v16, v16
	v_cvt_i32_f32_e32 v21, v21
	v_exp_f32_e32 v17, v17
	v_cmp_ngt_f32_e32 vcc, s7, v13
	v_ldexp_f32 v16, v16, v19
	v_cndmask_b32_e32 v16, 0, v16, vcc
	v_ldexp_f32 v17, v17, v21
	v_cmp_ngt_f32_e32 vcc, s7, v15
	v_cndmask_b32_e32 v17, 0, v17, vcc
	v_cmp_nlt_f32_e32 vcc, s12, v13
	v_cndmask_b32_e32 v16, v12, v16, vcc
	v_cmp_nlt_f32_e32 vcc, s12, v15
	v_cndmask_b32_e32 v17, v12, v17, vcc
	v_cmp_le_f32_e32 vcc, s13, v13
	v_cndmask_b32_e32 v16, 0, v16, vcc
	v_cmp_le_f32_e32 vcc, s13, v15
	v_cndmask_b32_e32 v15, 0, v17, vcc
	v_mul_f32_e32 v13, s5, v15
	v_fmac_f32_e32 v13, v6, v16
	s_waitcnt vmcnt(0)
	v_mul_f32_e32 v14, v14, v15
	v_fmac_f32_e32 v14, v5, v16
	s_cbranch_execnz .LBB20_19
.LBB20_18:
	s_add_i32 s11, s8, -1
	s_mov_b64 s[0:1], 0
	v_mov_b32_e32 v0, v8
	v_mov_b32_e32 v13, v6
	;; [unrolled: 1-line block ×3, first 2 shown]
	s_waitcnt vmcnt(0)
	v_mov_b32_e32 v14, v5
.LBB20_19:
	s_andn2_b64 vcc, exec, s[0:1]
	s_cbranch_vccz .LBB20_23
; %bb.20:
	v_mov_b32_e32 v8, v0
	s_mov_b32 s8, s11
	v_mov_b32_e32 v6, v13
	v_mov_b32_e32 v7, v1
	s_waitcnt vmcnt(0)
	v_mov_b32_e32 v5, v14
	s_mul_hi_i32 s11, s8, s15
	s_cmp_lg_u64 s[10:11], 0
	s_mul_i32 s4, s8, s15
	s_cbranch_scc1 .LBB20_9
	s_branch .LBB20_15
.LBB20_21:
                                        ; implicit-def: $sgpr20_sgpr21
	s_load_dwordx4 s[16:19], s[4:5], 0x44
	s_branch .LBB20_2
.LBB20_22:
                                        ; implicit-def: $vgpr2_vgpr3
	s_branch .LBB20_5
.LBB20_23:
	v_div_scale_f32 v0, s[0:1], v13, v13, v14
	v_rcp_f32_e32 v1, v0
	v_div_scale_f32 v4, vcc, v14, v13, v14
	s_waitcnt vmcnt(0)
	v_fma_f32 v5, -v0, v1, 1.0
	v_fmac_f32_e32 v1, v5, v1
	v_mul_f32_e32 v5, v4, v1
	v_fma_f32 v6, -v0, v5, v4
	v_fmac_f32_e32 v5, v6, v1
	v_fma_f32 v0, -v0, v5, v4
	v_div_fmas_f32 v0, v0, v1, v5
	v_div_fixup_f32 v0, v0, v13, v14
	global_store_dword v[2:3], v0, off
.LBB20_24:
	s_endpgm
	.section	.rodata,"a",@progbits
	.p2align	6, 0x0
	.amdhsa_kernel _ZL33flash_attn_stream_k_fixup_generalILi64ELi16ELi4EEvPfPK15HIP_vector_typeIfLj2EEiiiiS1_IjLj3EES5_S5_S5_
		.amdhsa_group_segment_fixed_size 0
		.amdhsa_private_segment_fixed_size 0
		.amdhsa_kernarg_size 336
		.amdhsa_user_sgpr_count 6
		.amdhsa_user_sgpr_private_segment_buffer 1
		.amdhsa_user_sgpr_dispatch_ptr 0
		.amdhsa_user_sgpr_queue_ptr 0
		.amdhsa_user_sgpr_kernarg_segment_ptr 1
		.amdhsa_user_sgpr_dispatch_id 0
		.amdhsa_user_sgpr_flat_scratch_init 0
		.amdhsa_user_sgpr_kernarg_preload_length 0
		.amdhsa_user_sgpr_kernarg_preload_offset 0
		.amdhsa_user_sgpr_private_segment_size 0
		.amdhsa_uses_dynamic_stack 0
		.amdhsa_system_sgpr_private_segment_wavefront_offset 0
		.amdhsa_system_sgpr_workgroup_id_x 1
		.amdhsa_system_sgpr_workgroup_id_y 1
		.amdhsa_system_sgpr_workgroup_id_z 1
		.amdhsa_system_sgpr_workgroup_info 0
		.amdhsa_system_vgpr_workitem_id 0
		.amdhsa_next_free_vgpr 22
		.amdhsa_next_free_sgpr 32
		.amdhsa_accum_offset 24
		.amdhsa_reserve_vcc 1
		.amdhsa_reserve_flat_scratch 0
		.amdhsa_float_round_mode_32 0
		.amdhsa_float_round_mode_16_64 0
		.amdhsa_float_denorm_mode_32 3
		.amdhsa_float_denorm_mode_16_64 3
		.amdhsa_dx10_clamp 1
		.amdhsa_ieee_mode 1
		.amdhsa_fp16_overflow 0
		.amdhsa_tg_split 0
		.amdhsa_exception_fp_ieee_invalid_op 0
		.amdhsa_exception_fp_denorm_src 0
		.amdhsa_exception_fp_ieee_div_zero 0
		.amdhsa_exception_fp_ieee_overflow 0
		.amdhsa_exception_fp_ieee_underflow 0
		.amdhsa_exception_fp_ieee_inexact 0
		.amdhsa_exception_int_div_zero 0
	.end_amdhsa_kernel
	.section	.text._ZL33flash_attn_stream_k_fixup_generalILi64ELi16ELi4EEvPfPK15HIP_vector_typeIfLj2EEiiiiS1_IjLj3EES5_S5_S5_,"axG",@progbits,_ZL33flash_attn_stream_k_fixup_generalILi64ELi16ELi4EEvPfPK15HIP_vector_typeIfLj2EEiiiiS1_IjLj3EES5_S5_S5_,comdat
.Lfunc_end20:
	.size	_ZL33flash_attn_stream_k_fixup_generalILi64ELi16ELi4EEvPfPK15HIP_vector_typeIfLj2EEiiiiS1_IjLj3EES5_S5_S5_, .Lfunc_end20-_ZL33flash_attn_stream_k_fixup_generalILi64ELi16ELi4EEvPfPK15HIP_vector_typeIfLj2EEiiiiS1_IjLj3EES5_S5_S5_
                                        ; -- End function
	.section	.AMDGPU.csdata,"",@progbits
; Kernel info:
; codeLenInByte = 2824
; NumSgprs: 36
; NumVgprs: 22
; NumAgprs: 0
; TotalNumVgprs: 22
; ScratchSize: 0
; MemoryBound: 0
; FloatMode: 240
; IeeeMode: 1
; LDSByteSize: 0 bytes/workgroup (compile time only)
; SGPRBlocks: 4
; VGPRBlocks: 2
; NumSGPRsForWavesPerEU: 36
; NumVGPRsForWavesPerEU: 22
; AccumOffset: 24
; Occupancy: 8
; WaveLimiterHint : 0
; COMPUTE_PGM_RSRC2:SCRATCH_EN: 0
; COMPUTE_PGM_RSRC2:USER_SGPR: 6
; COMPUTE_PGM_RSRC2:TRAP_HANDLER: 0
; COMPUTE_PGM_RSRC2:TGID_X_EN: 1
; COMPUTE_PGM_RSRC2:TGID_Y_EN: 1
; COMPUTE_PGM_RSRC2:TGID_Z_EN: 1
; COMPUTE_PGM_RSRC2:TIDIG_COMP_CNT: 0
; COMPUTE_PGM_RSRC3_GFX90A:ACCUM_OFFSET: 5
; COMPUTE_PGM_RSRC3_GFX90A:TG_SPLIT: 0
	.section	.text._ZL15flash_attn_tileILi64ELi64ELi8ELi4ELb0EEvPKcS1_S1_S1_S1_PKiPfP15HIP_vector_typeIfLj2EEffffjfiS5_IjLj3EEiiiiiiiiiiiliiliiiiil,"axG",@progbits,_ZL15flash_attn_tileILi64ELi64ELi8ELi4ELb0EEvPKcS1_S1_S1_S1_PKiPfP15HIP_vector_typeIfLj2EEffffjfiS5_IjLj3EEiiiiiiiiiiiliiliiiiil,comdat
	.globl	_ZL15flash_attn_tileILi64ELi64ELi8ELi4ELb0EEvPKcS1_S1_S1_S1_PKiPfP15HIP_vector_typeIfLj2EEffffjfiS5_IjLj3EEiiiiiiiiiiiliiliiiiil ; -- Begin function _ZL15flash_attn_tileILi64ELi64ELi8ELi4ELb0EEvPKcS1_S1_S1_S1_PKiPfP15HIP_vector_typeIfLj2EEffffjfiS5_IjLj3EEiiiiiiiiiiiliiliiiiil
	.p2align	8
	.type	_ZL15flash_attn_tileILi64ELi64ELi8ELi4ELb0EEvPKcS1_S1_S1_S1_PKiPfP15HIP_vector_typeIfLj2EEffffjfiS5_IjLj3EEiiiiiiiiiiiliiliiiiil,@function
_ZL15flash_attn_tileILi64ELi64ELi8ELi4ELb0EEvPKcS1_S1_S1_S1_PKiPfP15HIP_vector_typeIfLj2EEffffjfiS5_IjLj3EEiiiiiiiiiiiliiliiiiil: ; @_ZL15flash_attn_tileILi64ELi64ELi8ELi4ELb0EEvPKcS1_S1_S1_S1_PKiPfP15HIP_vector_typeIfLj2EEffffjfiS5_IjLj3EEiiiiiiiiiiiliiliiiiil
; %bb.0:
	s_load_dwordx4 s[60:63], s[4:5], 0x5c
	s_load_dwordx2 s[66:67], s[4:5], 0x80
	s_load_dwordx16 s[44:59], s[4:5], 0x0
	s_mov_b64 s[68:69], 0
	s_waitcnt lgkmcnt(0)
	s_ashr_i32 s0, s63, 31
	s_lshr_b32 s0, s0, 30
	s_add_i32 s0, s63, s0
	s_ashr_i32 s0, s0, 2
	v_cvt_f32_u32_e32 v1, s0
	s_sub_i32 s1, 0, s0
	v_rcp_iflag_f32_e32 v1, v1
	v_mul_f32_e32 v1, 0x4f7ffffe, v1
	v_cvt_u32_f32_e32 v1, v1
	v_readfirstlane_b32 s2, v1
	s_mul_i32 s1, s1, s2
	s_mul_hi_u32 s1, s2, s1
	s_add_i32 s2, s2, s1
	s_mul_hi_u32 s1, s8, s2
	s_mul_i32 s2, s1, s0
	s_sub_i32 s2, s8, s2
	s_add_i32 s3, s1, 1
	s_sub_i32 s9, s2, s0
	s_cmp_ge_u32 s2, s0
	s_cselect_b32 s1, s3, s1
	s_cselect_b32 s2, s9, s2
	s_add_i32 s3, s1, 1
	s_cmp_ge_u32 s2, s0
	s_cselect_b32 s33, s3, s1
	s_abs_i32 s0, s67
	v_cvt_f32_u32_e32 v1, s0
	s_lshl_b32 s1, s8, 2
	s_mul_i32 s8, s33, s63
	s_sub_i32 s9, 0, s0
	v_rcp_iflag_f32_e32 v1, v1
	s_sub_i32 s64, s1, s8
	s_abs_i32 s3, s63
	s_xor_b32 s2, s63, s67
	v_mul_f32_e32 v1, 0x4f7ffffe, v1
	v_cvt_u32_f32_e32 v1, v1
	s_ashr_i32 s2, s2, 31
	v_readfirstlane_b32 s1, v1
	s_mul_i32 s9, s9, s1
	s_mul_hi_u32 s8, s1, s9
	s_add_i32 s1, s1, s8
	s_mul_hi_u32 s1, s3, s1
	s_mul_i32 s8, s1, s0
	s_sub_i32 s3, s3, s8
	s_add_i32 s9, s1, 1
	s_sub_i32 s8, s3, s0
	s_cmp_ge_u32 s3, s0
	s_cselect_b32 s1, s9, s1
	s_cselect_b32 s3, s8, s3
	s_add_i32 s8, s1, 1
	s_cmp_ge_u32 s3, s0
	s_cselect_b32 s0, s8, s1
	s_xor_b32 s0, s0, s2
	s_sub_i32 s11, s0, s2
	s_abs_i32 s10, s11
	v_cvt_f32_u32_e32 v1, s10
	s_load_dwordx2 s[8:9], s[4:5], 0xb8
	s_cmp_eq_u64 s[50:51], 0
	v_rcp_iflag_f32_e32 v1, v1
	v_mul_f32_e32 v1, 0x4f7ffffe, v1
	v_cvt_u32_f32_e32 v1, v1
	v_readfirstlane_b32 s12, v1
	s_cbranch_scc1 .LBB21_2
; %bb.1:
	s_waitcnt lgkmcnt(0)
	s_abs_i32 s2, s8
	v_cvt_f32_u32_e32 v1, s2
	s_sub_i32 s13, 0, s2
	s_abs_i32 s8, s33
	s_ashr_i32 s3, s33, 31
	v_rcp_iflag_f32_e32 v1, v1
	s_load_dwordx2 s[0:1], s[4:5], 0xc8
	v_mul_f32_e32 v1, 0x4f7ffffe, v1
	v_cvt_u32_f32_e32 v1, v1
	v_readfirstlane_b32 s14, v1
	s_mul_i32 s13, s13, s14
	s_mul_hi_u32 s13, s14, s13
	s_add_i32 s14, s14, s13
	s_mul_hi_u32 s13, s8, s14
	s_mul_i32 s13, s13, s2
	s_sub_i32 s8, s8, s13
	s_sub_i32 s13, s8, s2
	s_cmp_ge_u32 s8, s2
	s_cselect_b32 s8, s13, s8
	s_sub_i32 s13, s8, s2
	s_cmp_ge_u32 s8, s2
	s_cselect_b32 s2, s13, s8
	s_xor_b32 s2, s2, s3
	s_sub_i32 s2, s2, s3
	s_ashr_i32 s3, s2, 31
	s_waitcnt lgkmcnt(0)
	s_mul_i32 s1, s2, s1
	s_mul_hi_u32 s8, s2, s0
	s_add_i32 s1, s8, s1
	s_mul_i32 s3, s3, s0
	s_add_i32 s1, s1, s3
	s_mul_i32 s2, s2, s0
	s_add_u32 s68, s50, s2
	s_addc_u32 s69, s51, s1
.LBB21_2:
	s_load_dwordx4 s[0:3], s[4:5], 0x70
	v_bfe_u32 v5, v0, 10, 10
	v_lshl_add_u32 v73, s6, 3, v5
	v_mul_hi_u32 v1, s60, v73
	v_add_u32_e32 v1, v73, v1
	s_waitcnt lgkmcnt(0)
	s_mul_i32 s2, s33, s2
	s_ashr_i32 s8, s2, 31
	s_mul_i32 s3, s64, s1
	s_add_u32 s2, s44, s2
	s_addc_u32 s8, s45, s8
	s_ashr_i32 s13, s3, 31
	s_add_u32 s18, s2, s3
	v_lshrrev_b32_e32 v1, s61, v1
	s_addc_u32 s8, s8, s13
	s_ashr_i32 s3, s1, 31
	s_mov_b32 s2, s1
	v_mul_lo_u32 v1, v1, s62
	s_lshr_b64 s[14:15], s[2:3], 2
	v_sub_u32_e32 v6, v73, v1
	s_ashr_i32 s2, s0, 31
	v_mov_b32_e32 v1, s0
	v_alignbit_b32 v1, s2, v1, 2
	v_mad_u64_u32 v[2:3], s[16:17], v1, v6, 0
	v_mov_b32_e32 v4, v3
	s_lshr_b32 s0, s2, 2
	v_mad_u64_u32 v[8:9], s[16:17], s0, v6, v[4:5]
	v_mov_b32_e32 v3, v8
	v_and_b32_e32 v72, 0x3ff, v0
	v_lshlrev_b64 v[0:1], 2, v[2:3]
	v_mov_b32_e32 v2, s8
	v_add_co_u32_e32 v0, vcc, s18, v0
	v_addc_co_u32_e32 v1, vcc, v2, v1, vcc
	v_lshlrev_b32_e32 v4, 3, v72
	v_add_co_u32_e32 v0, vcc, v0, v4
	v_addc_co_u32_e32 v1, vcc, 0, v1, vcc
	s_and_b32 s0, s1, -4
	v_mov_b32_e32 v3, s3
	v_add_co_u32_e32 v2, vcc, s0, v0
	v_addc_co_u32_e32 v3, vcc, v1, v3, vcc
	s_lshl_b64 s[14:15], s[14:15], 3
	v_mov_b32_e32 v7, s15
	v_add_co_u32_e32 v8, vcc, s14, v0
	v_addc_co_u32_e32 v9, vcc, v1, v7, vcc
	v_mov_b32_e32 v7, s1
	v_alignbit_b32 v7, s3, v7, 2
	v_mad_u64_u32 v[10:11], s[0:1], v7, 12, v[0:1]
	v_mov_b32_e32 v12, v11
	global_load_dwordx2 v[0:1], v[0:1], off
	s_lshr_b32 s0, s3, 2
	global_load_dwordx2 v[14:15], v[2:3], off
	global_load_dwordx2 v[16:17], v[8:9], off
	v_mad_u64_u32 v[2:3], s[0:1], s0, 12, v[12:13]
	v_mov_b32_e32 v11, v2
	global_load_dwordx2 v[2:3], v[10:11], off
	s_load_dword s0, s[4:5], 0x40
	v_lshlrev_b32_e32 v7, 7, v5
	v_add_lshl_u32 v7, v7, v72, 2
	v_add_u32_e32 v7, 0x3400, v7
	s_cmp_eq_u64 s[54:55], 0
	s_waitcnt vmcnt(3) lgkmcnt(0)
	v_fma_mixlo_f16 v0, v0, s0, 0
	v_fma_mixhi_f16 v0, v1, s0, 0
	s_waitcnt vmcnt(2)
	v_fma_mixlo_f16 v1, v14, s0, 0
	v_fma_mixhi_f16 v1, v15, s0, 0
	s_waitcnt vmcnt(1)
	v_fma_mixlo_f16 v8, v16, s0, 0
	ds_write2_b32 v7, v0, v1 offset1:32
	s_waitcnt vmcnt(0)
	v_fma_mixlo_f16 v0, v2, s0, 0
	v_fma_mixhi_f16 v8, v17, s0, 0
	v_fma_mixhi_f16 v0, v3, s0, 0
	ds_write2_b32 v7, v8, v0 offset0:64 offset1:96
	s_waitcnt lgkmcnt(0)
	s_barrier
	s_cbranch_scc1 .LBB21_4
; %bb.3:
	s_load_dword s0, s[4:5], 0xd0
	s_mov_b32 s1, 0
	s_waitcnt lgkmcnt(0)
	s_mul_i32 s0, s0, s33
	s_add_i32 s0, s0, s6
	s_lshl_b64 s[0:1], s[0:1], 2
	s_add_u32 s0, s54, s0
	s_addc_u32 s1, s55, s1
	s_load_dword s66, s[0:1], 0x0
.LBB21_4:
	s_lshl_b32 s60, s7, 6
	s_waitcnt lgkmcnt(0)
	s_cmp_lt_i32 s60, s66
	v_mbcnt_lo_u32_b32 v7, -1, 0
	s_cbranch_scc1 .LBB21_6
; %bb.5:
	v_mbcnt_hi_u32_b32 v79, -1, v7
	v_and_b32_e32 v0, 0x60, v79
	s_mov_b32 s2, 0
	v_add_u32_e32 v126, 32, v0
	v_xor_b32_e32 v129, 16, v79
	v_xor_b32_e32 v130, 8, v79
	;; [unrolled: 1-line block ×5, first 2 shown]
	s_mov_b64 s[0:1], 0
	s_mov_b32 s3, 0xfeffffff
	s_branch .LBB21_7
.LBB21_6:
	s_mov_b64 s[0:1], -1
                                        ; implicit-def: $sgpr3
                                        ; implicit-def: $sgpr2
                                        ; implicit-def: $vgpr79
                                        ; implicit-def: $vgpr126
                                        ; implicit-def: $vgpr129
                                        ; implicit-def: $vgpr130
                                        ; implicit-def: $vgpr131
                                        ; implicit-def: $vgpr128
                                        ; implicit-def: $vgpr127
.LBB21_7:
	s_andn2_b64 vcc, exec, s[0:1]
	v_mov_b32_e32 v3, s3
	v_mov_b32_e32 v75, s2
	;; [unrolled: 1-line block ×12, first 2 shown]
	s_cbranch_vccnz .LBB21_10
; %bb.8:
	s_sub_i32 s0, 0, s10
	s_mul_i32 s0, s0, s12
	s_mul_hi_u32 s0, s12, s0
	s_add_i32 s8, s12, s0
	s_load_dwordx2 s[12:13], s[4:5], 0x8c
	s_load_dwordx4 s[0:3], s[4:5], 0x98
	s_abs_i32 s6, s64
	s_mul_hi_u32 s8, s6, s8
	s_ashr_i32 s16, s64, 31
	s_waitcnt lgkmcnt(0)
	s_ashr_i32 s65, s12, 2
	s_ashr_i32 s61, s2, 2
	;; [unrolled: 1-line block ×4, first 2 shown]
	s_mul_i32 s1, s33, s1
	s_mul_hi_u32 s12, s33, s0
	s_add_i32 s1, s12, s1
	s_mul_i32 s12, s9, s0
	s_ashr_i32 s11, s11, 31
	s_add_i32 s1, s1, s12
	s_mul_i32 s0, s33, s0
	s_add_u32 s0, s46, s0
	s_mul_i32 s12, s8, s10
	s_addc_u32 s1, s47, s1
	s_sub_i32 s6, s6, s12
	s_xor_b32 s11, s16, s11
	s_add_i32 s12, s8, 1
	s_sub_i32 s16, s6, s10
	s_cmp_ge_u32 s6, s10
	s_cselect_b32 s8, s12, s8
	s_cselect_b32 s6, s16, s6
	s_add_i32 s12, s8, 1
	s_cmp_ge_u32 s6, s10
	s_cselect_b32 s6, s12, s8
	s_load_dwordx2 s[14:15], s[4:5], 0xa8
	s_xor_b32 s6, s6, s11
	s_sub_i32 s6, s6, s11
	s_mul_i32 s8, s6, s13
	s_ashr_i32 s10, s8, 31
	s_add_u32 s67, s0, s8
	s_addc_u32 s70, s1, s10
	s_waitcnt lgkmcnt(0)
	s_mul_i32 s0, s33, s15
	s_mul_hi_u32 s1, s33, s14
	s_add_i32 s0, s1, s0
	s_mul_i32 s9, s9, s14
	s_add_i32 s0, s0, s9
	s_mul_i32 s1, s33, s14
	s_add_u32 s1, s48, s1
	s_mul_i32 s6, s6, s3
	s_addc_u32 s0, s49, s0
	s_ashr_i32 s3, s6, 31
	v_lshlrev_b32_e32 v132, 2, v72
	s_add_u32 s71, s1, s6
	v_lshrrev_b32_e32 v0, 3, v72
	v_and_b32_e32 v2, 28, v132
	s_addc_u32 s72, s0, s3
	v_lshl_add_u32 v0, v5, 2, v0
	v_lshlrev_b32_e32 v1, 2, v2
	s_movk_i32 s0, 0x90
	v_mad_u32_u24 v133, v0, s0, v1
	v_mul_lo_u32 v8, s65, v0
	v_mad_u64_u32 v[78:79], s[0:1], v6, s2, v[72:73]
	v_mul_lo_u32 v12, s61, v0
	v_lshl_add_u32 v10, s65, 5, v8
	v_lshlrev_b32_e32 v3, 9, v5
	v_lshl_add_u32 v14, s61, 5, v12
	v_mbcnt_hi_u32_b32 v79, -1, v7
	v_mov_b32_e32 v26, 0
	v_ashrrev_i32_e32 v9, 31, v8
	v_ashrrev_i32_e32 v11, 31, v10
	v_add_u32_e32 v137, 0x2400, v3
	v_lshl_or_b32 v138, v0, 7, v1
	v_ashrrev_i32_e32 v13, 31, v12
	v_ashrrev_i32_e32 v15, 31, v14
	s_add_u32 s54, s4, 0xd0
	v_mov_b32_e32 v0, 0xfeffffff
	v_and_b32_e32 v1, 0x60, v79
	v_add_u32_e32 v134, 0x1200, v133
	v_mul_u32_u24_e32 v135, 0x90, v72
	v_add_u32_e32 v136, 0x3400, v3
	v_add_u32_e32 v139, 0x1000, v138
	s_addc_u32 s55, s5, 0
	v_lshlrev_b64 v[80:81], 2, v[8:9]
	v_lshlrev_b32_e32 v140, 2, v2
	v_lshlrev_b64 v[82:83], 2, v[10:11]
	v_add_u32_e32 v126, 32, v1
	v_xor_b32_e32 v129, 16, v79
	v_xor_b32_e32 v130, 8, v79
	v_xor_b32_e32 v131, 4, v79
	v_xor_b32_e32 v128, 2, v79
	v_xor_b32_e32 v127, 1, v79
	v_mov_b32_e32 v141, s69
	s_mov_b32 s6, 0x40051340
	s_mov_b32 s69, 0x3fb8aa3b
	;; [unrolled: 1-line block ×4, first 2 shown]
	v_mov_b32_e32 v142, 0x7f800000
	v_add_u32_e32 v143, v137, v4
	v_lshlrev_b64 v[84:85], 2, v[12:13]
	v_lshlrev_b64 v[86:87], 2, v[14:15]
	v_add_u32_e32 v144, 0x400, v132
	v_add_u32_e32 v145, 0x800, v132
	;; [unrolled: 1-line block ×7, first 2 shown]
	v_mov_b32_e32 v30, 0
	v_mov_b32_e32 v28, 0
	;; [unrolled: 1-line block ×10, first 2 shown]
.LBB21_9:                               ; =>This Inner Loop Header: Depth=1
	s_mul_hi_i32 s13, s60, s65
	s_mul_i32 s12, s60, s65
	v_add_u32_e32 v4, s60, v78
	v_cmp_lt_i32_e64 s[0:1], v130, v126
	v_cmp_lt_i32_e64 s[2:3], v131, v126
	v_cndmask_b32_e64 v7, v79, v130, s[0:1]
	s_lshl_b64 s[0:1], s[12:13], 2
	v_ashrrev_i32_e32 v5, 31, v4
	v_cmp_lt_i32_e32 vcc, v129, v126
	v_cmp_lt_i32_e64 s[10:11], v128, v126
	v_cmp_lt_i32_e64 s[8:9], v127, v126
	v_cndmask_b32_e64 v8, v79, v131, s[2:3]
	s_add_u32 s2, s67, s0
	v_lshlrev_b64 v[4:5], 1, v[4:5]
	s_mul_hi_i32 s15, s60, s61
	s_mul_i32 s14, s60, s61
	v_cndmask_b32_e32 v6, v79, v129, vcc
	v_cndmask_b32_e64 v9, v79, v128, s[10:11]
	v_cndmask_b32_e64 v10, v79, v127, s[8:9]
	s_addc_u32 s8, s70, s1
	v_add_co_u32_e32 v4, vcc, s68, v4
	v_lshlrev_b32_e32 v52, 2, v6
	v_lshlrev_b32_e32 v53, 2, v7
	;; [unrolled: 1-line block ×4, first 2 shown]
	s_lshl_b64 s[10:11], s[14:15], 2
	v_add_co_u32_e64 v6, s[0:1], s2, v82
	v_add_co_u32_e64 v7, s[2:3], s2, v80
	v_addc_co_u32_e32 v5, vcc, v141, v5, vcc
	v_mov_b32_e32 v8, s8
	v_mov_b32_e32 v9, s8
	v_lshlrev_b32_e32 v56, 2, v10
	s_add_u32 s10, s71, s10
	v_add_co_u32_e32 v10, vcc, v6, v140
	v_add_co_u32_e64 v36, s[8:9], v7, v140
	v_addc_co_u32_e64 v6, s[2:3], v8, v81, s[2:3]
	v_addc_co_u32_e64 v7, s[0:1], v9, v83, s[0:1]
	v_add_co_u32_e64 v8, s[0:1], s10, v84
	v_add_co_u32_e64 v9, s[2:3], s10, v86
	v_addc_co_u32_e64 v37, s[8:9], 0, v6, s[8:9]
	v_addc_co_u32_e32 v11, vcc, 0, v7, vcc
	v_add_co_u32_e32 v24, vcc, v9, v140
	v_add_co_u32_e64 v22, s[8:9], v8, v140
	global_load_dwordx4 v[6:9], v[36:37], off
	global_load_dwordx4 v[32:35], v[10:11], off
	v_mov_b32_e32 v12, 0
	v_mov_b32_e32 v13, 0
	;; [unrolled: 1-line block ×8, first 2 shown]
	s_addc_u32 s11, s72, s11
	v_mov_b32_e32 v23, s11
	v_mov_b32_e32 v25, s11
	v_addc_co_u32_e64 v10, s[0:1], v23, v85, s[0:1]
	v_addc_co_u32_e64 v11, s[0:1], v25, v87, s[2:3]
	;; [unrolled: 1-line block ×3, first 2 shown]
	v_addc_co_u32_e32 v25, vcc, 0, v11, vcc
	v_mov_b32_e32 v18, v2
	v_mov_b32_e32 v19, v3
	;; [unrolled: 1-line block ×4, first 2 shown]
	s_waitcnt vmcnt(1)
	ds_write_b128 v133, v[6:9]
	s_waitcnt vmcnt(0)
	ds_write_b128 v134, v[32:35]
	s_waitcnt lgkmcnt(0)
	s_barrier
	ds_read_b128 v[6:9], v136
	ds_read_b128 v[32:35], v135
	ds_read_b128 v[36:39], v135 offset:4608
	ds_read_b128 v[40:43], v136 offset:128
	;; [unrolled: 1-line block ×4, first 2 shown]
	s_waitcnt lgkmcnt(4)
	;;#ASMSTART
	v_dot2_f32_f16 v12, v32, v6, v12
	;;#ASMEND
	;;#ASMSTART
	v_dot2_f32_f16 v12, v33, v7, v12
	;;#ASMEND
	;;#ASMSTART
	v_dot2_f32_f16 v12, v34, v8, v12
	;;#ASMEND
	;;#ASMSTART
	v_dot2_f32_f16 v12, v35, v9, v12
	;;#ASMEND
	s_waitcnt lgkmcnt(2)
	;;#ASMSTART
	v_dot2_f32_f16 v13, v32, v40, v13
	;;#ASMEND
	;;#ASMSTART
	v_dot2_f32_f16 v13, v33, v41, v13
	;;#ASMEND
	;;#ASMSTART
	v_dot2_f32_f16 v13, v34, v42, v13
	;;#ASMEND
	;;#ASMSTART
	v_dot2_f32_f16 v13, v35, v43, v13
	;;#ASMEND
	;; [unrolled: 13-line block ×4, first 2 shown]
	;;#ASMSTART
	v_dot2_f32_f16 v16, v36, v6, v16
	;;#ASMEND
	;;#ASMSTART
	v_dot2_f32_f16 v16, v37, v7, v16
	;;#ASMEND
	;; [unrolled: 3-line block ×16, first 2 shown]
	ds_read_b128 v[6:9], v136 offset:16
	ds_read_b128 v[32:35], v135 offset:16
	ds_read_b128 v[36:39], v135 offset:4624
	ds_read_b128 v[40:43], v136 offset:144
	ds_read_b128 v[44:47], v136 offset:272
	ds_read_b128 v[48:51], v136 offset:400
	s_waitcnt lgkmcnt(4)
	;;#ASMSTART
	v_dot2_f32_f16 v12, v32, v6, v12
	;;#ASMEND
	;;#ASMSTART
	v_dot2_f32_f16 v12, v33, v7, v12
	;;#ASMEND
	;;#ASMSTART
	v_dot2_f32_f16 v12, v34, v8, v12
	;;#ASMEND
	;;#ASMSTART
	v_dot2_f32_f16 v12, v35, v9, v12
	;;#ASMEND
	s_waitcnt lgkmcnt(2)
	;;#ASMSTART
	v_dot2_f32_f16 v13, v32, v40, v13
	;;#ASMEND
	;;#ASMSTART
	v_dot2_f32_f16 v13, v33, v41, v13
	;;#ASMEND
	;;#ASMSTART
	v_dot2_f32_f16 v13, v34, v42, v13
	;;#ASMEND
	;;#ASMSTART
	v_dot2_f32_f16 v13, v35, v43, v13
	;;#ASMEND
	;; [unrolled: 13-line block ×4, first 2 shown]
	;;#ASMSTART
	v_dot2_f32_f16 v16, v36, v6, v16
	;;#ASMEND
	;;#ASMSTART
	v_dot2_f32_f16 v16, v37, v7, v16
	;;#ASMEND
	;; [unrolled: 3-line block ×16, first 2 shown]
	ds_read_b128 v[6:9], v136 offset:32
	ds_read_b128 v[32:35], v135 offset:32
	;; [unrolled: 1-line block ×6, first 2 shown]
	s_waitcnt lgkmcnt(4)
	;;#ASMSTART
	v_dot2_f32_f16 v12, v32, v6, v12
	;;#ASMEND
	;;#ASMSTART
	v_dot2_f32_f16 v12, v33, v7, v12
	;;#ASMEND
	;;#ASMSTART
	v_dot2_f32_f16 v12, v34, v8, v12
	;;#ASMEND
	;;#ASMSTART
	v_dot2_f32_f16 v12, v35, v9, v12
	;;#ASMEND
	s_waitcnt lgkmcnt(2)
	;;#ASMSTART
	v_dot2_f32_f16 v13, v32, v40, v13
	;;#ASMEND
	;;#ASMSTART
	v_dot2_f32_f16 v13, v33, v41, v13
	;;#ASMEND
	;;#ASMSTART
	v_dot2_f32_f16 v13, v34, v42, v13
	;;#ASMEND
	;;#ASMSTART
	v_dot2_f32_f16 v13, v35, v43, v13
	;;#ASMEND
	;; [unrolled: 13-line block ×4, first 2 shown]
	;;#ASMSTART
	v_dot2_f32_f16 v16, v36, v6, v16
	;;#ASMEND
	;;#ASMSTART
	v_dot2_f32_f16 v16, v37, v7, v16
	;;#ASMEND
	;; [unrolled: 3-line block ×16, first 2 shown]
	ds_read_b128 v[6:9], v136 offset:48
	ds_read_b128 v[32:35], v135 offset:48
	;; [unrolled: 1-line block ×6, first 2 shown]
	s_waitcnt lgkmcnt(4)
	;;#ASMSTART
	v_dot2_f32_f16 v12, v32, v6, v12
	;;#ASMEND
	;;#ASMSTART
	v_dot2_f32_f16 v12, v33, v7, v12
	;;#ASMEND
	;;#ASMSTART
	v_dot2_f32_f16 v12, v34, v8, v12
	;;#ASMEND
	;;#ASMSTART
	v_dot2_f32_f16 v12, v35, v9, v12
	;;#ASMEND
	s_waitcnt lgkmcnt(2)
	;;#ASMSTART
	v_dot2_f32_f16 v13, v32, v40, v13
	;;#ASMEND
	;;#ASMSTART
	v_dot2_f32_f16 v13, v33, v41, v13
	;;#ASMEND
	;;#ASMSTART
	v_dot2_f32_f16 v13, v34, v42, v13
	;;#ASMEND
	;;#ASMSTART
	v_dot2_f32_f16 v13, v35, v43, v13
	;;#ASMEND
	;; [unrolled: 13-line block ×4, first 2 shown]
	;;#ASMSTART
	v_dot2_f32_f16 v16, v36, v6, v16
	;;#ASMEND
	;;#ASMSTART
	v_dot2_f32_f16 v16, v37, v7, v16
	;;#ASMEND
	;; [unrolled: 3-line block ×16, first 2 shown]
	ds_read_b128 v[6:9], v136 offset:64
	ds_read_b128 v[32:35], v135 offset:64
	ds_read_b128 v[36:39], v135 offset:4672
	ds_read_b128 v[40:43], v136 offset:192
	ds_read_b128 v[44:47], v136 offset:320
	ds_read_b128 v[48:51], v136 offset:448
	s_waitcnt lgkmcnt(4)
	;;#ASMSTART
	v_dot2_f32_f16 v12, v32, v6, v12
	;;#ASMEND
	;;#ASMSTART
	v_dot2_f32_f16 v12, v33, v7, v12
	;;#ASMEND
	;;#ASMSTART
	v_dot2_f32_f16 v12, v34, v8, v12
	;;#ASMEND
	;;#ASMSTART
	v_dot2_f32_f16 v12, v35, v9, v12
	;;#ASMEND
	s_waitcnt lgkmcnt(2)
	;;#ASMSTART
	v_dot2_f32_f16 v13, v32, v40, v13
	;;#ASMEND
	;;#ASMSTART
	v_dot2_f32_f16 v13, v33, v41, v13
	;;#ASMEND
	;;#ASMSTART
	v_dot2_f32_f16 v13, v34, v42, v13
	;;#ASMEND
	;;#ASMSTART
	v_dot2_f32_f16 v13, v35, v43, v13
	;;#ASMEND
	;; [unrolled: 13-line block ×4, first 2 shown]
	;;#ASMSTART
	v_dot2_f32_f16 v16, v36, v6, v16
	;;#ASMEND
	;;#ASMSTART
	v_dot2_f32_f16 v16, v37, v7, v16
	;;#ASMEND
	;; [unrolled: 3-line block ×16, first 2 shown]
	ds_read_b128 v[6:9], v136 offset:80
	ds_read_b128 v[32:35], v135 offset:80
	;; [unrolled: 1-line block ×6, first 2 shown]
	s_waitcnt lgkmcnt(4)
	;;#ASMSTART
	v_dot2_f32_f16 v12, v32, v6, v12
	;;#ASMEND
	;;#ASMSTART
	v_dot2_f32_f16 v12, v33, v7, v12
	;;#ASMEND
	;;#ASMSTART
	v_dot2_f32_f16 v12, v34, v8, v12
	;;#ASMEND
	;;#ASMSTART
	v_dot2_f32_f16 v12, v35, v9, v12
	;;#ASMEND
	s_waitcnt lgkmcnt(2)
	;;#ASMSTART
	v_dot2_f32_f16 v13, v32, v40, v13
	;;#ASMEND
	;;#ASMSTART
	v_dot2_f32_f16 v13, v33, v41, v13
	;;#ASMEND
	;;#ASMSTART
	v_dot2_f32_f16 v13, v34, v42, v13
	;;#ASMEND
	;;#ASMSTART
	v_dot2_f32_f16 v13, v35, v43, v13
	;;#ASMEND
	;; [unrolled: 13-line block ×4, first 2 shown]
	;;#ASMSTART
	v_dot2_f32_f16 v16, v36, v6, v16
	;;#ASMEND
	;;#ASMSTART
	v_dot2_f32_f16 v16, v37, v7, v16
	;;#ASMEND
	;; [unrolled: 3-line block ×16, first 2 shown]
	ds_read_b128 v[6:9], v136 offset:96
	ds_read_b128 v[32:35], v135 offset:96
	;; [unrolled: 1-line block ×6, first 2 shown]
	s_waitcnt lgkmcnt(4)
	;;#ASMSTART
	v_dot2_f32_f16 v12, v32, v6, v12
	;;#ASMEND
	;;#ASMSTART
	v_dot2_f32_f16 v12, v33, v7, v12
	;;#ASMEND
	;;#ASMSTART
	v_dot2_f32_f16 v12, v34, v8, v12
	;;#ASMEND
	;;#ASMSTART
	v_dot2_f32_f16 v12, v35, v9, v12
	;;#ASMEND
	s_waitcnt lgkmcnt(2)
	;;#ASMSTART
	v_dot2_f32_f16 v13, v32, v40, v13
	;;#ASMEND
	;;#ASMSTART
	v_dot2_f32_f16 v13, v33, v41, v13
	;;#ASMEND
	;;#ASMSTART
	v_dot2_f32_f16 v13, v34, v42, v13
	;;#ASMEND
	;;#ASMSTART
	v_dot2_f32_f16 v13, v35, v43, v13
	;;#ASMEND
	;; [unrolled: 13-line block ×4, first 2 shown]
	;;#ASMSTART
	v_dot2_f32_f16 v16, v36, v6, v16
	;;#ASMEND
	;;#ASMSTART
	v_dot2_f32_f16 v16, v37, v7, v16
	;;#ASMEND
	;; [unrolled: 3-line block ×16, first 2 shown]
	ds_read_b128 v[6:9], v136 offset:112
	ds_read_b128 v[32:35], v135 offset:112
	;; [unrolled: 1-line block ×6, first 2 shown]
	s_waitcnt lgkmcnt(4)
	;;#ASMSTART
	v_dot2_f32_f16 v12, v32, v6, v12
	;;#ASMEND
	;;#ASMSTART
	v_dot2_f32_f16 v12, v33, v7, v12
	;;#ASMEND
	;;#ASMSTART
	v_dot2_f32_f16 v12, v34, v8, v12
	;;#ASMEND
	;;#ASMSTART
	v_dot2_f32_f16 v12, v35, v9, v12
	;;#ASMEND
	s_waitcnt lgkmcnt(2)
	;;#ASMSTART
	v_dot2_f32_f16 v13, v32, v40, v13
	;;#ASMEND
	;;#ASMSTART
	v_dot2_f32_f16 v13, v33, v41, v13
	;;#ASMEND
	;;#ASMSTART
	v_dot2_f32_f16 v13, v34, v42, v13
	;;#ASMEND
	;;#ASMSTART
	v_dot2_f32_f16 v13, v35, v43, v13
	;;#ASMEND
	;; [unrolled: 13-line block ×4, first 2 shown]
	;;#ASMSTART
	v_dot2_f32_f16 v16, v36, v6, v16
	;;#ASMEND
	;;#ASMSTART
	v_dot2_f32_f16 v16, v37, v7, v16
	;;#ASMEND
	;; [unrolled: 3-line block ×16, first 2 shown]
	flat_load_ushort v32, v[4:5]
	flat_load_ushort v33, v[4:5] offset:64
	s_waitcnt lgkmcnt(0)
	s_barrier
	global_load_dwordx4 v[4:7], v[22:23], off
	global_load_dwordx4 v[8:11], v[24:25], off
	s_waitcnt vmcnt(0)
	v_cvt_f32_f16_e32 v22, v32
	v_cvt_f32_f16_e32 v23, v33
	v_add_f32_e32 v24, v27, v22
	v_pk_add_f32 v[14:15], v[14:15], v[22:23]
	v_add_f32_e32 v32, v31, v23
	v_pk_add_f32 v[12:13], v[12:13], v[22:23] op_sel_hi:[1,0]
	v_mov_b32_e32 v22, v23
	v_mov_b32_e32 v25, v14
	;; [unrolled: 1-line block ×3, first 2 shown]
	v_pk_add_f32 v[16:17], v[16:17], v[22:23] op_sel_hi:[1,0]
	v_pk_add_f32 v[22:23], v[24:25], s[6:7] op_sel_hi:[1,0]
	;; [unrolled: 1-line block ×5, first 2 shown]
	v_max3_f32 v3, v3, v23, v37
	v_max3_f32 v2, v2, v22, v36
	v_max3_f32 v1, v1, v35, v39
	v_max3_f32 v0, v0, v34, v38
	ds_bpermute_b32 v22, v52, v3
	ds_bpermute_b32 v23, v52, v2
	ds_bpermute_b32 v25, v52, v1
	ds_bpermute_b32 v27, v52, v0
	s_waitcnt lgkmcnt(3)
	v_max_f32_e32 v22, v22, v22
	s_waitcnt lgkmcnt(2)
	v_max_f32_e32 v23, v23, v23
	s_waitcnt lgkmcnt(1)
	v_max_f32_e32 v25, v25, v25
	s_waitcnt lgkmcnt(0)
	v_max_f32_e32 v27, v27, v27
	v_max_f32_e32 v3, v3, v22
	v_max_f32_e32 v2, v2, v23
	v_max_f32_e32 v1, v1, v25
	v_max_f32_e32 v0, v0, v27
	ds_bpermute_b32 v22, v53, v3
	ds_bpermute_b32 v23, v53, v2
	ds_bpermute_b32 v25, v53, v1
	ds_bpermute_b32 v27, v53, v0
	s_waitcnt lgkmcnt(3)
	v_max_f32_e32 v22, v22, v22
	s_waitcnt lgkmcnt(2)
	v_max_f32_e32 v23, v23, v23
	s_waitcnt lgkmcnt(1)
	v_max_f32_e32 v25, v25, v25
	s_waitcnt lgkmcnt(0)
	v_max_f32_e32 v27, v27, v27
	v_max_f32_e32 v3, v3, v22
	v_max_f32_e32 v2, v2, v23
	v_max_f32_e32 v1, v1, v25
	v_max_f32_e32 v0, v0, v27
	;; [unrolled: 16-line block ×5, first 2 shown]
	v_sub_f32_e32 v23, v24, v2
	v_sub_f32_e32 v24, v32, v2
	v_pk_add_f32 v[18:19], v[18:19], v[2:3] neg_lo:[0,1] neg_hi:[0,1]
	v_mov_b32_e32 v22, v3
	v_pk_add_f32 v[12:13], v[12:13], v[0:1] neg_lo:[0,1] neg_hi:[0,1]
	v_pk_add_f32 v[16:17], v[16:17], v[0:1] neg_lo:[0,1] neg_hi:[0,1]
	v_mul_f32_e32 v25, 0x3fb8aa3b, v23
	v_mul_f32_e32 v27, 0x3fb8aa3b, v24
	;; [unrolled: 1-line block ×4, first 2 shown]
	v_pk_add_f32 v[14:15], v[14:15], v[22:23] op_sel_hi:[1,0] neg_lo:[0,1] neg_hi:[0,1]
	v_pk_add_f32 v[20:21], v[20:21], v[0:1] neg_lo:[0,1] neg_hi:[0,1]
	v_mul_f32_e32 v22, 0x3fb8aa3b, v13
	v_mul_f32_e32 v33, 0x3fb8aa3b, v12
	;; [unrolled: 1-line block ×4, first 2 shown]
	v_fma_f32 v38, v23, s69, -v25
	v_rndne_f32_e32 v39, v25
	v_fma_f32 v40, v24, s69, -v27
	v_rndne_f32_e32 v41, v27
	;; [unrolled: 2-line block ×4, first 2 shown]
	v_mul_f32_e32 v46, 0x3fb8aa3b, v15
	v_mul_f32_e32 v47, 0x3fb8aa3b, v14
	;; [unrolled: 1-line block ×4, first 2 shown]
	v_cmp_ngt_f32_e32 vcc, s73, v24
	v_cmp_ngt_f32_e64 s[0:1], s73, v19
	v_cmp_ngt_f32_e64 s[50:51], s73, v18
	v_cmp_ngt_f32_e64 s[36:37], s73, v23
	v_cmp_nlt_f32_e64 s[18:19], s74, v24
	v_cmp_nlt_f32_e64 s[20:21], s74, v19
	;; [unrolled: 1-line block ×4, first 2 shown]
	v_fma_f32 v48, v13, s69, -v22
	v_rndne_f32_e32 v49, v22
	v_fma_f32 v50, v12, s69, -v33
	v_rndne_f32_e32 v51, v33
	;; [unrolled: 2-line block ×4, first 2 shown]
	v_fmac_f32_e32 v38, 0x32a5705f, v23
	v_sub_f32_e32 v23, v25, v39
	v_cvt_i32_f32_e32 v25, v39
	v_fmac_f32_e32 v40, 0x32a5705f, v24
	v_sub_f32_e32 v24, v27, v41
	v_cvt_i32_f32_e32 v27, v41
	;; [unrolled: 3-line block ×4, first 2 shown]
	v_fma_f32 v39, v15, s69, -v46
	v_rndne_f32_e32 v41, v46
	v_fma_f32 v43, v14, s69, -v47
	v_rndne_f32_e32 v45, v47
	v_cmp_ngt_f32_e64 s[2:3], s73, v13
	v_cmp_ngt_f32_e64 s[8:9], s73, v12
	;; [unrolled: 1-line block ×4, first 2 shown]
	v_cmp_nlt_f32_e64 s[24:25], s74, v13
	v_cmp_nlt_f32_e64 s[26:27], s74, v12
	;; [unrolled: 1-line block ×4, first 2 shown]
	v_fma_f32 v56, v21, s69, -v36
	v_rndne_f32_e32 v57, v36
	v_fma_f32 v58, v20, s69, -v37
	v_rndne_f32_e32 v59, v37
	v_cmp_ngt_f32_e64 s[44:45], s73, v15
	v_cmp_ngt_f32_e64 s[46:47], s73, v14
	v_cmp_nlt_f32_e64 s[42:43], s74, v14
	v_cmp_nlt_f32_e64 s[48:49], s74, v15
	v_fmac_f32_e32 v48, 0x32a5705f, v13
	v_sub_f32_e32 v13, v22, v49
	v_fmac_f32_e32 v50, 0x32a5705f, v12
	v_sub_f32_e32 v12, v33, v51
	;; [unrolled: 2-line block ×4, first 2 shown]
	v_add_f32_e32 v23, v23, v38
	v_add_f32_e32 v24, v24, v40
	v_fmac_f32_e32 v39, 0x32a5705f, v15
	v_sub_f32_e32 v15, v46, v41
	v_fmac_f32_e32 v43, 0x32a5705f, v14
	v_sub_f32_e32 v14, v47, v45
	v_cmp_ngt_f32_e64 s[14:15], s73, v21
	v_cmp_ngt_f32_e64 s[16:17], s73, v20
	v_cmp_nlt_f32_e64 s[34:35], s74, v21
	v_cmp_nlt_f32_e64 s[38:39], s74, v20
	v_fmac_f32_e32 v56, 0x32a5705f, v21
	v_sub_f32_e32 v21, v36, v57
	v_fmac_f32_e32 v58, 0x32a5705f, v20
	v_sub_f32_e32 v20, v37, v59
	v_add_f32_e32 v19, v19, v42
	v_add_f32_e32 v18, v18, v44
	;; [unrolled: 1-line block ×6, first 2 shown]
	v_exp_f32_e32 v23, v23
	v_exp_f32_e32 v24, v24
	v_add_f32_e32 v15, v15, v39
	v_add_f32_e32 v14, v14, v43
	v_cvt_i32_f32_e32 v22, v49
	v_cvt_i32_f32_e32 v33, v51
	;; [unrolled: 1-line block ×6, first 2 shown]
	v_add_f32_e32 v21, v21, v56
	v_add_f32_e32 v20, v20, v58
	v_exp_f32_e32 v19, v19
	v_exp_f32_e32 v18, v18
	;; [unrolled: 1-line block ×8, first 2 shown]
	v_cvt_i32_f32_e32 v36, v57
	v_cvt_i32_f32_e32 v37, v59
	v_exp_f32_e32 v21, v21
	v_exp_f32_e32 v20, v20
	v_ldexp_f32 v23, v23, v25
	v_ldexp_f32 v24, v24, v27
	;; [unrolled: 1-line block ×8, first 2 shown]
	v_cndmask_b32_e64 v22, 0, v23, s[36:37]
	v_cndmask_b32_e32 v23, 0, v24, vcc
	v_ldexp_f32 v15, v15, v38
	v_ldexp_f32 v24, v14, v40
	v_ldexp_f32 v21, v21, v36
	v_ldexp_f32 v20, v20, v37
	v_cndmask_b32_e64 v19, 0, v19, s[0:1]
	v_cndmask_b32_e64 v18, 0, v18, s[50:51]
	;; [unrolled: 1-line block ×22, first 2 shown]
	v_cvt_f16_f32_e32 v25, v12
	v_cvt_f16_f32_e32 v27, v14
	;; [unrolled: 1-line block ×6, first 2 shown]
	v_pk_add_f32 v[18:19], v[18:19], v[20:21]
	v_cvt_f16_f32_e32 v20, v13
	v_cvt_f16_f32_e32 v21, v15
	;; [unrolled: 1-line block ×6, first 2 shown]
	v_pk_add_f32 v[12:13], v[12:13], v[14:15]
	v_pk_fma_f32 v[74:75], v[74:75], v[16:17], v[12:13]
	v_pack_b32_f16 v12, v33, v32
	v_pack_b32_f16 v14, v34, v35
	;; [unrolled: 1-line block ×4, first 2 shown]
	v_pk_fma_f32 v[76:77], v[76:77], v[22:23], v[18:19]
	v_pk_mul_f16 v151, v24, v26 op_sel_hi:[0,1]
	ds_write2_b64 v143, v[12:13], v[14:15] offset1:32
	ds_write_b128 v138, v[4:7]
	ds_write_b128 v139, v[8:11]
	s_waitcnt lgkmcnt(0)
	s_barrier
	ds_read2_b32 v[100:101], v132 offset1:32
	ds_read_b128 v[32:35], v137
	ds_read_b128 v[44:47], v137 offset:16
	ds_read_b128 v[60:63], v137 offset:32
	ds_read_b128 v[48:51], v137 offset:48
	ds_read2_b32 v[110:111], v132 offset0:64 offset1:96
	ds_read2_b32 v[112:113], v132 offset0:128 offset1:160
	;; [unrolled: 1-line block ×3, first 2 shown]
	ds_read2_b32 v[122:123], v144 offset1:32
	ds_read2_b32 v[124:125], v144 offset0:64 offset1:96
	ds_read_b128 v[152:155], v137 offset:64
	ds_read_b128 v[68:71], v137 offset:80
	ds_read2_b32 v[120:121], v144 offset0:128 offset1:160
	ds_read2_b32 v[116:117], v144 offset0:192 offset1:224
	ds_read_b128 v[64:67], v137 offset:96
	ds_read_b128 v[56:59], v137 offset:112
	ds_read2_b32 v[114:115], v145 offset1:32
	ds_read2_b32 v[108:109], v145 offset0:64 offset1:96
	ds_read_b128 v[52:55], v137 offset:128
	ds_read_b128 v[40:43], v137 offset:144
	ds_read2_b32 v[106:107], v145 offset0:128 offset1:160
	ds_read2_b32 v[102:103], v145 offset0:192 offset1:224
	ds_read_b128 v[36:39], v137 offset:160
	ds_read_b128 v[24:27], v137 offset:176
	;; [unrolled: 8-line block ×3, first 2 shown]
	ds_read2_b32 v[92:93], v147 offset1:32
	ds_read2_b32 v[96:97], v147 offset0:64 offset1:96
	ds_read_b128 v[16:19], v137 offset:256
	s_waitcnt lgkmcnt(14)
	v_pk_mul_f16 v156, v100, v32 op_sel:[0,1]
	v_pk_fma_f16 v105, v105, v28, v156 op_sel_hi:[0,1,1]
	v_pk_mul_f16 v28, v100, v32 op_sel_hi:[1,0]
	v_pk_mul_f16 v32, v100, v33 op_sel_hi:[1,0]
	v_pk_fma_f16 v104, v104, v30, v28 op_sel_hi:[0,1,1]
	v_pk_fma_f16 v32, v31, v29, v32 op_sel_hi:[0,1,1]
	v_pk_fma_f16 v33, v100, v33, v151 op_sel:[0,1,0]
	v_pk_fma_f16 v33, v101, v35, v33 op_sel:[0,1,0]
	v_pk_fma_f16 v151, v101, v34, v104 op_sel_hi:[1,0,1]
	v_pk_fma_f16 v34, v101, v34, v105 op_sel:[0,1,0]
	v_pk_fma_f16 v32, v101, v35, v32 op_sel_hi:[1,0,1]
	;; [unrolled: 2-line block ×38, first 2 shown]
	s_waitcnt lgkmcnt(12)
	v_pk_fma_f16 v108, v106, v37, v108 op_sel:[0,1,0]
	v_pk_fma_f16 v151, v106, v36, v151 op_sel_hi:[1,0,1]
	v_pk_fma_f16 v36, v106, v36, v156 op_sel:[0,1,0]
	v_pk_fma_f16 v37, v106, v37, v109 op_sel_hi:[1,0,1]
	v_pk_fma_f16 v156, v107, v39, v108 op_sel:[0,1,0]
	v_pk_fma_f16 v151, v107, v38, v151 op_sel_hi:[1,0,1]
	v_pk_fma_f16 v36, v107, v38, v36 op_sel:[0,1,0]
	v_pk_fma_f16 v37, v107, v39, v37 op_sel_hi:[1,0,1]
	s_waitcnt lgkmcnt(11)
	v_pk_fma_f16 v38, v102, v25, v156 op_sel:[0,1,0]
	v_pk_fma_f16 v39, v102, v24, v151 op_sel_hi:[1,0,1]
	v_pk_fma_f16 v24, v102, v24, v36 op_sel:[0,1,0]
	v_pk_fma_f16 v25, v102, v25, v37 op_sel_hi:[1,0,1]
	v_pk_fma_f16 v102, v103, v27, v38 op_sel:[0,1,0]
	v_pk_fma_f16 v151, v103, v26, v39 op_sel_hi:[1,0,1]
	v_pk_fma_f16 v156, v103, v26, v24 op_sel:[0,1,0]
	v_pk_fma_f16 v103, v103, v27, v25 op_sel_hi:[1,0,1]
	;; [unrolled: 9-line block ×4, first 2 shown]
	s_waitcnt lgkmcnt(4)
	v_pk_fma_f16 v94, v88, v13, v94 op_sel:[0,1,0]
	v_pk_fma_f16 v151, v88, v12, v151 op_sel_hi:[1,0,1]
	v_pk_fma_f16 v12, v88, v12, v156 op_sel:[0,1,0]
	v_pk_fma_f16 v13, v88, v13, v95 op_sel_hi:[1,0,1]
	ds_read_b128 v[28:31], v137 offset:272
	v_pk_fma_f16 v88, v89, v15, v94 op_sel:[0,1,0]
	v_pk_fma_f16 v94, v89, v14, v151 op_sel_hi:[1,0,1]
	v_pk_fma_f16 v12, v89, v14, v12 op_sel:[0,1,0]
	v_pk_fma_f16 v13, v89, v15, v13 op_sel_hi:[1,0,1]
	s_waitcnt lgkmcnt(4)
	v_pk_fma_f16 v14, v90, v5, v88 op_sel:[0,1,0]
	v_pk_fma_f16 v15, v90, v4, v94 op_sel_hi:[1,0,1]
	v_pk_fma_f16 v4, v90, v4, v12 op_sel:[0,1,0]
	v_pk_fma_f16 v5, v90, v5, v13 op_sel_hi:[1,0,1]
	v_pk_fma_f16 v12, v91, v7, v14 op_sel:[0,1,0]
	v_pk_fma_f16 v13, v91, v6, v15 op_sel_hi:[1,0,1]
	v_pk_fma_f16 v4, v91, v6, v4 op_sel:[0,1,0]
	v_pk_fma_f16 v5, v91, v7, v5 op_sel_hi:[1,0,1]
	ds_read2_b32 v[104:105], v147 offset0:128 offset1:160
	ds_read2_b32 v[100:101], v147 offset0:192 offset1:224
	ds_read_b128 v[44:47], v137 offset:288
	ds_read_b128 v[32:35], v137 offset:304
	s_waitcnt lgkmcnt(5)
	v_pk_fma_f16 v6, v92, v17, v12 op_sel:[0,1,0]
	v_pk_fma_f16 v7, v92, v16, v13 op_sel_hi:[1,0,1]
	v_pk_fma_f16 v4, v92, v16, v4 op_sel:[0,1,0]
	v_pk_fma_f16 v5, v92, v17, v5 op_sel_hi:[1,0,1]
	v_pk_fma_f16 v6, v93, v19, v6 op_sel:[0,1,0]
	v_pk_fma_f16 v7, v93, v18, v7 op_sel_hi:[1,0,1]
	v_pk_fma_f16 v4, v93, v18, v4 op_sel:[0,1,0]
	v_pk_fma_f16 v5, v93, v19, v5 op_sel_hi:[1,0,1]
	s_waitcnt lgkmcnt(4)
	v_pk_fma_f16 v6, v96, v29, v6 op_sel:[0,1,0]
	v_pk_fma_f16 v7, v96, v28, v7 op_sel_hi:[1,0,1]
	v_pk_fma_f16 v4, v96, v28, v4 op_sel:[0,1,0]
	v_pk_fma_f16 v5, v96, v29, v5 op_sel_hi:[1,0,1]
	v_pk_fma_f16 v6, v97, v31, v6 op_sel:[0,1,0]
	v_pk_fma_f16 v7, v97, v30, v7 op_sel_hi:[1,0,1]
	v_pk_fma_f16 v4, v97, v30, v4 op_sel:[0,1,0]
	v_pk_fma_f16 v5, v97, v31, v5 op_sel_hi:[1,0,1]
	ds_read2_b32 v[112:113], v148 offset1:32
	ds_read2_b32 v[110:111], v148 offset0:64 offset1:96
	ds_read_b128 v[60:63], v137 offset:320
	ds_read_b128 v[48:51], v137 offset:336
	s_waitcnt lgkmcnt(5)
	v_pk_fma_f16 v6, v104, v45, v6 op_sel:[0,1,0]
	v_pk_fma_f16 v7, v104, v44, v7 op_sel_hi:[1,0,1]
	v_pk_fma_f16 v4, v104, v44, v4 op_sel:[0,1,0]
	v_pk_fma_f16 v5, v104, v45, v5 op_sel_hi:[1,0,1]
	v_pk_fma_f16 v6, v105, v47, v6 op_sel:[0,1,0]
	v_pk_fma_f16 v7, v105, v46, v7 op_sel_hi:[1,0,1]
	v_pk_fma_f16 v4, v105, v46, v4 op_sel:[0,1,0]
	v_pk_fma_f16 v5, v105, v47, v5 op_sel_hi:[1,0,1]
	s_waitcnt lgkmcnt(4)
	v_pk_fma_f16 v6, v100, v33, v6 op_sel:[0,1,0]
	v_pk_fma_f16 v7, v100, v32, v7 op_sel_hi:[1,0,1]
	v_pk_fma_f16 v4, v100, v32, v4 op_sel:[0,1,0]
	v_pk_fma_f16 v5, v100, v33, v5 op_sel_hi:[1,0,1]
	v_pk_fma_f16 v6, v101, v35, v6 op_sel:[0,1,0]
	v_pk_fma_f16 v7, v101, v34, v7 op_sel_hi:[1,0,1]
	v_pk_fma_f16 v4, v101, v34, v4 op_sel:[0,1,0]
	v_pk_fma_f16 v5, v101, v35, v5 op_sel_hi:[1,0,1]
	ds_read2_b32 v[122:123], v148 offset0:128 offset1:160
	ds_read2_b32 v[118:119], v148 offset0:192 offset1:224
	ds_read_b128 v[152:155], v137 offset:352
	ds_read_b128 v[68:71], v137 offset:368
	s_waitcnt lgkmcnt(5)
	v_pk_fma_f16 v6, v112, v61, v6 op_sel:[0,1,0]
	v_pk_fma_f16 v7, v112, v60, v7 op_sel_hi:[1,0,1]
	v_pk_fma_f16 v4, v112, v60, v4 op_sel:[0,1,0]
	v_pk_fma_f16 v5, v112, v61, v5 op_sel_hi:[1,0,1]
	v_pk_fma_f16 v6, v113, v63, v6 op_sel:[0,1,0]
	v_pk_fma_f16 v7, v113, v62, v7 op_sel_hi:[1,0,1]
	v_pk_fma_f16 v4, v113, v62, v4 op_sel:[0,1,0]
	v_pk_fma_f16 v5, v113, v63, v5 op_sel_hi:[1,0,1]
	s_waitcnt lgkmcnt(4)
	v_pk_fma_f16 v6, v110, v49, v6 op_sel:[0,1,0]
	v_pk_fma_f16 v7, v110, v48, v7 op_sel_hi:[1,0,1]
	v_pk_fma_f16 v4, v110, v48, v4 op_sel:[0,1,0]
	v_pk_fma_f16 v5, v110, v49, v5 op_sel_hi:[1,0,1]
	v_pk_fma_f16 v6, v111, v51, v6 op_sel:[0,1,0]
	v_pk_fma_f16 v7, v111, v50, v7 op_sel_hi:[1,0,1]
	v_pk_fma_f16 v4, v111, v50, v4 op_sel:[0,1,0]
	v_pk_fma_f16 v5, v111, v51, v5 op_sel_hi:[1,0,1]
	ds_read2_b32 v[120:121], v149 offset1:32
	ds_read2_b32 v[124:125], v149 offset0:64 offset1:96
	ds_read_b128 v[56:59], v137 offset:384
	ds_read_b128 v[64:67], v137 offset:400
	s_waitcnt lgkmcnt(5)
	v_pk_fma_f16 v6, v122, v153, v6 op_sel:[0,1,0]
	v_pk_fma_f16 v7, v122, v152, v7 op_sel_hi:[1,0,1]
	v_pk_fma_f16 v4, v122, v152, v4 op_sel:[0,1,0]
	v_pk_fma_f16 v5, v122, v153, v5 op_sel_hi:[1,0,1]
	;; [unrolled: 44-line block ×3, first 2 shown]
	v_pk_fma_f16 v6, v115, v43, v6 op_sel:[0,1,0]
	v_pk_fma_f16 v7, v115, v42, v7 op_sel_hi:[1,0,1]
	v_pk_fma_f16 v4, v115, v42, v4 op_sel:[0,1,0]
	v_pk_fma_f16 v5, v115, v43, v5 op_sel_hi:[1,0,1]
	s_waitcnt lgkmcnt(4)
	v_pk_fma_f16 v6, v116, v53, v6 op_sel:[0,1,0]
	v_pk_fma_f16 v7, v116, v52, v7 op_sel_hi:[1,0,1]
	v_pk_fma_f16 v4, v116, v52, v4 op_sel:[0,1,0]
	v_pk_fma_f16 v5, v116, v53, v5 op_sel_hi:[1,0,1]
	;; [unrolled: 2-line block ×4, first 2 shown]
	ds_read2_b32 v[98:99], v150 offset0:128 offset1:160
	ds_read2_b32 v[102:103], v150 offset0:192 offset1:224
	ds_read_b128 v[8:11], v137 offset:480
	ds_read_b128 v[20:23], v137 offset:496
	s_waitcnt lgkmcnt(0)
	s_barrier
	s_load_dword s0, s[54:55], 0x4
	v_pk_fma_f16 v6, v106, v25, v6 op_sel:[0,1,0]
	v_pk_fma_f16 v7, v106, v24, v7 op_sel_hi:[1,0,1]
	v_pk_fma_f16 v4, v106, v24, v4 op_sel:[0,1,0]
	v_pk_fma_f16 v5, v106, v25, v5 op_sel_hi:[1,0,1]
	;; [unrolled: 2-line block ×10, first 2 shown]
	s_waitcnt lgkmcnt(0)
	s_lshl_b32 s0, s0, 6
	v_pk_fma_f16 v6, v99, v11, v6 op_sel:[0,1,0]
	v_pk_fma_f16 v7, v99, v10, v7 op_sel_hi:[1,0,1]
	v_pk_fma_f16 v4, v99, v10, v4 op_sel:[0,1,0]
	v_pk_fma_f16 v5, v99, v11, v5 op_sel_hi:[1,0,1]
	s_add_i32 s60, s0, s60
	v_pk_fma_f16 v6, v102, v21, v6 op_sel:[0,1,0]
	v_pk_fma_f16 v7, v102, v20, v7 op_sel_hi:[1,0,1]
	v_pk_fma_f16 v4, v102, v20, v4 op_sel:[0,1,0]
	v_pk_fma_f16 v5, v102, v21, v5 op_sel_hi:[1,0,1]
	s_cmp_ge_i32 s60, s66
	v_pk_fma_f16 v26, v103, v23, v6 op_sel:[0,1,0]
	v_pk_fma_f16 v30, v103, v22, v7 op_sel_hi:[1,0,1]
	v_pk_fma_f16 v28, v103, v22, v4 op_sel:[0,1,0]
	v_pk_fma_f16 v29, v103, v23, v5 op_sel_hi:[1,0,1]
	s_cbranch_scc0 .LBB21_9
.LBB21_10:
	v_cmp_lt_i32_e32 vcc, v129, v126
	v_cndmask_b32_e32 v4, v79, v129, vcc
	v_cmp_lt_i32_e32 vcc, v130, v126
	v_lshlrev_b32_e32 v7, 2, v4
	v_cndmask_b32_e32 v4, v79, v130, vcc
	v_cmp_lt_i32_e32 vcc, v131, v126
	v_lshlrev_b32_e32 v10, 2, v4
	v_cndmask_b32_e32 v4, v79, v131, vcc
	v_lshlrev_b32_e32 v14, 2, v4
	ds_bpermute_b32 v4, v7, v76
	ds_bpermute_b32 v5, v7, v77
	;; [unrolled: 1-line block ×4, first 2 shown]
	v_cmp_lt_i32_e32 vcc, v128, v126
	v_cndmask_b32_e32 v15, v79, v128, vcc
	s_waitcnt lgkmcnt(2)
	v_pk_add_f32 v[4:5], v[76:77], v[4:5]
	ds_bpermute_b32 v8, v10, v4
	s_waitcnt lgkmcnt(1)
	v_pk_add_f32 v[6:7], v[74:75], v[6:7]
	ds_bpermute_b32 v9, v10, v5
	ds_bpermute_b32 v12, v10, v6
	;; [unrolled: 1-line block ×3, first 2 shown]
	v_lshlrev_b32_e32 v10, 2, v15
	v_cmp_lt_i32_e32 vcc, v127, v126
	s_waitcnt lgkmcnt(2)
	v_pk_add_f32 v[4:5], v[4:5], v[8:9]
	ds_bpermute_b32 v8, v14, v4
	s_waitcnt lgkmcnt(1)
	v_pk_add_f32 v[6:7], v[6:7], v[12:13]
	ds_bpermute_b32 v9, v14, v5
	ds_bpermute_b32 v12, v14, v6
	;; [unrolled: 1-line block ×3, first 2 shown]
	v_cndmask_b32_e32 v14, v79, v127, vcc
	s_cmp_lg_u64 s[52:53], 0
	s_waitcnt lgkmcnt(2)
	v_pk_add_f32 v[4:5], v[4:5], v[8:9]
	ds_bpermute_b32 v8, v10, v4
	s_waitcnt lgkmcnt(1)
	v_pk_add_f32 v[6:7], v[6:7], v[12:13]
	ds_bpermute_b32 v9, v10, v5
	ds_bpermute_b32 v12, v10, v6
	;; [unrolled: 1-line block ×3, first 2 shown]
	v_lshlrev_b32_e32 v10, 2, v14
	s_cselect_b64 s[0:1], -1, 0
	s_waitcnt lgkmcnt(2)
	v_pk_add_f32 v[4:5], v[4:5], v[8:9]
	ds_bpermute_b32 v8, v10, v4
	s_waitcnt lgkmcnt(1)
	v_pk_add_f32 v[12:13], v[6:7], v[12:13]
	ds_bpermute_b32 v9, v10, v5
	ds_bpermute_b32 v14, v10, v12
	ds_bpermute_b32 v15, v10, v13
	s_cmp_eq_u32 s7, 0
	s_cselect_b64 s[2:3], -1, 0
	s_and_b64 s[0:1], s[2:3], s[0:1]
	v_lshlrev_b32_e32 v11, 1, v72
	s_waitcnt lgkmcnt(2)
	v_pk_add_f32 v[6:7], v[4:5], v[8:9]
	s_waitcnt lgkmcnt(0)
	v_pk_add_f32 v[4:5], v[12:13], v[14:15]
	s_and_b64 vcc, exec, s[0:1]
	s_cbranch_vccz .LBB21_12
; %bb.11:
	s_ashr_i32 s65, s64, 31
	s_lshl_b64 s[0:1], s[64:65], 2
	s_add_u32 s0, s52, s0
	s_addc_u32 s1, s53, s1
	v_mov_b32_e32 v8, 0
	global_load_dwordx4 v[12:15], v8, s[0:1]
	v_max_f32_e32 v8, v1, v1
	v_max_f32_e32 v9, v0, v0
	;; [unrolled: 1-line block ×4, first 2 shown]
	s_mov_b32 s2, 0x3fb8aa3b
	s_mov_b32 s1, 0xc2ce8ed0
	;; [unrolled: 1-line block ×3, first 2 shown]
	v_mov_b32_e32 v10, 0x7f800000
	s_waitcnt vmcnt(0)
	v_max_f32_e32 v16, v13, v13
	v_max_f32_e32 v19, v12, v12
	;; [unrolled: 1-line block ×8, first 2 shown]
	v_pk_add_f32 v[0:1], v[0:1], v[16:17] neg_lo:[0,1] neg_hi:[0,1]
	v_pk_add_f32 v[8:9], v[12:13], v[16:17] neg_lo:[0,1] neg_hi:[0,1]
	;; [unrolled: 1-line block ×3, first 2 shown]
	v_mul_f32_e32 v14, 0x3fb8aa3b, v1
	v_pk_add_f32 v[2:3], v[2:3], v[18:19] neg_lo:[0,1] neg_hi:[0,1]
	v_mul_f32_e32 v15, 0x3fb8aa3b, v0
	v_fma_f32 v24, v1, s2, -v14
	v_rndne_f32_e32 v25, v14
	v_mul_f32_e32 v20, 0x3fb8aa3b, v3
	v_fma_f32 v27, v0, s2, -v15
	v_rndne_f32_e32 v31, v15
	v_fmac_f32_e32 v24, 0x32a5705f, v1
	v_sub_f32_e32 v14, v14, v25
	v_mul_f32_e32 v21, 0x3fb8aa3b, v2
	v_fma_f32 v32, v3, s2, -v20
	v_rndne_f32_e32 v33, v20
	v_fmac_f32_e32 v27, 0x32a5705f, v0
	v_sub_f32_e32 v15, v15, v31
	v_add_f32_e32 v14, v14, v24
	v_mul_f32_e32 v22, 0x3fb8aa3b, v13
	v_fma_f32 v34, v2, s2, -v21
	v_rndne_f32_e32 v35, v21
	v_cvt_i32_f32_e32 v25, v25
	v_fmac_f32_e32 v32, 0x32a5705f, v3
	v_sub_f32_e32 v20, v20, v33
	v_add_f32_e32 v15, v15, v27
	v_exp_f32_e32 v14, v14
	v_fma_f32 v36, v13, s2, -v22
	v_rndne_f32_e32 v37, v22
	v_cvt_i32_f32_e32 v31, v31
	v_fmac_f32_e32 v34, 0x32a5705f, v2
	v_sub_f32_e32 v21, v21, v35
	v_add_f32_e32 v20, v20, v32
	v_exp_f32_e32 v15, v15
	v_cvt_i32_f32_e32 v33, v33
	v_fmac_f32_e32 v36, 0x32a5705f, v13
	v_sub_f32_e32 v22, v22, v37
	v_add_f32_e32 v21, v21, v34
	v_exp_f32_e32 v20, v20
	v_cvt_i32_f32_e32 v35, v35
	v_add_f32_e32 v22, v22, v36
	v_exp_f32_e32 v21, v21
	v_cvt_i32_f32_e32 v37, v37
	v_exp_f32_e32 v22, v22
	v_ldexp_f32 v14, v14, v25
	v_cmp_ngt_f32_e32 vcc, s1, v1
	v_ldexp_f32 v15, v15, v31
	v_cndmask_b32_e32 v14, 0, v14, vcc
	v_cmp_ngt_f32_e32 vcc, s1, v0
	v_ldexp_f32 v20, v20, v33
	v_cndmask_b32_e32 v15, 0, v15, vcc
	;; [unrolled: 3-line block ×4, first 2 shown]
	v_cmp_ngt_f32_e32 vcc, s1, v13
	v_cndmask_b32_e32 v22, 0, v22, vcc
	v_cmp_nlt_f32_e32 vcc, s0, v1
	v_cndmask_b32_e32 v1, v10, v14, vcc
	v_cmp_nlt_f32_e32 vcc, s0, v0
	;; [unrolled: 2-line block ×3, first 2 shown]
	v_cndmask_b32_e32 v2, v10, v21, vcc
	v_cvt_f16_f32_e32 v15, v1
	v_cvt_f16_f32_e32 v21, v2
	v_mul_f32_e32 v23, 0x3fb8aa3b, v12
	v_fma_f32 v38, v12, s2, -v23
	v_rndne_f32_e32 v39, v23
	v_fmac_f32_e32 v38, 0x32a5705f, v12
	v_sub_f32_e32 v23, v23, v39
	v_cmp_nlt_f32_e32 vcc, s0, v3
	v_pk_mul_f16 v28, v15, v28 op_sel_hi:[0,1]
	v_mul_f32_e32 v15, 0x3fb8aa3b, v9
	v_add_f32_e32 v23, v23, v38
	v_cndmask_b32_e32 v3, v10, v20, vcc
	v_pk_mul_f16 v29, v21, v29 op_sel_hi:[0,1]
	v_fma_f32 v20, v9, s2, -v15
	v_rndne_f32_e32 v21, v15
	v_cvt_i32_f32_e32 v39, v39
	v_exp_f32_e32 v23, v23
	v_cvt_f16_f32_e32 v14, v0
	v_fmac_f32_e32 v20, 0x32a5705f, v9
	v_sub_f32_e32 v15, v15, v21
	v_add_f32_e32 v15, v15, v20
	v_exp_f32_e32 v15, v15
	v_cvt_i32_f32_e32 v20, v21
	v_cmp_nlt_f32_e32 vcc, s0, v13
	v_pk_mul_f16 v30, v30, v14 op_sel_hi:[1,0]
	v_cndmask_b32_e32 v13, v10, v22, vcc
	v_ldexp_f32 v14, v23, v39
	v_cmp_ngt_f32_e32 vcc, s1, v12
	v_cndmask_b32_e32 v14, 0, v14, vcc
	v_cmp_nlt_f32_e32 vcc, s0, v12
	v_cndmask_b32_e32 v12, v10, v14, vcc
	v_ldexp_f32 v14, v15, v20
	v_mul_f32_e32 v15, 0x3fb8aa3b, v8
	v_fma_f32 v20, v8, s2, -v15
	v_rndne_f32_e32 v21, v15
	v_fmac_f32_e32 v20, 0x32a5705f, v8
	v_sub_f32_e32 v15, v15, v21
	v_add_f32_e32 v15, v15, v20
	v_exp_f32_e32 v15, v15
	v_cvt_i32_f32_e32 v20, v21
	v_cmp_ngt_f32_e32 vcc, s1, v9
	v_cndmask_b32_e32 v14, 0, v14, vcc
	v_cmp_nlt_f32_e32 vcc, s0, v9
	v_cndmask_b32_e32 v9, v10, v14, vcc
	v_ldexp_f32 v14, v15, v20
	v_cmp_ngt_f32_e32 vcc, s1, v8
	v_cvt_f16_f32_e32 v15, v3
	v_cndmask_b32_e32 v14, 0, v14, vcc
	v_cmp_nlt_f32_e32 vcc, s0, v8
	v_cndmask_b32_e32 v8, v10, v14, vcc
	v_pk_fma_f32 v[4:5], v[4:5], v[2:3], v[12:13]
	v_pk_fma_f32 v[6:7], v[6:7], v[0:1], v[8:9]
	v_pk_mov_b32 v[0:1], v[16:17], v[16:17] op_sel:[0,1]
	v_pk_mul_f16 v26, v26, v15 op_sel_hi:[1,0]
	v_pk_mov_b32 v[2:3], v[18:19], v[18:19] op_sel:[0,1]
.LBB21_12:
	v_cmp_gt_i32_e32 vcc, s62, v73
	s_and_saveexec_b64 s[0:1], vcc
	s_cbranch_execz .LBB21_29
; %bb.13:
	s_load_dword s6, s[4:5], 0xd4
	v_mov_b32_e32 v10, 1.0
	s_waitcnt lgkmcnt(0)
	s_cmp_lg_u32 s6, 1
	s_cselect_b64 s[0:1], -1, 0
	s_cmp_eq_u32 s6, 1
	s_cselect_b64 s[4:5], -1, 0
	s_and_b64 vcc, exec, s[0:1]
	s_cbranch_vccnz .LBB21_15
; %bb.14:
	v_div_scale_f32 v8, s[2:3], v6, v6, 1.0
	v_rcp_f32_e32 v9, v8
	v_div_scale_f32 v10, vcc, 1.0, v6, 1.0
	v_fma_f32 v12, -v8, v9, 1.0
	v_fmac_f32_e32 v9, v12, v9
	v_mul_f32_e32 v12, v10, v9
	v_fma_f32 v13, -v8, v12, v10
	v_fmac_f32_e32 v12, v13, v9
	v_fma_f32 v8, -v8, v12, v10
	v_div_fmas_f32 v8, v8, v9, v12
	v_div_fixup_f32 v10, v8, v6, 1.0
.LBB21_15:
	s_mul_i32 s33, s33, s62
	v_add_u32_e32 v8, s33, v73
	v_mul_lo_u32 v8, v8, s63
	v_add_u32_e32 v8, s64, v8
	v_mul_lo_u32 v8, s6, v8
	v_add_u32_e32 v8, s7, v8
	v_cvt_f32_f16_sdwa v15, v30 dst_sel:DWORD dst_unused:UNUSED_PAD src0_sel:WORD_1
	v_cvt_f32_f16_e32 v14, v30
	v_lshl_add_u32 v12, v8, 6, v11
	v_mov_b32_e32 v13, 0
	v_cmp_eq_u32_e32 vcc, 0, v72
	v_lshlrev_b64 v[12:13], 2, v[12:13]
	s_and_b64 s[2:3], vcc, s[0:1]
	v_mov_b32_e32 v9, s57
	v_add_co_u32_e32 v12, vcc, s56, v12
	v_addc_co_u32_e32 v13, vcc, v9, v13, vcc
	v_pk_mul_f32 v[14:15], v[10:11], v[14:15] op_sel_hi:[0,1]
	global_store_dwordx2 v[12:13], v[14:15], off
	s_and_saveexec_b64 s[0:1], s[2:3]
	s_cbranch_execz .LBB21_17
; %bb.16:
	v_ashrrev_i32_e32 v9, 31, v8
	v_lshlrev_b64 v[12:13], 3, v[8:9]
	v_mov_b32_e32 v9, s59
	v_add_co_u32_e32 v12, vcc, s58, v12
	v_addc_co_u32_e32 v13, vcc, v9, v13, vcc
	v_mov_b32_e32 v14, v0
	v_mov_b32_e32 v15, v6
	global_store_dwordx2 v[12:13], v[14:15], off
.LBB21_17:
	s_or_b64 exec, exec, s[0:1]
	v_cndmask_b32_e64 v0, 0, 1, s[4:5]
	v_cmp_ne_u32_e64 s[0:1], 1, v0
	s_andn2_b64 vcc, exec, s[4:5]
	v_mov_b32_e32 v0, 1.0
	s_cbranch_vccnz .LBB21_19
; %bb.18:
	v_div_scale_f32 v0, s[4:5], v7, v7, 1.0
	v_rcp_f32_e32 v6, v0
	v_div_scale_f32 v9, vcc, 1.0, v7, 1.0
	v_fma_f32 v10, -v0, v6, 1.0
	v_fmac_f32_e32 v6, v10, v6
	v_mul_f32_e32 v10, v9, v6
	v_fma_f32 v12, -v0, v10, v9
	v_fmac_f32_e32 v10, v12, v6
	v_fma_f32 v0, -v0, v10, v9
	v_div_fmas_f32 v0, v0, v6, v10
	v_div_fixup_f32 v0, v0, v7, 1.0
.LBB21_19:
	v_add_u32_e32 v8, s6, v8
	v_cvt_f32_f16_sdwa v15, v28 dst_sel:DWORD dst_unused:UNUSED_PAD src0_sel:WORD_1
	v_cvt_f32_f16_e32 v14, v28
	v_lshl_add_u32 v12, v8, 6, v11
	v_mov_b32_e32 v13, 0
	v_lshlrev_b64 v[12:13], 2, v[12:13]
	v_mov_b32_e32 v6, s57
	v_add_co_u32_e32 v12, vcc, s56, v12
	v_addc_co_u32_e32 v13, vcc, v6, v13, vcc
	v_pk_mul_f32 v[14:15], v[0:1], v[14:15] op_sel_hi:[0,1]
	global_store_dwordx2 v[12:13], v[14:15], off
	s_and_saveexec_b64 s[4:5], s[2:3]
	s_cbranch_execz .LBB21_21
; %bb.20:
	v_ashrrev_i32_e32 v9, 31, v8
	v_lshlrev_b64 v[12:13], 3, v[8:9]
	v_mov_b32_e32 v0, s59
	v_add_co_u32_e32 v12, vcc, s58, v12
	v_addc_co_u32_e32 v13, vcc, v0, v13, vcc
	v_mov_b32_e32 v6, v1
	global_store_dwordx2 v[12:13], v[6:7], off
.LBB21_21:
	s_or_b64 exec, exec, s[4:5]
	s_and_b64 vcc, exec, s[0:1]
	v_mov_b32_e32 v6, 1.0
	s_cbranch_vccnz .LBB21_23
; %bb.22:
	v_div_scale_f32 v0, s[4:5], v4, v4, 1.0
	v_rcp_f32_e32 v1, v0
	v_div_scale_f32 v6, vcc, 1.0, v4, 1.0
	v_fma_f32 v7, -v0, v1, 1.0
	v_fmac_f32_e32 v1, v7, v1
	v_mul_f32_e32 v7, v6, v1
	v_fma_f32 v9, -v0, v7, v6
	v_fmac_f32_e32 v7, v9, v1
	v_fma_f32 v0, -v0, v7, v6
	v_div_fmas_f32 v0, v0, v1, v7
	v_div_fixup_f32 v6, v0, v4, 1.0
.LBB21_23:
	v_add_u32_e32 v0, s6, v8
	v_cvt_f32_f16_sdwa v13, v29 dst_sel:DWORD dst_unused:UNUSED_PAD src0_sel:WORD_1
	v_cvt_f32_f16_e32 v12, v29
	v_lshl_add_u32 v8, v0, 6, v11
	v_mov_b32_e32 v9, 0
	v_lshlrev_b64 v[8:9], 2, v[8:9]
	v_mov_b32_e32 v1, s57
	v_add_co_u32_e32 v8, vcc, s56, v8
	v_addc_co_u32_e32 v9, vcc, v1, v9, vcc
	v_pk_mul_f32 v[6:7], v[6:7], v[12:13] op_sel_hi:[0,1]
	global_store_dwordx2 v[8:9], v[6:7], off
	s_and_saveexec_b64 s[4:5], s[2:3]
	s_cbranch_execz .LBB21_25
; %bb.24:
	v_ashrrev_i32_e32 v1, 31, v0
	v_lshlrev_b64 v[6:7], 3, v[0:1]
	v_mov_b32_e32 v1, s59
	v_add_co_u32_e32 v6, vcc, s58, v6
	v_addc_co_u32_e32 v7, vcc, v1, v7, vcc
	v_mov_b32_e32 v8, v2
	v_mov_b32_e32 v9, v4
	global_store_dwordx2 v[6:7], v[8:9], off
.LBB21_25:
	s_or_b64 exec, exec, s[4:5]
	s_and_b64 vcc, exec, s[0:1]
	v_mov_b32_e32 v2, 1.0
	s_cbranch_vccnz .LBB21_27
; %bb.26:
	v_div_scale_f32 v1, s[0:1], v5, v5, 1.0
	v_rcp_f32_e32 v2, v1
	v_div_scale_f32 v4, vcc, 1.0, v5, 1.0
	v_fma_f32 v6, -v1, v2, 1.0
	v_fmac_f32_e32 v2, v6, v2
	v_mul_f32_e32 v6, v4, v2
	v_fma_f32 v7, -v1, v6, v4
	v_fmac_f32_e32 v6, v7, v2
	v_fma_f32 v1, -v1, v6, v4
	v_div_fmas_f32 v1, v1, v2, v6
	v_div_fixup_f32 v2, v1, v5, 1.0
.LBB21_27:
	v_add_u32_e32 v0, s6, v0
	v_cvt_f32_f16_sdwa v9, v26 dst_sel:DWORD dst_unused:UNUSED_PAD src0_sel:WORD_1
	v_cvt_f32_f16_e32 v8, v26
	v_lshl_add_u32 v6, v0, 6, v11
	v_mov_b32_e32 v7, 0
	v_lshlrev_b64 v[6:7], 2, v[6:7]
	v_mov_b32_e32 v1, s57
	v_add_co_u32_e32 v6, vcc, s56, v6
	v_addc_co_u32_e32 v7, vcc, v1, v7, vcc
	v_pk_mul_f32 v[8:9], v[2:3], v[8:9] op_sel_hi:[0,1]
	global_store_dwordx2 v[6:7], v[8:9], off
	s_and_b64 exec, exec, s[2:3]
	s_cbranch_execz .LBB21_29
; %bb.28:
	v_ashrrev_i32_e32 v1, 31, v0
	v_lshlrev_b64 v[0:1], 3, v[0:1]
	v_mov_b32_e32 v2, s59
	v_add_co_u32_e32 v0, vcc, s58, v0
	v_addc_co_u32_e32 v1, vcc, v2, v1, vcc
	v_mov_b32_e32 v4, v3
	global_store_dwordx2 v[0:1], v[4:5], off
.LBB21_29:
	s_endpgm
	.section	.rodata,"a",@progbits
	.p2align	6, 0x0
	.amdhsa_kernel _ZL15flash_attn_tileILi64ELi64ELi8ELi4ELb0EEvPKcS1_S1_S1_S1_PKiPfP15HIP_vector_typeIfLj2EEffffjfiS5_IjLj3EEiiiiiiiiiiiliiliiiiil
		.amdhsa_group_segment_fixed_size 17408
		.amdhsa_private_segment_fixed_size 0
		.amdhsa_kernarg_size 464
		.amdhsa_user_sgpr_count 6
		.amdhsa_user_sgpr_private_segment_buffer 1
		.amdhsa_user_sgpr_dispatch_ptr 0
		.amdhsa_user_sgpr_queue_ptr 0
		.amdhsa_user_sgpr_kernarg_segment_ptr 1
		.amdhsa_user_sgpr_dispatch_id 0
		.amdhsa_user_sgpr_flat_scratch_init 0
		.amdhsa_user_sgpr_kernarg_preload_length 0
		.amdhsa_user_sgpr_kernarg_preload_offset 0
		.amdhsa_user_sgpr_private_segment_size 0
		.amdhsa_uses_dynamic_stack 0
		.amdhsa_system_sgpr_private_segment_wavefront_offset 0
		.amdhsa_system_sgpr_workgroup_id_x 1
		.amdhsa_system_sgpr_workgroup_id_y 1
		.amdhsa_system_sgpr_workgroup_id_z 1
		.amdhsa_system_sgpr_workgroup_info 0
		.amdhsa_system_vgpr_workitem_id 1
		.amdhsa_next_free_vgpr 157
		.amdhsa_next_free_sgpr 75
		.amdhsa_accum_offset 160
		.amdhsa_reserve_vcc 1
		.amdhsa_reserve_flat_scratch 0
		.amdhsa_float_round_mode_32 0
		.amdhsa_float_round_mode_16_64 0
		.amdhsa_float_denorm_mode_32 3
		.amdhsa_float_denorm_mode_16_64 3
		.amdhsa_dx10_clamp 1
		.amdhsa_ieee_mode 1
		.amdhsa_fp16_overflow 0
		.amdhsa_tg_split 0
		.amdhsa_exception_fp_ieee_invalid_op 0
		.amdhsa_exception_fp_denorm_src 0
		.amdhsa_exception_fp_ieee_div_zero 0
		.amdhsa_exception_fp_ieee_overflow 0
		.amdhsa_exception_fp_ieee_underflow 0
		.amdhsa_exception_fp_ieee_inexact 0
		.amdhsa_exception_int_div_zero 0
	.end_amdhsa_kernel
	.section	.text._ZL15flash_attn_tileILi64ELi64ELi8ELi4ELb0EEvPKcS1_S1_S1_S1_PKiPfP15HIP_vector_typeIfLj2EEffffjfiS5_IjLj3EEiiiiiiiiiiiliiliiiiil,"axG",@progbits,_ZL15flash_attn_tileILi64ELi64ELi8ELi4ELb0EEvPKcS1_S1_S1_S1_PKiPfP15HIP_vector_typeIfLj2EEffffjfiS5_IjLj3EEiiiiiiiiiiiliiliiiiil,comdat
.Lfunc_end21:
	.size	_ZL15flash_attn_tileILi64ELi64ELi8ELi4ELb0EEvPKcS1_S1_S1_S1_PKiPfP15HIP_vector_typeIfLj2EEffffjfiS5_IjLj3EEiiiiiiiiiiiliiliiiiil, .Lfunc_end21-_ZL15flash_attn_tileILi64ELi64ELi8ELi4ELb0EEvPKcS1_S1_S1_S1_PKiPfP15HIP_vector_typeIfLj2EEffffjfiS5_IjLj3EEiiiiiiiiiiiliiliiiiil
                                        ; -- End function
	.section	.AMDGPU.csdata,"",@progbits
; Kernel info:
; codeLenInByte = 11100
; NumSgprs: 79
; NumVgprs: 157
; NumAgprs: 0
; TotalNumVgprs: 157
; ScratchSize: 0
; MemoryBound: 0
; FloatMode: 240
; IeeeMode: 1
; LDSByteSize: 17408 bytes/workgroup (compile time only)
; SGPRBlocks: 9
; VGPRBlocks: 19
; NumSGPRsForWavesPerEU: 79
; NumVGPRsForWavesPerEU: 157
; AccumOffset: 160
; Occupancy: 3
; WaveLimiterHint : 1
; COMPUTE_PGM_RSRC2:SCRATCH_EN: 0
; COMPUTE_PGM_RSRC2:USER_SGPR: 6
; COMPUTE_PGM_RSRC2:TRAP_HANDLER: 0
; COMPUTE_PGM_RSRC2:TGID_X_EN: 1
; COMPUTE_PGM_RSRC2:TGID_Y_EN: 1
; COMPUTE_PGM_RSRC2:TGID_Z_EN: 1
; COMPUTE_PGM_RSRC2:TIDIG_COMP_CNT: 1
; COMPUTE_PGM_RSRC3_GFX90A:ACCUM_OFFSET: 39
; COMPUTE_PGM_RSRC3_GFX90A:TG_SPLIT: 0
	.section	.text._ZL33flash_attn_stream_k_fixup_uniformILi64ELi8ELi4EEvPfPK15HIP_vector_typeIfLj2EEiiiiiiS1_IjLj3EES5_S5_,"axG",@progbits,_ZL33flash_attn_stream_k_fixup_uniformILi64ELi8ELi4EEvPfPK15HIP_vector_typeIfLj2EEiiiiiiS1_IjLj3EES5_S5_,comdat
	.globl	_ZL33flash_attn_stream_k_fixup_uniformILi64ELi8ELi4EEvPfPK15HIP_vector_typeIfLj2EEiiiiiiS1_IjLj3EES5_S5_ ; -- Begin function _ZL33flash_attn_stream_k_fixup_uniformILi64ELi8ELi4EEvPfPK15HIP_vector_typeIfLj2EEiiiiiiS1_IjLj3EES5_S5_
	.p2align	8
	.type	_ZL33flash_attn_stream_k_fixup_uniformILi64ELi8ELi4EEvPfPK15HIP_vector_typeIfLj2EEiiiiiiS1_IjLj3EES5_S5_,@function
_ZL33flash_attn_stream_k_fixup_uniformILi64ELi8ELi4EEvPfPK15HIP_vector_typeIfLj2EEiiiiiiS1_IjLj3EES5_S5_: ; @_ZL33flash_attn_stream_k_fixup_uniformILi64ELi8ELi4EEvPfPK15HIP_vector_typeIfLj2EEiiiiiiS1_IjLj3EES5_S5_
; %bb.0:
	s_load_dwordx8 s[12:19], s[4:5], 0x1c
	s_load_dwordx2 s[10:11], s[4:5], 0x10
	s_load_dwordx4 s[0:3], s[4:5], 0x3c
	s_waitcnt lgkmcnt(0)
	s_mul_hi_u32 s9, s15, s6
	s_add_i32 s9, s6, s9
	s_lshr_b32 s9, s9, s16
	s_mul_i32 s15, s9, s17
	s_sub_i32 s15, s6, s15
	s_mul_hi_u32 s16, s15, s18
	s_add_i32 s16, s15, s16
	s_lshr_b32 s16, s16, s19
	s_mul_i32 s0, s16, s0
	s_sub_i32 s0, s15, s0
	;; [unrolled: 5-line block ×3, first 2 shown]
	s_lshl_b32 s0, s17, 3
	s_lshl_b32 s15, s1, 2
	s_add_i32 s0, s0, s7
	s_cmp_lt_i32 s0, s10
	s_cselect_b64 s[0:1], -1, 0
	s_add_i32 s2, s15, s8
	s_cmp_lt_i32 s2, s13
	s_cselect_b64 s[2:3], -1, 0
	s_and_b64 s[0:1], s[0:1], s[2:3]
	s_andn2_b64 vcc, exec, s[0:1]
	s_cbranch_vccnz .LBB22_6
; %bb.1:
	s_load_dwordx4 s[0:3], s[4:5], 0x0
	s_mul_i32 s4, s9, s10
	s_add_i32 s4, s4, s7
	s_mul_i32 s4, s4, s11
	s_mul_i32 s16, s16, s13
	s_add_i32 s4, s4, s8
	s_add_i32 s4, s4, s16
	s_mul_i32 s5, s11, s17
	s_add_i32 s4, s4, s15
	s_lshl_b32 s5, s5, 9
	s_lshl_b32 s4, s4, 6
	s_add_i32 s5, s5, s4
	v_or_b32_e32 v2, s5, v0
	v_ashrrev_i32_e32 v3, 31, v2
	v_lshlrev_b64 v[2:3], 2, v[2:3]
	s_waitcnt lgkmcnt(0)
	v_mov_b32_e32 v1, s1
	v_add_co_u32_e32 v2, vcc, s0, v2
	v_addc_co_u32_e32 v3, vcc, v1, v3, vcc
	global_load_dword v8, v[2:3], off
	s_mul_i32 s9, s6, s14
	s_lshl_b32 s4, s7, 2
	s_add_i32 s11, s9, s14
	s_add_i32 s0, s4, s8
	s_lshl_b32 s1, s11, 5
	s_add_i32 s0, s0, s1
	s_sub_i32 s0, s0, 32
	s_ashr_i32 s1, s0, 31
	s_lshl_b64 s[0:1], s[0:1], 3
	s_add_u32 s0, s2, s0
	s_addc_u32 s1, s3, s1
	s_load_dword s5, s[0:1], 0x4
	s_add_i32 s10, s11, -2
	s_cmp_lt_i32 s10, s9
	s_cbranch_scc1 .LBB22_4
; %bb.2:
	s_lshl_b32 s16, s12, 7
	s_ashr_i32 s17, s16, 31
	s_lshl_b64 s[16:17], s[16:17], 2
	s_add_u32 s10, s2, s16
	s_addc_u32 s13, s3, s17
	s_add_i32 s6, s6, 1
	s_load_dword s0, s[0:1], 0x0
	s_mul_i32 s1, s14, s6
	s_lshl_b32 s7, s7, 8
	s_lshl_b32 s14, s8, 6
	;; [unrolled: 1-line block ×3, first 2 shown]
	s_add_i32 s7, s14, s7
	s_lshl_b32 s1, s1, 5
	s_add_i32 s7, s7, s6
	s_add_i32 s1, s8, s1
	s_lshl_b32 s6, s12, 5
	s_add_i32 s1, s1, s6
	v_or_b32_e32 v0, s7, v0
	s_add_i32 s1, s1, s4
	s_add_i32 s11, s11, -1
	v_add_u32_e32 v0, 0xfffff000, v0
	s_sub_i32 s4, s1, 64
	s_waitcnt lgkmcnt(0)
	v_mov_b32_e32 v7, s5
	v_mov_b32_e32 v6, s0
	;; [unrolled: 1-line block ×3, first 2 shown]
	s_mov_b32 s6, 0x3fb8aa3b
	s_mov_b32 s7, 0xc2ce8ed0
	;; [unrolled: 1-line block ×3, first 2 shown]
	v_mov_b32_e32 v5, 0x7f800000
	s_mov_b32 s12, 0xc1a00000
.LBB22_3:                               ; =>This Inner Loop Header: Depth=1
	v_ashrrev_i32_e32 v1, 31, v0
	v_lshlrev_b64 v[10:11], 2, v[0:1]
	v_add_co_u32_e32 v10, vcc, s10, v10
	v_addc_co_u32_e32 v11, vcc, v4, v11, vcc
	global_load_dword v1, v[10:11], off
	s_ashr_i32 s5, s4, 31
	s_lshl_b64 s[0:1], s[4:5], 3
	s_add_u32 s0, s2, s0
	s_addc_u32 s1, s3, s1
	s_load_dwordx2 s[14:15], s[0:1], 0x0
	s_waitcnt vmcnt(1)
	v_mov_b32_e32 v9, v8
	v_max_f32_e32 v8, v6, v6
	v_mov_b32_e32 v10, v7
	s_add_i32 s11, s11, -1
	s_waitcnt lgkmcnt(0)
	v_max_f32_e64 v7, s14, s14
	v_max_f32_e32 v7, v8, v7
	v_sub_f32_e32 v11, s14, v7
	v_sub_f32_e32 v8, v6, v7
	v_mul_f32_e32 v12, 0x3fb8aa3b, v11
	v_mov_b32_e32 v6, v7
	v_mul_f32_e32 v7, 0x3fb8aa3b, v8
	v_fma_f32 v15, v11, s6, -v12
	v_rndne_f32_e32 v16, v12
	v_fma_f32 v13, v8, s6, -v7
	v_rndne_f32_e32 v14, v7
	v_fmac_f32_e32 v15, 0x32a5705f, v11
	v_sub_f32_e32 v12, v12, v16
	v_fmac_f32_e32 v13, 0x32a5705f, v8
	v_sub_f32_e32 v7, v7, v14
	v_add_f32_e32 v12, v12, v15
	v_cvt_i32_f32_e32 v16, v16
	v_add_f32_e32 v7, v7, v13
	v_exp_f32_e32 v12, v12
	v_cvt_i32_f32_e32 v14, v14
	v_exp_f32_e32 v7, v7
	v_cmp_ngt_f32_e32 vcc, s7, v11
	v_ldexp_f32 v12, v12, v16
	v_cmp_ngt_f32_e64 s[0:1], s7, v8
	v_ldexp_f32 v7, v7, v14
	v_cndmask_b32_e32 v12, 0, v12, vcc
	v_cmp_nlt_f32_e32 vcc, s8, v11
	v_cndmask_b32_e64 v7, 0, v7, s[0:1]
	v_cmp_nlt_f32_e64 s[0:1], s8, v8
	v_cndmask_b32_e32 v12, v5, v12, vcc
	v_cmp_le_f32_e32 vcc, s12, v11
	v_cndmask_b32_e64 v7, v5, v7, s[0:1]
	v_cmp_le_f32_e64 s[0:1], s12, v8
	v_cndmask_b32_e32 v8, 0, v12, vcc
	s_sub_i32 s4, s4, 32
	v_cndmask_b32_e64 v11, 0, v7, s[0:1]
	v_mul_f32_e32 v7, s15, v8
	v_add_u32_e32 v0, 0xfffff800, v0
	s_cmp_le_i32 s11, s9
	v_fmac_f32_e32 v7, v10, v11
	s_waitcnt vmcnt(0)
	v_mul_f32_e32 v8, v1, v8
	v_fmac_f32_e32 v8, v9, v11
	s_cbranch_scc0 .LBB22_3
	s_branch .LBB22_5
.LBB22_4:
	s_waitcnt lgkmcnt(0)
	v_mov_b32_e32 v7, s5
.LBB22_5:
	s_waitcnt vmcnt(0)
	v_div_scale_f32 v0, s[0:1], v7, v7, v8
	v_rcp_f32_e32 v1, v0
	v_div_scale_f32 v4, vcc, v8, v7, v8
	v_fma_f32 v5, -v0, v1, 1.0
	v_fmac_f32_e32 v1, v5, v1
	v_mul_f32_e32 v5, v4, v1
	v_fma_f32 v6, -v0, v5, v4
	v_fmac_f32_e32 v5, v6, v1
	v_fma_f32 v0, -v0, v5, v4
	v_div_fmas_f32 v0, v0, v1, v5
	v_div_fixup_f32 v0, v0, v7, v8
	global_store_dword v[2:3], v0, off
.LBB22_6:
	s_endpgm
	.section	.rodata,"a",@progbits
	.p2align	6, 0x0
	.amdhsa_kernel _ZL33flash_attn_stream_k_fixup_uniformILi64ELi8ELi4EEvPfPK15HIP_vector_typeIfLj2EEiiiiiiS1_IjLj3EES5_S5_
		.amdhsa_group_segment_fixed_size 0
		.amdhsa_private_segment_fixed_size 0
		.amdhsa_kernarg_size 76
		.amdhsa_user_sgpr_count 6
		.amdhsa_user_sgpr_private_segment_buffer 1
		.amdhsa_user_sgpr_dispatch_ptr 0
		.amdhsa_user_sgpr_queue_ptr 0
		.amdhsa_user_sgpr_kernarg_segment_ptr 1
		.amdhsa_user_sgpr_dispatch_id 0
		.amdhsa_user_sgpr_flat_scratch_init 0
		.amdhsa_user_sgpr_kernarg_preload_length 0
		.amdhsa_user_sgpr_kernarg_preload_offset 0
		.amdhsa_user_sgpr_private_segment_size 0
		.amdhsa_uses_dynamic_stack 0
		.amdhsa_system_sgpr_private_segment_wavefront_offset 0
		.amdhsa_system_sgpr_workgroup_id_x 1
		.amdhsa_system_sgpr_workgroup_id_y 1
		.amdhsa_system_sgpr_workgroup_id_z 1
		.amdhsa_system_sgpr_workgroup_info 0
		.amdhsa_system_vgpr_workitem_id 0
		.amdhsa_next_free_vgpr 17
		.amdhsa_next_free_sgpr 20
		.amdhsa_accum_offset 20
		.amdhsa_reserve_vcc 1
		.amdhsa_reserve_flat_scratch 0
		.amdhsa_float_round_mode_32 0
		.amdhsa_float_round_mode_16_64 0
		.amdhsa_float_denorm_mode_32 3
		.amdhsa_float_denorm_mode_16_64 3
		.amdhsa_dx10_clamp 1
		.amdhsa_ieee_mode 1
		.amdhsa_fp16_overflow 0
		.amdhsa_tg_split 0
		.amdhsa_exception_fp_ieee_invalid_op 0
		.amdhsa_exception_fp_denorm_src 0
		.amdhsa_exception_fp_ieee_div_zero 0
		.amdhsa_exception_fp_ieee_overflow 0
		.amdhsa_exception_fp_ieee_underflow 0
		.amdhsa_exception_fp_ieee_inexact 0
		.amdhsa_exception_int_div_zero 0
	.end_amdhsa_kernel
	.section	.text._ZL33flash_attn_stream_k_fixup_uniformILi64ELi8ELi4EEvPfPK15HIP_vector_typeIfLj2EEiiiiiiS1_IjLj3EES5_S5_,"axG",@progbits,_ZL33flash_attn_stream_k_fixup_uniformILi64ELi8ELi4EEvPfPK15HIP_vector_typeIfLj2EEiiiiiiS1_IjLj3EES5_S5_,comdat
.Lfunc_end22:
	.size	_ZL33flash_attn_stream_k_fixup_uniformILi64ELi8ELi4EEvPfPK15HIP_vector_typeIfLj2EEiiiiiiS1_IjLj3EES5_S5_, .Lfunc_end22-_ZL33flash_attn_stream_k_fixup_uniformILi64ELi8ELi4EEvPfPK15HIP_vector_typeIfLj2EEiiiiiiS1_IjLj3EES5_S5_
                                        ; -- End function
	.section	.AMDGPU.csdata,"",@progbits
; Kernel info:
; codeLenInByte = 856
; NumSgprs: 24
; NumVgprs: 17
; NumAgprs: 0
; TotalNumVgprs: 17
; ScratchSize: 0
; MemoryBound: 0
; FloatMode: 240
; IeeeMode: 1
; LDSByteSize: 0 bytes/workgroup (compile time only)
; SGPRBlocks: 2
; VGPRBlocks: 2
; NumSGPRsForWavesPerEU: 24
; NumVGPRsForWavesPerEU: 17
; AccumOffset: 20
; Occupancy: 8
; WaveLimiterHint : 0
; COMPUTE_PGM_RSRC2:SCRATCH_EN: 0
; COMPUTE_PGM_RSRC2:USER_SGPR: 6
; COMPUTE_PGM_RSRC2:TRAP_HANDLER: 0
; COMPUTE_PGM_RSRC2:TGID_X_EN: 1
; COMPUTE_PGM_RSRC2:TGID_Y_EN: 1
; COMPUTE_PGM_RSRC2:TGID_Z_EN: 1
; COMPUTE_PGM_RSRC2:TIDIG_COMP_CNT: 0
; COMPUTE_PGM_RSRC3_GFX90A:ACCUM_OFFSET: 4
; COMPUTE_PGM_RSRC3_GFX90A:TG_SPLIT: 0
	.section	.text._ZL33flash_attn_stream_k_fixup_generalILi64ELi8ELi4EEvPfPK15HIP_vector_typeIfLj2EEiiiiS1_IjLj3EES5_S5_S5_,"axG",@progbits,_ZL33flash_attn_stream_k_fixup_generalILi64ELi8ELi4EEvPfPK15HIP_vector_typeIfLj2EEiiiiS1_IjLj3EES5_S5_S5_,comdat
	.globl	_ZL33flash_attn_stream_k_fixup_generalILi64ELi8ELi4EEvPfPK15HIP_vector_typeIfLj2EEiiiiS1_IjLj3EES5_S5_S5_ ; -- Begin function _ZL33flash_attn_stream_k_fixup_generalILi64ELi8ELi4EEvPfPK15HIP_vector_typeIfLj2EEiiiiS1_IjLj3EES5_S5_S5_
	.p2align	8
	.type	_ZL33flash_attn_stream_k_fixup_generalILi64ELi8ELi4EEvPfPK15HIP_vector_typeIfLj2EEiiiiS1_IjLj3EES5_S5_S5_,@function
_ZL33flash_attn_stream_k_fixup_generalILi64ELi8ELi4EEvPfPK15HIP_vector_typeIfLj2EEiiiiS1_IjLj3EES5_S5_S5_: ; @_ZL33flash_attn_stream_k_fixup_generalILi64ELi8ELi4EEvPfPK15HIP_vector_typeIfLj2EEiiiiS1_IjLj3EES5_S5_S5_
; %bb.0:
	s_load_dwordx4 s[12:15], s[4:5], 0x10
	s_load_dword s9, s[4:5], 0x50
	s_mov_b32 s2, 0
	s_waitcnt lgkmcnt(0)
	s_mul_hi_i32 s3, s15, s6
	s_cmp_lg_u64 s[2:3], 0
	s_mul_i32 s2, s15, s6
	s_cbranch_scc0 .LBB23_21
; %bb.1:
	v_cvt_f32_u32_e32 v1, s9
	v_cvt_f32_ubyte0_e32 v2, 0
	s_sub_u32 s10, 0, s9
	s_subb_u32 s11, 0, 0
	v_madmk_f32 v1, v2, 0x4f800000, v1
	v_rcp_f32_e32 v1, v1
	v_mul_f32_e32 v1, 0x5f7ffffc, v1
	v_mul_f32_e32 v2, 0x2f800000, v1
	v_trunc_f32_e32 v2, v2
	v_madmk_f32 v1, v2, 0xcf800000, v1
	v_cvt_u32_f32_e32 v2, v2
	v_cvt_u32_f32_e32 v1, v1
	v_readfirstlane_b32 s16, v2
	v_readfirstlane_b32 s17, v1
	s_mul_i32 s18, s10, s16
	s_mul_hi_u32 s20, s10, s17
	s_mul_i32 s19, s11, s17
	s_add_i32 s18, s20, s18
	s_add_i32 s18, s18, s19
	s_mul_i32 s21, s10, s17
	s_mul_hi_u32 s19, s17, s18
	s_mul_i32 s20, s17, s18
	s_mul_hi_u32 s17, s17, s21
	s_add_u32 s17, s17, s20
	s_addc_u32 s19, 0, s19
	s_mul_hi_u32 s22, s16, s21
	s_mul_i32 s21, s16, s21
	s_add_u32 s17, s17, s21
	s_mul_hi_u32 s20, s16, s18
	s_addc_u32 s17, s19, s22
	s_addc_u32 s19, s20, 0
	s_mul_i32 s18, s16, s18
	s_add_u32 s17, s17, s18
	s_addc_u32 s18, 0, s19
	v_add_co_u32_e32 v1, vcc, s17, v1
	s_cmp_lg_u64 vcc, 0
	s_addc_u32 s16, s16, s18
	v_readfirstlane_b32 s18, v1
	s_mul_i32 s17, s10, s16
	s_mul_hi_u32 s19, s10, s18
	s_add_i32 s17, s19, s17
	s_mul_i32 s11, s11, s18
	s_add_i32 s17, s17, s11
	s_mul_i32 s10, s10, s18
	s_mul_hi_u32 s19, s16, s10
	s_mul_i32 s20, s16, s10
	s_mul_i32 s22, s18, s17
	s_mul_hi_u32 s10, s18, s10
	s_mul_hi_u32 s21, s18, s17
	s_add_u32 s10, s10, s22
	s_addc_u32 s18, 0, s21
	s_add_u32 s10, s10, s20
	s_mul_hi_u32 s11, s16, s17
	s_addc_u32 s10, s18, s19
	s_addc_u32 s11, s11, 0
	s_mul_i32 s17, s16, s17
	s_add_u32 s10, s10, s17
	s_addc_u32 s11, 0, s11
	v_add_co_u32_e32 v1, vcc, s10, v1
	s_cmp_lg_u64 vcc, 0
	s_addc_u32 s18, s16, s11
	s_ashr_i32 s10, s3, 31
	s_add_u32 s16, s2, s10
	s_mov_b32 s11, s10
	s_addc_u32 s17, s3, s10
	s_xor_b64 s[16:17], s[16:17], s[10:11]
	v_readfirstlane_b32 s20, v1
	s_mul_i32 s19, s16, s18
	s_mul_hi_u32 s21, s16, s20
	s_mul_hi_u32 s3, s16, s18
	s_add_u32 s19, s21, s19
	s_addc_u32 s3, 0, s3
	s_mul_hi_u32 s22, s17, s20
	s_mul_i32 s20, s17, s20
	s_add_u32 s19, s19, s20
	s_mul_hi_u32 s21, s17, s18
	s_addc_u32 s3, s3, s22
	s_addc_u32 s19, s21, 0
	s_mul_i32 s18, s17, s18
	s_add_u32 s3, s3, s18
	s_addc_u32 s18, 0, s19
	s_add_u32 s19, s3, 1
	s_addc_u32 s20, s18, 0
	s_add_u32 s21, s3, 2
	s_mul_i32 s23, s9, s18
	s_mul_hi_u32 s24, s9, s3
	s_addc_u32 s22, s18, 0
	s_add_i32 s24, s24, s23
	s_mul_i32 s23, s9, s3
	v_mov_b32_e32 v1, s23
	v_sub_co_u32_e32 v1, vcc, s16, v1
	s_cmp_lg_u64 vcc, 0
	s_subb_u32 s16, s17, s24
	v_subrev_co_u32_e32 v2, vcc, s9, v1
	s_cmp_lg_u64 vcc, 0
	s_subb_u32 s17, s16, 0
	v_readfirstlane_b32 s23, v2
	s_cmp_ge_u32 s23, s9
	s_cselect_b32 s23, -1, 0
	s_cmp_eq_u32 s17, 0
	s_cselect_b32 s17, s23, -1
	s_cmp_lg_u32 s17, 0
	s_cselect_b32 s17, s22, s20
	v_readfirstlane_b32 s20, v1
	s_cselect_b32 s19, s21, s19
	s_cmp_ge_u32 s20, s9
	s_cselect_b32 s20, -1, 0
	s_cmp_eq_u32 s16, 0
	s_cselect_b32 s16, s20, -1
	s_cmp_lg_u32 s16, 0
	s_cselect_b32 s17, s17, s18
	s_cselect_b32 s16, s19, s3
	s_xor_b64 s[16:17], s[16:17], s[10:11]
	s_sub_u32 s20, s16, s10
	s_load_dwordx4 s[16:19], s[4:5], 0x44
	s_cbranch_execnz .LBB23_3
.LBB23_2:
	v_cvt_f32_u32_e32 v1, s9
	s_sub_i32 s0, 0, s9
	v_rcp_iflag_f32_e32 v1, v1
	v_mul_f32_e32 v1, 0x4f7ffffe, v1
	v_cvt_u32_f32_e32 v1, v1
	v_readfirstlane_b32 s1, v1
	s_mul_i32 s0, s0, s1
	s_mul_hi_u32 s0, s1, s0
	s_add_i32 s1, s1, s0
	s_mul_hi_u32 s0, s2, s1
	s_mul_i32 s3, s0, s9
	s_sub_i32 s2, s2, s3
	s_add_i32 s1, s0, 1
	s_sub_i32 s3, s2, s9
	s_cmp_ge_u32 s2, s9
	s_cselect_b32 s0, s1, s0
	s_cselect_b32 s2, s3, s2
	s_add_i32 s1, s0, 1
	s_cmp_ge_u32 s2, s9
	s_cselect_b32 s20, s1, s0
.LBB23_3:
	s_add_i32 s0, s6, 1
	s_mul_hi_i32 s3, s15, s0
	s_mov_b32 s2, 0
	s_cmp_lg_u64 s[2:3], 0
	s_mul_i32 s2, s15, s0
	s_cbranch_scc0 .LBB23_22
; %bb.4:
	v_cvt_f32_u32_e32 v1, s9
	v_cvt_f32_ubyte0_e32 v2, 0
	s_sub_u32 s10, 0, s9
	s_subb_u32 s11, 0, 0
	v_madmk_f32 v1, v2, 0x4f800000, v1
	v_rcp_f32_e32 v1, v1
	v_mul_f32_e32 v1, 0x5f7ffffc, v1
	v_mul_f32_e32 v2, 0x2f800000, v1
	v_trunc_f32_e32 v2, v2
	v_madmk_f32 v1, v2, 0xcf800000, v1
	v_cvt_u32_f32_e32 v2, v2
	v_cvt_u32_f32_e32 v1, v1
	s_waitcnt lgkmcnt(0)
	v_readfirstlane_b32 s19, v2
	v_readfirstlane_b32 s21, v1
	s_mul_i32 s22, s10, s19
	s_mul_hi_u32 s24, s10, s21
	s_mul_i32 s23, s11, s21
	s_add_i32 s22, s24, s22
	s_add_i32 s22, s22, s23
	s_mul_i32 s25, s10, s21
	s_mul_hi_u32 s23, s21, s22
	s_mul_i32 s24, s21, s22
	s_mul_hi_u32 s21, s21, s25
	s_add_u32 s21, s21, s24
	s_addc_u32 s23, 0, s23
	s_mul_hi_u32 s26, s19, s25
	s_mul_i32 s25, s19, s25
	s_add_u32 s21, s21, s25
	s_mul_hi_u32 s24, s19, s22
	s_addc_u32 s21, s23, s26
	s_addc_u32 s23, s24, 0
	s_mul_i32 s22, s19, s22
	s_add_u32 s21, s21, s22
	s_addc_u32 s22, 0, s23
	v_add_co_u32_e32 v1, vcc, s21, v1
	s_cmp_lg_u64 vcc, 0
	s_addc_u32 s19, s19, s22
	v_readfirstlane_b32 s22, v1
	s_mul_i32 s21, s10, s19
	s_mul_hi_u32 s23, s10, s22
	s_add_i32 s21, s23, s21
	s_mul_i32 s11, s11, s22
	s_add_i32 s21, s21, s11
	s_mul_i32 s10, s10, s22
	s_mul_hi_u32 s23, s19, s10
	s_mul_i32 s24, s19, s10
	s_mul_i32 s26, s22, s21
	s_mul_hi_u32 s10, s22, s10
	s_mul_hi_u32 s25, s22, s21
	s_add_u32 s10, s10, s26
	s_addc_u32 s22, 0, s25
	s_add_u32 s10, s10, s24
	s_mul_hi_u32 s11, s19, s21
	s_addc_u32 s10, s22, s23
	s_addc_u32 s11, s11, 0
	s_mul_i32 s21, s19, s21
	s_add_u32 s10, s10, s21
	s_addc_u32 s11, 0, s11
	v_add_co_u32_e32 v1, vcc, s10, v1
	s_cmp_lg_u64 vcc, 0
	s_addc_u32 s19, s19, s11
	s_ashr_i32 s10, s3, 31
	s_add_u32 s22, s2, s10
	s_mov_b32 s11, s10
	s_addc_u32 s23, s3, s10
	s_xor_b64 s[22:23], s[22:23], s[10:11]
	v_readfirstlane_b32 s21, v1
	s_mul_i32 s11, s22, s19
	s_mul_hi_u32 s24, s22, s21
	s_mul_hi_u32 s3, s22, s19
	s_add_u32 s11, s24, s11
	s_addc_u32 s3, 0, s3
	s_mul_hi_u32 s25, s23, s21
	s_mul_i32 s21, s23, s21
	s_add_u32 s11, s11, s21
	s_mul_hi_u32 s24, s23, s19
	s_addc_u32 s3, s3, s25
	s_addc_u32 s11, s24, 0
	s_mul_i32 s19, s23, s19
	s_add_u32 s3, s3, s19
	s_addc_u32 s11, 0, s11
	s_mul_i32 s11, s9, s11
	s_mul_hi_u32 s24, s9, s3
	s_add_i32 s24, s24, s11
	s_mul_i32 s11, s9, s3
	v_mov_b32_e32 v1, s11
	s_add_u32 s19, s3, 1
	s_add_u32 s21, s3, 2
	v_sub_co_u32_e32 v1, vcc, s22, v1
	s_cmp_lg_u64 vcc, 0
	s_subb_u32 s11, s23, s24
	v_subrev_co_u32_e32 v2, vcc, s9, v1
	s_cmp_lg_u64 vcc, 0
	s_subb_u32 s22, s11, 0
	v_cmp_le_u32_e32 vcc, s9, v2
	s_cmp_eq_u32 s22, 0
	v_cndmask_b32_e64 v2, 0, -1, vcc
	s_cselect_b64 vcc, -1, 0
	v_cndmask_b32_e32 v2, -1, v2, vcc
	v_mov_b32_e32 v3, s19
	v_mov_b32_e32 v4, s21
	v_cmp_ne_u32_e32 vcc, 0, v2
	v_cndmask_b32_e32 v2, v3, v4, vcc
	v_cmp_le_u32_e32 vcc, s9, v1
	s_cmp_eq_u32 s11, 0
	v_cndmask_b32_e64 v1, 0, -1, vcc
	s_cselect_b64 vcc, -1, 0
	v_cndmask_b32_e32 v1, -1, v1, vcc
	v_mov_b32_e32 v3, s3
	v_cmp_ne_u32_e32 vcc, 0, v1
	v_cndmask_b32_e32 v1, v3, v2, vcc
	v_xor_b32_e32 v1, s10, v1
	v_subrev_co_u32_e32 v2, vcc, s10, v1
	s_cbranch_execnz .LBB23_6
.LBB23_5:
	v_cvt_f32_u32_e32 v1, s9
	s_sub_i32 s0, 0, s9
	s_mov_b32 s1, 0
	v_rcp_iflag_f32_e32 v1, v1
	v_mul_f32_e32 v1, 0x4f7ffffe, v1
	v_cvt_u32_f32_e32 v1, v1
	v_readfirstlane_b32 s3, v1
	s_mul_i32 s0, s0, s3
	s_mul_hi_u32 s0, s3, s0
	s_add_i32 s3, s3, s0
	s_mul_hi_u32 s0, s2, s3
	s_mul_i32 s10, s0, s9
	s_sub_i32 s2, s2, s10
	s_add_i32 s3, s0, 1
	s_sub_i32 s10, s2, s9
	s_cmp_ge_u32 s2, s9
	s_cselect_b32 s0, s3, s0
	s_cselect_b32 s2, s10, s2
	s_add_i32 s3, s0, 1
	s_cmp_ge_u32 s2, s9
	s_cselect_b32 s0, s3, s0
	v_pk_mov_b32 v[2:3], s[0:1], s[0:1] op_sel:[0,1]
.LBB23_6:
	s_waitcnt lgkmcnt(0)
	s_mul_hi_u32 s0, s20, s16
	s_add_i32 s0, s0, s20
	v_mul_hi_u32 v1, v2, s16
	s_lshr_b32 s19, s0, s17
	v_add_u32_e32 v1, v1, v2
	s_mul_i32 s0, s19, s18
	v_lshrrev_b32_e32 v1, s17, v1
	s_cmp_eq_u32 s0, s20
	v_cmp_eq_u32_e64 s[0:1], s19, v1
	v_mul_lo_u32 v1, v1, s18
	v_cmp_eq_u32_e32 vcc, s20, v2
	s_cselect_b64 s[10:11], -1, 0
	v_cmp_ne_u32_e64 s[2:3], v1, v2
	s_and_b64 s[0:1], s[0:1], s[2:3]
	s_or_b64 s[2:3], vcc, s[10:11]
	s_or_b64 s[0:1], s[2:3], s[0:1]
	s_and_b64 vcc, exec, s[0:1]
	s_cbranch_vccnz .LBB23_24
; %bb.7:
	s_load_dwordx8 s[24:31], s[4:5], 0x20
	s_load_dword s0, s[4:5], 0x40
	s_mov_b32 s10, 0
	s_waitcnt lgkmcnt(0)
	s_mul_hi_u32 s1, s20, s24
	s_add_i32 s1, s1, s20
	s_lshr_b32 s11, s1, s25
	s_mul_i32 s1, s11, s26
	s_sub_i32 s1, s20, s1
	s_mul_hi_u32 s2, s1, s27
	s_add_i32 s2, s1, s2
	s_lshr_b32 s24, s2, s28
	s_mul_i32 s2, s24, s29
	s_sub_i32 s1, s1, s2
	;; [unrolled: 5-line block ×3, first 2 shown]
	s_mul_hi_u32 s1, s0, s16
	s_add_i32 s0, s0, s1
	s_lshr_b32 s26, s0, s17
	s_lshl_b32 s0, s26, 3
	s_lshl_b32 s25, s2, 2
	s_add_i32 s0, s0, s7
	s_cmp_lt_i32 s0, s12
	s_cselect_b64 s[0:1], -1, 0
	s_add_i32 s2, s25, s8
	s_cmp_lt_i32 s2, s14
	s_cselect_b64 s[2:3], -1, 0
	s_and_b64 s[0:1], s[0:1], s[2:3]
	s_andn2_b64 vcc, exec, s[0:1]
	s_cbranch_vccnz .LBB23_24
; %bb.8:
	s_load_dwordx4 s[0:3], s[4:5], 0x0
	s_lshl_b32 s21, s7, 2
	s_lshl_b32 s4, s9, 7
	s_mov_b32 s5, s10
	s_add_i32 s21, s21, s8
	s_lshl_b64 s[4:5], s[4:5], 2
	s_waitcnt lgkmcnt(0)
	s_add_u32 s22, s2, s4
	s_mul_i32 s4, s11, s12
	s_addc_u32 s23, s3, s5
	s_add_i32 s4, s4, s7
	s_mul_i32 s4, s4, s13
	s_mul_i32 s24, s24, s14
	s_add_i32 s4, s4, s8
	s_add_i32 s4, s4, s24
	s_mul_i32 s5, s13, s26
	s_add_i32 s4, s4, s25
	s_lshl_b32 s5, s5, 9
	s_lshl_b32 s4, s4, 6
	s_add_i32 s5, s5, s4
	v_or_b32_e32 v2, s5, v0
	v_ashrrev_i32_e32 v3, 31, v2
	v_lshlrev_b64 v[2:3], 2, v[2:3]
	v_mov_b32_e32 v1, s1
	v_add_co_u32_e32 v2, vcc, s0, v2
	v_addc_co_u32_e32 v3, vcc, v1, v3, vcc
	global_load_dword v5, v[2:3], off
	v_lshl_or_b32 v4, s21, 6, v0
	v_cvt_f32_u32_e32 v0, s9
	v_cvt_f32_ubyte0_e32 v1, 0
	s_lshl_b32 s0, s6, 5
	s_add_i32 s0, s21, s0
	v_mac_f32_e32 v0, 0x4f800000, v1
	v_rcp_f32_e32 v0, v0
	v_cvt_f32_u32_e32 v1, s9
	s_ashr_i32 s1, s0, 31
	s_lshl_b64 s[0:1], s[0:1], 3
	v_mul_f32_e32 v0, 0x5f7ffffc, v0
	v_rcp_iflag_f32_e32 v1, v1
	s_add_u32 s0, s2, s0
	v_mul_f32_e32 v9, 0x2f800000, v0
	s_addc_u32 s1, s3, s1
	v_trunc_f32_e32 v10, v9
	s_load_dwordx2 s[0:1], s[0:1], 0x0
	v_mac_f32_e32 v0, 0xcf800000, v10
	v_cvt_u32_f32_e32 v9, v0
	v_mul_f32_e32 v0, 0x4f7ffffe, v1
	v_cvt_u32_f32_e32 v10, v10
	v_cvt_u32_f32_e32 v11, v0
	s_add_i32 s8, s6, -1
	s_waitcnt lgkmcnt(0)
	v_mov_b32_e32 v6, s1
	v_mov_b32_e32 v7, s0
	;; [unrolled: 1-line block ×3, first 2 shown]
	s_mov_b32 s6, 0x3fb8aa3b
	s_mov_b32 s7, 0xc2ce8ed0
	;; [unrolled: 1-line block ×4, first 2 shown]
	v_mov_b32_e32 v12, 0x7f800000
	s_mul_hi_i32 s11, s8, s15
	s_cmp_lg_u64 s[10:11], 0
	s_mul_i32 s4, s8, s15
	s_cbranch_scc0 .LBB23_15
.LBB23_9:
	s_sub_u32 s0, 0, s9
	v_readfirstlane_b32 s5, v9
	v_readfirstlane_b32 s24, v10
	s_subb_u32 s1, 0, 0
	s_mul_hi_u32 s20, s0, s5
	s_mul_i32 s25, s0, s24
	s_mul_i32 s14, s1, s5
	s_add_i32 s20, s20, s25
	s_add_i32 s20, s20, s14
	s_mul_i32 s26, s0, s5
	s_mul_hi_u32 s14, s5, s20
	s_mul_i32 s25, s5, s20
	s_mul_hi_u32 s5, s5, s26
	s_add_u32 s5, s5, s25
	s_addc_u32 s14, 0, s14
	s_mul_hi_u32 s27, s24, s26
	s_mul_i32 s26, s24, s26
	s_add_u32 s5, s5, s26
	s_mul_hi_u32 s25, s24, s20
	s_addc_u32 s5, s14, s27
	s_addc_u32 s14, s25, 0
	s_mul_i32 s20, s24, s20
	s_add_u32 s5, s5, s20
	s_addc_u32 s14, 0, s14
	v_add_co_u32_e32 v0, vcc, s5, v9
	s_cmp_lg_u64 vcc, 0
	s_addc_u32 s5, s24, s14
	v_readfirstlane_b32 s20, v0
	s_mul_i32 s14, s0, s5
	s_mul_hi_u32 s24, s0, s20
	s_add_i32 s14, s24, s14
	s_mul_i32 s1, s1, s20
	s_add_i32 s14, s14, s1
	s_mul_i32 s0, s0, s20
	s_mul_hi_u32 s24, s5, s0
	s_mul_i32 s25, s5, s0
	s_mul_i32 s27, s20, s14
	s_mul_hi_u32 s0, s20, s0
	s_mul_hi_u32 s26, s20, s14
	s_add_u32 s0, s0, s27
	s_addc_u32 s20, 0, s26
	s_add_u32 s0, s0, s25
	s_mul_hi_u32 s1, s5, s14
	s_addc_u32 s0, s20, s24
	s_addc_u32 s1, s1, 0
	s_mul_i32 s14, s5, s14
	s_add_u32 s0, s0, s14
	s_addc_u32 s1, 0, s1
	v_add_co_u32_e32 v0, vcc, s0, v0
	s_cmp_lg_u64 vcc, 0
	s_addc_u32 s5, s5, s1
	s_ashr_i32 s0, s11, 31
	s_add_u32 s24, s4, s0
	s_mov_b32 s1, s0
	s_addc_u32 s25, s11, s0
	s_xor_b64 s[24:25], s[24:25], s[0:1]
	v_readfirstlane_b32 s14, v0
	s_mul_i32 s11, s24, s5
	s_mul_hi_u32 s20, s24, s14
	s_mul_hi_u32 s1, s24, s5
	s_add_u32 s11, s20, s11
	s_addc_u32 s1, 0, s1
	s_mul_hi_u32 s26, s25, s14
	s_mul_i32 s14, s25, s14
	s_add_u32 s11, s11, s14
	s_mul_hi_u32 s20, s25, s5
	s_addc_u32 s1, s1, s26
	s_addc_u32 s11, s20, 0
	s_mul_i32 s5, s25, s5
	s_add_u32 s1, s1, s5
	s_addc_u32 s5, 0, s11
	s_mul_i32 s5, s9, s5
	s_mul_hi_u32 s20, s9, s1
	s_add_i32 s20, s20, s5
	s_mul_i32 s5, s9, s1
	v_mov_b32_e32 v0, s5
	s_add_u32 s11, s1, 1
	s_add_u32 s14, s1, 2
	v_sub_co_u32_e32 v0, vcc, s24, v0
	s_cmp_lg_u64 vcc, 0
	s_subb_u32 s5, s25, s20
	v_subrev_co_u32_e32 v1, vcc, s9, v0
	s_cmp_lg_u64 vcc, 0
	s_subb_u32 s20, s5, 0
	v_cmp_le_u32_e32 vcc, s9, v1
	s_cmp_eq_u32 s20, 0
	v_cndmask_b32_e64 v1, 0, -1, vcc
	s_cselect_b64 vcc, -1, 0
	v_cndmask_b32_e32 v1, -1, v1, vcc
	v_mov_b32_e32 v13, s11
	v_mov_b32_e32 v14, s14
	v_cmp_ne_u32_e32 vcc, 0, v1
	v_cndmask_b32_e32 v1, v13, v14, vcc
	v_cmp_le_u32_e32 vcc, s9, v0
	s_cmp_eq_u32 s5, 0
	v_cndmask_b32_e64 v0, 0, -1, vcc
	s_cselect_b64 vcc, -1, 0
	v_cndmask_b32_e32 v0, -1, v0, vcc
	v_mov_b32_e32 v13, s1
	v_cmp_ne_u32_e32 vcc, 0, v0
	v_cndmask_b32_e32 v0, v13, v1, vcc
	v_xor_b32_e32 v0, s0, v0
	v_subrev_co_u32_e32 v0, vcc, s0, v0
	s_cbranch_execnz .LBB23_11
.LBB23_10:
	s_sub_i32 s0, 0, s9
	v_mul_lo_u32 v0, s0, v11
	v_mul_hi_u32 v0, v11, v0
	v_add_u32_e32 v0, v11, v0
	v_mul_hi_u32 v0, s4, v0
	v_mul_lo_u32 v13, v0, s9
	v_sub_u32_e32 v13, s4, v13
	v_add_u32_e32 v1, 1, v0
	v_subrev_u32_e32 v14, s9, v13
	v_cmp_le_u32_e32 vcc, s9, v13
	v_cndmask_b32_e32 v13, v13, v14, vcc
	v_cndmask_b32_e32 v0, v0, v1, vcc
	v_add_u32_e32 v1, 1, v0
	v_cmp_le_u32_e32 vcc, s9, v13
	v_cndmask_b32_e32 v0, v0, v1, vcc
.LBB23_11:
	v_cmp_ne_u32_e32 vcc, v8, v0
	s_cbranch_vccz .LBB23_14
; %bb.12:
	s_add_i32 s0, s8, s9
	s_lshl_b32 s0, s0, 5
	v_mul_hi_u32 v1, v0, s16
	s_add_i32 s0, s0, s21
	s_mov_b32 s1, s10
	v_add_u32_e32 v1, v1, v0
	s_lshl_b64 s[0:1], s[0:1], 3
	v_lshrrev_b32_e32 v1, s17, v1
	s_add_u32 s4, s2, s0
	v_mul_lo_u32 v13, v1, s18
	s_addc_u32 s5, s3, s1
	v_cmp_eq_u32_e32 vcc, v13, v0
	v_cmp_gt_u32_e64 s[0:1], s19, v1
	s_or_b64 s[0:1], s[0:1], vcc
	s_and_b64 vcc, exec, s[0:1]
	s_cbranch_vccnz .LBB23_16
; %bb.13:
	s_add_i32 s11, s8, -1
	s_mov_b64 s[0:1], 0
	s_branch .LBB23_17
.LBB23_14:
                                        ; implicit-def: $sgpr0_sgpr1
                                        ; implicit-def: $vgpr14
                                        ; implicit-def: $vgpr1
                                        ; implicit-def: $vgpr13
                                        ; implicit-def: $sgpr11
                                        ; implicit-def: $vgpr0
	s_branch .LBB23_18
.LBB23_15:
                                        ; implicit-def: $vgpr0_vgpr1
	s_branch .LBB23_10
.LBB23_16:
	s_mov_b64 s[0:1], -1
	s_mov_b32 s11, s8
	v_mov_b32_e32 v0, v8
.LBB23_17:
	v_lshl_add_u32 v14, s8, 11, v4
	v_ashrrev_i32_e32 v15, 31, v14
	v_lshlrev_b64 v[14:15], 2, v[14:15]
	v_mov_b32_e32 v1, s23
	v_add_co_u32_e32 v14, vcc, s22, v14
	v_addc_co_u32_e32 v15, vcc, v1, v15, vcc
	global_load_dword v14, v[14:15], off
	s_load_dwordx2 s[4:5], s[4:5], 0x0
	v_max_f32_e32 v1, v7, v7
	s_waitcnt lgkmcnt(0)
	v_max_f32_e64 v13, s4, s4
	v_max_f32_e32 v1, v1, v13
	v_sub_f32_e32 v13, v7, v1
	v_sub_f32_e32 v15, s4, v1
	v_mul_f32_e32 v16, 0x3fb8aa3b, v13
	v_mul_f32_e32 v17, 0x3fb8aa3b, v15
	v_fma_f32 v18, v13, s6, -v16
	v_rndne_f32_e32 v19, v16
	v_fma_f32 v20, v15, s6, -v17
	v_rndne_f32_e32 v21, v17
	v_fmac_f32_e32 v18, 0x32a5705f, v13
	v_sub_f32_e32 v16, v16, v19
	v_fmac_f32_e32 v20, 0x32a5705f, v15
	v_sub_f32_e32 v17, v17, v21
	v_add_f32_e32 v16, v16, v18
	v_cvt_i32_f32_e32 v19, v19
	v_add_f32_e32 v17, v17, v20
	v_exp_f32_e32 v16, v16
	v_cvt_i32_f32_e32 v21, v21
	v_exp_f32_e32 v17, v17
	v_cmp_ngt_f32_e32 vcc, s7, v13
	v_ldexp_f32 v16, v16, v19
	v_cndmask_b32_e32 v16, 0, v16, vcc
	v_ldexp_f32 v17, v17, v21
	v_cmp_ngt_f32_e32 vcc, s7, v15
	v_cndmask_b32_e32 v17, 0, v17, vcc
	v_cmp_nlt_f32_e32 vcc, s12, v13
	v_cndmask_b32_e32 v16, v12, v16, vcc
	v_cmp_nlt_f32_e32 vcc, s12, v15
	v_cndmask_b32_e32 v17, v12, v17, vcc
	v_cmp_le_f32_e32 vcc, s13, v13
	v_cndmask_b32_e32 v16, 0, v16, vcc
	v_cmp_le_f32_e32 vcc, s13, v15
	v_cndmask_b32_e32 v15, 0, v17, vcc
	v_mul_f32_e32 v13, s5, v15
	v_fmac_f32_e32 v13, v6, v16
	s_waitcnt vmcnt(0)
	v_mul_f32_e32 v14, v14, v15
	v_fmac_f32_e32 v14, v5, v16
	s_cbranch_execnz .LBB23_19
.LBB23_18:
	s_add_i32 s11, s8, -1
	s_mov_b64 s[0:1], 0
	v_mov_b32_e32 v0, v8
	v_mov_b32_e32 v13, v6
	;; [unrolled: 1-line block ×3, first 2 shown]
	s_waitcnt vmcnt(0)
	v_mov_b32_e32 v14, v5
.LBB23_19:
	s_andn2_b64 vcc, exec, s[0:1]
	s_cbranch_vccz .LBB23_23
; %bb.20:
	v_mov_b32_e32 v8, v0
	s_mov_b32 s8, s11
	v_mov_b32_e32 v6, v13
	v_mov_b32_e32 v7, v1
	s_waitcnt vmcnt(0)
	v_mov_b32_e32 v5, v14
	s_mul_hi_i32 s11, s8, s15
	s_cmp_lg_u64 s[10:11], 0
	s_mul_i32 s4, s8, s15
	s_cbranch_scc1 .LBB23_9
	s_branch .LBB23_15
.LBB23_21:
                                        ; implicit-def: $sgpr20_sgpr21
	s_load_dwordx4 s[16:19], s[4:5], 0x44
	s_branch .LBB23_2
.LBB23_22:
                                        ; implicit-def: $vgpr2_vgpr3
	s_branch .LBB23_5
.LBB23_23:
	v_div_scale_f32 v0, s[0:1], v13, v13, v14
	v_rcp_f32_e32 v1, v0
	v_div_scale_f32 v4, vcc, v14, v13, v14
	s_waitcnt vmcnt(0)
	v_fma_f32 v5, -v0, v1, 1.0
	v_fmac_f32_e32 v1, v5, v1
	v_mul_f32_e32 v5, v4, v1
	v_fma_f32 v6, -v0, v5, v4
	v_fmac_f32_e32 v5, v6, v1
	v_fma_f32 v0, -v0, v5, v4
	v_div_fmas_f32 v0, v0, v1, v5
	v_div_fixup_f32 v0, v0, v13, v14
	global_store_dword v[2:3], v0, off
.LBB23_24:
	s_endpgm
	.section	.rodata,"a",@progbits
	.p2align	6, 0x0
	.amdhsa_kernel _ZL33flash_attn_stream_k_fixup_generalILi64ELi8ELi4EEvPfPK15HIP_vector_typeIfLj2EEiiiiS1_IjLj3EES5_S5_S5_
		.amdhsa_group_segment_fixed_size 0
		.amdhsa_private_segment_fixed_size 0
		.amdhsa_kernarg_size 336
		.amdhsa_user_sgpr_count 6
		.amdhsa_user_sgpr_private_segment_buffer 1
		.amdhsa_user_sgpr_dispatch_ptr 0
		.amdhsa_user_sgpr_queue_ptr 0
		.amdhsa_user_sgpr_kernarg_segment_ptr 1
		.amdhsa_user_sgpr_dispatch_id 0
		.amdhsa_user_sgpr_flat_scratch_init 0
		.amdhsa_user_sgpr_kernarg_preload_length 0
		.amdhsa_user_sgpr_kernarg_preload_offset 0
		.amdhsa_user_sgpr_private_segment_size 0
		.amdhsa_uses_dynamic_stack 0
		.amdhsa_system_sgpr_private_segment_wavefront_offset 0
		.amdhsa_system_sgpr_workgroup_id_x 1
		.amdhsa_system_sgpr_workgroup_id_y 1
		.amdhsa_system_sgpr_workgroup_id_z 1
		.amdhsa_system_sgpr_workgroup_info 0
		.amdhsa_system_vgpr_workitem_id 0
		.amdhsa_next_free_vgpr 22
		.amdhsa_next_free_sgpr 32
		.amdhsa_accum_offset 24
		.amdhsa_reserve_vcc 1
		.amdhsa_reserve_flat_scratch 0
		.amdhsa_float_round_mode_32 0
		.amdhsa_float_round_mode_16_64 0
		.amdhsa_float_denorm_mode_32 3
		.amdhsa_float_denorm_mode_16_64 3
		.amdhsa_dx10_clamp 1
		.amdhsa_ieee_mode 1
		.amdhsa_fp16_overflow 0
		.amdhsa_tg_split 0
		.amdhsa_exception_fp_ieee_invalid_op 0
		.amdhsa_exception_fp_denorm_src 0
		.amdhsa_exception_fp_ieee_div_zero 0
		.amdhsa_exception_fp_ieee_overflow 0
		.amdhsa_exception_fp_ieee_underflow 0
		.amdhsa_exception_fp_ieee_inexact 0
		.amdhsa_exception_int_div_zero 0
	.end_amdhsa_kernel
	.section	.text._ZL33flash_attn_stream_k_fixup_generalILi64ELi8ELi4EEvPfPK15HIP_vector_typeIfLj2EEiiiiS1_IjLj3EES5_S5_S5_,"axG",@progbits,_ZL33flash_attn_stream_k_fixup_generalILi64ELi8ELi4EEvPfPK15HIP_vector_typeIfLj2EEiiiiS1_IjLj3EES5_S5_S5_,comdat
.Lfunc_end23:
	.size	_ZL33flash_attn_stream_k_fixup_generalILi64ELi8ELi4EEvPfPK15HIP_vector_typeIfLj2EEiiiiS1_IjLj3EES5_S5_S5_, .Lfunc_end23-_ZL33flash_attn_stream_k_fixup_generalILi64ELi8ELi4EEvPfPK15HIP_vector_typeIfLj2EEiiiiS1_IjLj3EES5_S5_S5_
                                        ; -- End function
	.section	.AMDGPU.csdata,"",@progbits
; Kernel info:
; codeLenInByte = 2824
; NumSgprs: 36
; NumVgprs: 22
; NumAgprs: 0
; TotalNumVgprs: 22
; ScratchSize: 0
; MemoryBound: 0
; FloatMode: 240
; IeeeMode: 1
; LDSByteSize: 0 bytes/workgroup (compile time only)
; SGPRBlocks: 4
; VGPRBlocks: 2
; NumSGPRsForWavesPerEU: 36
; NumVGPRsForWavesPerEU: 22
; AccumOffset: 24
; Occupancy: 8
; WaveLimiterHint : 0
; COMPUTE_PGM_RSRC2:SCRATCH_EN: 0
; COMPUTE_PGM_RSRC2:USER_SGPR: 6
; COMPUTE_PGM_RSRC2:TRAP_HANDLER: 0
; COMPUTE_PGM_RSRC2:TGID_X_EN: 1
; COMPUTE_PGM_RSRC2:TGID_Y_EN: 1
; COMPUTE_PGM_RSRC2:TGID_Z_EN: 1
; COMPUTE_PGM_RSRC2:TIDIG_COMP_CNT: 0
; COMPUTE_PGM_RSRC3_GFX90A:ACCUM_OFFSET: 5
; COMPUTE_PGM_RSRC3_GFX90A:TG_SPLIT: 0
	.section	.text._ZL15flash_attn_tileILi64ELi64ELi4ELi4ELb0EEvPKcS1_S1_S1_S1_PKiPfP15HIP_vector_typeIfLj2EEffffjfiS5_IjLj3EEiiiiiiiiiiiliiliiiiil,"axG",@progbits,_ZL15flash_attn_tileILi64ELi64ELi4ELi4ELb0EEvPKcS1_S1_S1_S1_PKiPfP15HIP_vector_typeIfLj2EEffffjfiS5_IjLj3EEiiiiiiiiiiiliiliiiiil,comdat
	.globl	_ZL15flash_attn_tileILi64ELi64ELi4ELi4ELb0EEvPKcS1_S1_S1_S1_PKiPfP15HIP_vector_typeIfLj2EEffffjfiS5_IjLj3EEiiiiiiiiiiiliiliiiiil ; -- Begin function _ZL15flash_attn_tileILi64ELi64ELi4ELi4ELb0EEvPKcS1_S1_S1_S1_PKiPfP15HIP_vector_typeIfLj2EEffffjfiS5_IjLj3EEiiiiiiiiiiiliiliiiiil
	.p2align	8
	.type	_ZL15flash_attn_tileILi64ELi64ELi4ELi4ELb0EEvPKcS1_S1_S1_S1_PKiPfP15HIP_vector_typeIfLj2EEffffjfiS5_IjLj3EEiiiiiiiiiiiliiliiiiil,@function
_ZL15flash_attn_tileILi64ELi64ELi4ELi4ELb0EEvPKcS1_S1_S1_S1_PKiPfP15HIP_vector_typeIfLj2EEffffjfiS5_IjLj3EEiiiiiiiiiiiliiliiiiil: ; @_ZL15flash_attn_tileILi64ELi64ELi4ELi4ELb0EEvPKcS1_S1_S1_S1_PKiPfP15HIP_vector_typeIfLj2EEffffjfiS5_IjLj3EEiiiiiiiiiiiliiliiiiil
; %bb.0:
	s_load_dwordx4 s[52:55], s[4:5], 0x5c
	s_load_dwordx2 s[56:57], s[4:5], 0x80
	s_load_dwordx16 s[36:51], s[4:5], 0x0
	s_mov_b64 s[58:59], 0
	s_waitcnt lgkmcnt(0)
	s_ashr_i32 s0, s55, 31
	s_lshr_b32 s0, s0, 30
	s_add_i32 s0, s55, s0
	s_ashr_i32 s0, s0, 2
	v_cvt_f32_u32_e32 v1, s0
	s_sub_i32 s1, 0, s0
	v_rcp_iflag_f32_e32 v1, v1
	v_mul_f32_e32 v1, 0x4f7ffffe, v1
	v_cvt_u32_f32_e32 v1, v1
	v_readfirstlane_b32 s2, v1
	s_mul_i32 s1, s1, s2
	s_mul_hi_u32 s1, s2, s1
	s_add_i32 s2, s2, s1
	s_mul_hi_u32 s1, s8, s2
	s_mul_i32 s2, s1, s0
	s_sub_i32 s2, s8, s2
	s_add_i32 s3, s1, 1
	s_sub_i32 s9, s2, s0
	s_cmp_ge_u32 s2, s0
	s_cselect_b32 s1, s3, s1
	s_cselect_b32 s2, s9, s2
	s_add_i32 s3, s1, 1
	s_cmp_ge_u32 s2, s0
	s_cselect_b32 s33, s3, s1
	s_abs_i32 s0, s57
	v_cvt_f32_u32_e32 v1, s0
	s_lshl_b32 s1, s8, 2
	s_mul_i32 s8, s33, s55
	s_xor_b32 s2, s55, s57
	v_rcp_iflag_f32_e32 v1, v1
	s_sub_i32 s9, 0, s0
	s_sub_i32 s57, s1, s8
	s_abs_i32 s3, s55
	v_mul_f32_e32 v1, 0x4f7ffffe, v1
	v_cvt_u32_f32_e32 v1, v1
	s_ashr_i32 s2, s2, 31
	v_readfirstlane_b32 s1, v1
	s_mul_i32 s9, s9, s1
	s_mul_hi_u32 s8, s1, s9
	s_add_i32 s1, s1, s8
	s_mul_hi_u32 s1, s3, s1
	s_mul_i32 s8, s1, s0
	s_sub_i32 s3, s3, s8
	s_add_i32 s9, s1, 1
	s_sub_i32 s8, s3, s0
	s_cmp_ge_u32 s3, s0
	s_cselect_b32 s1, s9, s1
	s_cselect_b32 s3, s8, s3
	s_add_i32 s8, s1, 1
	s_cmp_ge_u32 s3, s0
	s_cselect_b32 s0, s8, s1
	s_xor_b32 s0, s0, s2
	s_sub_i32 s11, s0, s2
	s_abs_i32 s10, s11
	v_cvt_f32_u32_e32 v1, s10
	s_load_dwordx2 s[8:9], s[4:5], 0xb8
	s_cmp_eq_u64 s[42:43], 0
	v_rcp_iflag_f32_e32 v1, v1
	v_mul_f32_e32 v1, 0x4f7ffffe, v1
	v_cvt_u32_f32_e32 v1, v1
	v_readfirstlane_b32 s12, v1
	s_cbranch_scc1 .LBB24_2
; %bb.1:
	s_waitcnt lgkmcnt(0)
	s_abs_i32 s2, s8
	v_cvt_f32_u32_e32 v1, s2
	s_sub_i32 s13, 0, s2
	s_abs_i32 s8, s33
	s_ashr_i32 s3, s33, 31
	v_rcp_iflag_f32_e32 v1, v1
	s_load_dwordx2 s[0:1], s[4:5], 0xc8
	v_mul_f32_e32 v1, 0x4f7ffffe, v1
	v_cvt_u32_f32_e32 v1, v1
	v_readfirstlane_b32 s14, v1
	s_mul_i32 s13, s13, s14
	s_mul_hi_u32 s13, s14, s13
	s_add_i32 s14, s14, s13
	s_mul_hi_u32 s13, s8, s14
	s_mul_i32 s13, s13, s2
	s_sub_i32 s8, s8, s13
	s_sub_i32 s13, s8, s2
	s_cmp_ge_u32 s8, s2
	s_cselect_b32 s8, s13, s8
	s_sub_i32 s13, s8, s2
	s_cmp_ge_u32 s8, s2
	s_cselect_b32 s2, s13, s8
	s_xor_b32 s2, s2, s3
	s_sub_i32 s2, s2, s3
	s_ashr_i32 s3, s2, 31
	s_waitcnt lgkmcnt(0)
	s_mul_i32 s1, s2, s1
	s_mul_hi_u32 s8, s2, s0
	s_add_i32 s1, s8, s1
	s_mul_i32 s3, s3, s0
	s_add_i32 s1, s1, s3
	s_mul_i32 s2, s2, s0
	s_add_u32 s58, s42, s2
	s_addc_u32 s59, s43, s1
.LBB24_2:
	s_load_dwordx4 s[0:3], s[4:5], 0x70
	v_bfe_u32 v1, v0, 10, 10
	v_lshrrev_b32_e32 v2, 1, v1
	v_lshl_add_u32 v17, s6, 2, v2
	v_mul_hi_u32 v2, s52, v17
	s_waitcnt lgkmcnt(0)
	s_mul_i32 s2, s33, s2
	s_ashr_i32 s8, s2, 31
	s_mul_i32 s3, s57, s1
	s_add_u32 s2, s36, s2
	s_addc_u32 s8, s37, s8
	s_ashr_i32 s13, s3, 31
	v_add_u32_e32 v2, v17, v2
	s_add_u32 s14, s2, s3
	v_lshrrev_b32_e32 v2, s53, v2
	s_addc_u32 s8, s8, s13
	v_mul_lo_u32 v2, v2, s54
	s_ashr_i32 s15, s0, 31
	v_mov_b32_e32 v4, s0
	v_sub_u32_e32 v2, v17, v2
	v_alignbit_b32 v4, s15, v4, 2
	v_mad_u64_u32 v[4:5], s[2:3], v4, v2, 0
	v_mov_b32_e32 v6, v5
	s_lshr_b32 s0, s15, 2
	v_mad_u64_u32 v[6:7], s[2:3], s0, v2, v[6:7]
	v_mov_b32_e32 v5, v6
	v_lshlrev_b64 v[4:5], 2, v[4:5]
	v_and_b32_e32 v16, 0x3ff, v0
	v_mov_b32_e32 v0, s8
	v_add_co_u32_e32 v4, vcc, s14, v4
	v_lshlrev_b32_e32 v3, 1, v1
	v_addc_co_u32_e32 v0, vcc, v0, v5, vcc
	v_lshlrev_b32_e32 v5, 3, v16
	s_ashr_i32 s13, s1, 31
	v_add_co_u32_e32 v10, vcc, v4, v5
	v_and_b32_e32 v56, 2, v3
	v_mov_b32_e32 v4, s1
	v_or_b32_e32 v3, 1, v3
	s_lshr_b32 s2, s13, 2
	v_alignbit_b32 v6, s13, v4, 2
	v_and_b32_e32 v8, 3, v3
	v_addc_co_u32_e32 v11, vcc, 0, v0, vcc
	v_mul_lo_u32 v0, s2, v56
	v_mad_u64_u32 v[4:5], s[0:1], v6, v56, 0
	v_mad_u64_u32 v[6:7], s[0:1], v6, v8, 0
	v_or_b32_e32 v5, v5, v0
	v_mov_b32_e32 v0, v7
	v_lshlrev_b64 v[4:5], 2, v[4:5]
	v_mad_u64_u32 v[8:9], s[0:1], s2, v8, v[0:1]
	v_add_co_u32_e32 v4, vcc, v10, v4
	v_mov_b32_e32 v7, v8
	v_addc_co_u32_e32 v5, vcc, v11, v5, vcc
	v_lshlrev_b64 v[6:7], 2, v[6:7]
	v_add_co_u32_e32 v6, vcc, v10, v6
	v_addc_co_u32_e32 v7, vcc, v11, v7, vcc
	global_load_dwordx2 v[8:9], v[4:5], off
	global_load_dwordx2 v[10:11], v[6:7], off
	s_load_dword s0, s[4:5], 0x40
	v_lshlrev_b32_e32 v0, 6, v1
	v_add_lshl_u32 v0, v0, v16, 2
	v_lshlrev_b32_e32 v3, 5, v3
	s_cmp_eq_u64 s[46:47], 0
	v_add_lshl_u32 v3, v3, v16, 2
	s_waitcnt vmcnt(1) lgkmcnt(0)
	v_fma_mixlo_f16 v4, v8, s0, 0
	s_waitcnt vmcnt(0)
	v_fma_mixlo_f16 v5, v10, s0, 0
	v_fma_mixhi_f16 v4, v9, s0, 0
	v_fma_mixhi_f16 v5, v11, s0, 0
	ds_write_b32 v0, v4 offset:22528
	ds_write_b32 v3, v5 offset:22528
	s_waitcnt lgkmcnt(0)
	s_barrier
	s_cbranch_scc1 .LBB24_4
; %bb.3:
	s_load_dword s0, s[4:5], 0xd0
	s_mov_b32 s1, 0
	s_waitcnt lgkmcnt(0)
	s_mul_i32 s0, s0, s33
	s_add_i32 s0, s0, s6
	s_lshl_b64 s[0:1], s[0:1], 2
	s_add_u32 s0, s46, s0
	s_addc_u32 s1, s47, s1
	s_load_dword s56, s[0:1], 0x0
.LBB24_4:
	s_lshl_b32 s52, s7, 7
	s_waitcnt lgkmcnt(0)
	s_cmp_lt_i32 s52, s56
	v_mbcnt_lo_u32_b32 v0, -1, 0
	s_cbranch_scc1 .LBB24_6
; %bb.5:
	v_mbcnt_hi_u32_b32 v19, -1, v0
	v_and_b32_e32 v3, 0x60, v19
	s_mov_b32 s0, 0xfeffffff
	s_mov_b32 s6, 0
	v_add_u32_e32 v57, 32, v3
	v_xor_b32_e32 v63, 16, v19
	v_xor_b32_e32 v62, 8, v19
	;; [unrolled: 1-line block ×5, first 2 shown]
	s_mov_b32 s1, s0
	s_mov_b64 s[2:3], 0
	s_branch .LBB24_7
.LBB24_6:
	s_mov_b64 s[2:3], -1
                                        ; implicit-def: $sgpr6
                                        ; implicit-def: $sgpr0_sgpr1
                                        ; implicit-def: $vgpr19
                                        ; implicit-def: $vgpr57
                                        ; implicit-def: $vgpr63
                                        ; implicit-def: $vgpr62
                                        ; implicit-def: $vgpr61
                                        ; implicit-def: $vgpr60
                                        ; implicit-def: $vgpr59
.LBB24_7:
	s_andn2_b64 vcc, exec, s[2:3]
	v_mov_b32_e32 v21, s6
	v_pk_mov_b32 v[40:41], s[0:1], s[0:1] op_sel:[0,1]
	v_mov_b32_e32 v88, s6
	v_mov_b32_e32 v20, s6
	;; [unrolled: 1-line block ×3, first 2 shown]
	s_cbranch_vccnz .LBB24_10
; %bb.8:
	s_sub_i32 s0, 0, s10
	s_mul_i32 s0, s0, s12
	s_mul_hi_u32 s0, s12, s0
	s_add_i32 s8, s12, s0
	s_load_dwordx2 s[12:13], s[4:5], 0x8c
	s_load_dwordx4 s[0:3], s[4:5], 0x98
	s_abs_i32 s6, s57
	s_mul_hi_u32 s8, s6, s8
	s_ashr_i32 s16, s57, 31
	s_waitcnt lgkmcnt(0)
	s_ashr_i32 s60, s12, 2
	s_ashr_i32 s53, s2, 2
	;; [unrolled: 1-line block ×4, first 2 shown]
	s_mul_i32 s1, s33, s1
	s_mul_hi_u32 s12, s33, s0
	s_add_i32 s1, s12, s1
	s_mul_i32 s12, s9, s0
	s_ashr_i32 s11, s11, 31
	s_add_i32 s1, s1, s12
	s_mul_i32 s0, s33, s0
	s_add_u32 s0, s38, s0
	s_mul_i32 s12, s8, s10
	s_addc_u32 s1, s39, s1
	s_sub_i32 s6, s6, s12
	s_xor_b32 s11, s16, s11
	s_add_i32 s12, s8, 1
	s_sub_i32 s16, s6, s10
	s_cmp_ge_u32 s6, s10
	s_cselect_b32 s8, s12, s8
	s_cselect_b32 s6, s16, s6
	s_add_i32 s12, s8, 1
	s_cmp_ge_u32 s6, s10
	s_cselect_b32 s6, s12, s8
	s_load_dwordx2 s[14:15], s[4:5], 0xa8
	s_xor_b32 s6, s6, s11
	s_sub_i32 s6, s6, s11
	s_mul_i32 s8, s6, s13
	s_ashr_i32 s10, s8, 31
	s_add_u32 s61, s0, s8
	s_addc_u32 s62, s1, s10
	s_waitcnt lgkmcnt(0)
	s_mul_i32 s0, s33, s15
	s_mul_hi_u32 s1, s33, s14
	s_add_i32 s0, s1, s0
	s_mul_i32 s9, s9, s14
	s_add_i32 s0, s0, s9
	s_mul_i32 s1, s33, s14
	s_add_u32 s1, s40, s1
	s_mul_i32 s6, s6, s3
	s_addc_u32 s0, s41, s0
	s_ashr_i32 s3, s6, 31
	v_lshlrev_b32_e32 v64, 2, v16
	s_add_u32 s63, s1, s6
	v_lshrrev_b32_e32 v3, 3, v16
	v_and_b32_e32 v4, 28, v64
	s_addc_u32 s64, s0, s3
	v_lshl_add_u32 v3, v1, 2, v3
	v_lshlrev_b32_e32 v5, 2, v4
	s_movk_i32 s0, 0x90
	v_mad_u32_u24 v65, v3, s0, v5
	v_mul_lo_u32 v6, s60, v3
	s_lshl_b32 s0, s60, 5
	v_add_u32_e32 v8, s0, v6
	v_add_u32_e32 v10, s0, v8
	;; [unrolled: 1-line block ×3, first 2 shown]
	v_mad_u64_u32 v[18:19], s[0:1], v2, s2, v[16:17]
	v_mov_b32_e32 v2, 0x4800
	v_mov_b32_e32 v14, 0x5800
	v_lshl_add_u32 v71, v1, 9, v2
	v_mul_lo_u32 v2, s53, v3
	s_lshl_b32 s0, s53, 5
	v_lshl_add_u32 v70, v1, 8, v14
	v_add_u32_e32 v14, s0, v2
	v_add_u32_e32 v20, s0, v14
	v_add_u32_e32 v36, s0, v20
	v_mbcnt_hi_u32_b32 v19, -1, v0
	v_mov_b32_e32 v58, 0
	v_ashrrev_i32_e32 v7, 31, v6
	v_ashrrev_i32_e32 v9, 31, v8
	;; [unrolled: 1-line block ×4, first 2 shown]
	v_lshl_or_b32 v72, v3, 7, v5
	v_ashrrev_i32_e32 v3, 31, v2
	v_ashrrev_i32_e32 v15, 31, v14
	;; [unrolled: 1-line block ×4, first 2 shown]
	s_add_u32 s46, s4, 0xd0
	v_mov_b32_e32 v38, 0xfeffffff
	v_and_b32_e32 v0, 0x60, v19
	v_add_u32_e32 v66, 0x1200, v65
	v_add_u32_e32 v67, 0x2400, v65
	v_add_u32_e32 v68, 0x3600, v65
	v_mul_u32_u24_e32 v69, 0x90, v16
	v_add_u32_e32 v73, 0x1000, v72
	v_add_u32_e32 v74, 0x2000, v72
	;; [unrolled: 1-line block ×3, first 2 shown]
	s_addc_u32 s47, s5, 0
	v_lshlrev_b64 v[22:23], 2, v[6:7]
	v_lshlrev_b32_e32 v76, 2, v4
	v_lshlrev_b64 v[24:25], 2, v[8:9]
	v_lshlrev_b64 v[26:27], 2, v[10:11]
	;; [unrolled: 1-line block ×3, first 2 shown]
	v_add_u32_e32 v57, 32, v0
	v_xor_b32_e32 v63, 16, v19
	v_xor_b32_e32 v62, 8, v19
	;; [unrolled: 1-line block ×5, first 2 shown]
	v_mov_b32_e32 v77, s59
	s_mov_b32 s6, 0x40051340
	s_mov_b32 s59, 0x3fb8aa3b
	;; [unrolled: 1-line block ×4, first 2 shown]
	v_mov_b32_e32 v78, 0x7f800000
	v_add_u32_e32 v79, v71, v64
	v_lshlrev_b64 v[30:31], 2, v[2:3]
	v_lshlrev_b64 v[32:33], 2, v[14:15]
	;; [unrolled: 1-line block ×4, first 2 shown]
	v_add_u32_e32 v80, 0x400, v64
	v_add_u32_e32 v81, 0x800, v64
	;; [unrolled: 1-line block ×15, first 2 shown]
	v_mov_b32_e32 v88, 0
	v_mov_b32_e32 v39, v38
	;; [unrolled: 1-line block ×4, first 2 shown]
.LBB24_9:                               ; =>This Inner Loop Header: Depth=1
	s_mul_hi_i32 s13, s52, s60
	s_mul_i32 s12, s52, s60
	v_add_u32_e32 v0, s52, v18
	v_cmp_lt_i32_e64 s[0:1], v62, v57
	v_cmp_lt_i32_e64 s[10:11], v60, v57
	v_cndmask_b32_e64 v3, v19, v62, s[0:1]
	s_lshl_b64 s[0:1], s[12:13], 2
	v_ashrrev_i32_e32 v1, 31, v0
	v_cmp_lt_i32_e32 vcc, v63, v57
	v_cmp_lt_i32_e64 s[2:3], v61, v57
	v_cmp_lt_i32_e64 s[8:9], v59, v57
	v_cndmask_b32_e64 v5, v19, v60, s[10:11]
	s_add_u32 s10, s61, s0
	v_lshlrev_b64 v[0:1], 1, v[0:1]
	s_mul_hi_i32 s15, s52, s53
	s_mul_i32 s14, s52, s53
	v_cndmask_b32_e32 v2, v19, v63, vcc
	v_cndmask_b32_e64 v4, v19, v61, s[2:3]
	v_cndmask_b32_e64 v6, v19, v59, s[8:9]
	s_addc_u32 s12, s62, s1
	v_add_co_u32_e32 v0, vcc, s58, v0
	v_lshlrev_b32_e32 v108, 2, v2
	v_lshlrev_b32_e32 v109, 2, v3
	v_lshlrev_b32_e32 v110, 2, v4
	v_lshlrev_b32_e32 v111, 2, v5
	v_lshlrev_b32_e32 v112, 2, v6
	s_lshl_b64 s[18:19], s[14:15], 2
	v_add_co_u32_e64 v2, s[0:1], s10, v24
	v_add_co_u32_e64 v3, s[2:3], s10, v26
	;; [unrolled: 1-line block ×4, first 2 shown]
	v_addc_co_u32_e32 v1, vcc, v77, v1, vcc
	v_mov_b32_e32 v6, s12
	v_mov_b32_e32 v7, s12
	;; [unrolled: 1-line block ×4, first 2 shown]
	s_add_u32 s18, s63, s18
	v_add_co_u32_e32 v14, vcc, v2, v76
	v_add_co_u32_e64 v100, s[12:13], v3, v76
	v_add_co_u32_e64 v102, s[14:15], v4, v76
	;; [unrolled: 1-line block ×3, first 2 shown]
	v_addc_co_u32_e64 v2, s[10:11], v6, v23, s[10:11]
	v_addc_co_u32_e64 v3, s[0:1], v7, v25, s[0:1]
	;; [unrolled: 1-line block ×4, first 2 shown]
	v_add_co_u32_e64 v6, s[0:1], s18, v30
	v_add_co_u32_e64 v7, s[2:3], s18, v32
	;; [unrolled: 1-line block ×4, first 2 shown]
	v_addc_co_u32_e64 v105, s[16:17], 0, v2, s[16:17]
	v_addc_co_u32_e32 v15, vcc, 0, v3, vcc
	v_addc_co_u32_e64 v101, vcc, 0, v4, s[12:13]
	v_addc_co_u32_e64 v103, vcc, 0, v5, s[14:15]
	v_add_co_u32_e32 v48, vcc, v7, v76
	v_add_co_u32_e64 v50, s[12:13], v8, v76
	v_add_co_u32_e64 v52, s[14:15], v9, v76
	;; [unrolled: 1-line block ×3, first 2 shown]
	global_load_dwordx4 v[2:5], v[104:105], off
	global_load_dwordx4 v[6:9], v[14:15], off
	;; [unrolled: 1-line block ×4, first 2 shown]
	v_mov_b32_e32 v40, 0
	v_mov_b32_e32 v42, 0
	;; [unrolled: 1-line block ×3, first 2 shown]
	s_waitcnt vmcnt(3)
	ds_write_b128 v65, v[2:5]
	s_waitcnt vmcnt(2)
	ds_write_b128 v66, v[6:9]
	;; [unrolled: 2-line block ×4, first 2 shown]
	s_waitcnt lgkmcnt(0)
	s_barrier
	ds_read_b128 v[2:5], v70
	ds_read_b128 v[6:9], v69
	ds_read_b128 v[10:13], v69 offset:4608
	ds_read_b128 v[96:99], v69 offset:9216
	;; [unrolled: 1-line block ×4, first 2 shown]
	s_waitcnt lgkmcnt(4)
	;;#ASMSTART
	v_dot2_f32_f16 v40, v6, v2, v40
	;;#ASMEND
	;;#ASMSTART
	v_dot2_f32_f16 v40, v7, v3, v40
	;;#ASMEND
	;; [unrolled: 3-line block ×4, first 2 shown]
	s_waitcnt lgkmcnt(0)
	;;#ASMSTART
	v_dot2_f32_f16 v42, v6, v104, v42
	;;#ASMEND
	;;#ASMSTART
	v_dot2_f32_f16 v42, v7, v105, v42
	;;#ASMEND
	;;#ASMSTART
	v_dot2_f32_f16 v42, v8, v106, v42
	;;#ASMEND
	;;#ASMSTART
	v_dot2_f32_f16 v42, v9, v107, v42
	;;#ASMEND
	;;#ASMSTART
	v_dot2_f32_f16 v41, v10, v2, v41
	;;#ASMEND
	;;#ASMSTART
	v_dot2_f32_f16 v41, v11, v3, v41
	;;#ASMEND
	v_mov_b32_e32 v43, 0
	;;#ASMSTART
	v_dot2_f32_f16 v41, v12, v4, v41
	;;#ASMEND
	;;#ASMSTART
	v_dot2_f32_f16 v41, v13, v5, v41
	;;#ASMEND
	;;#ASMSTART
	v_dot2_f32_f16 v43, v10, v104, v43
	;;#ASMEND
	;;#ASMSTART
	v_dot2_f32_f16 v43, v11, v105, v43
	;;#ASMEND
	v_mov_b32_e32 v44, 0
	;;#ASMSTART
	v_dot2_f32_f16 v43, v12, v106, v43
	;;#ASMEND
	;;#ASMSTART
	v_dot2_f32_f16 v43, v13, v107, v43
	;;#ASMEND
	;;#ASMSTART
	v_dot2_f32_f16 v44, v96, v2, v44
	;;#ASMEND
	;;#ASMSTART
	v_dot2_f32_f16 v44, v97, v3, v44
	;;#ASMEND
	;; [unrolled: 13-line block ×5, first 2 shown]
	;;#ASMSTART
	v_dot2_f32_f16 v47, v102, v106, v47
	;;#ASMEND
	;;#ASMSTART
	v_dot2_f32_f16 v47, v103, v107, v47
	;;#ASMEND
	ds_read_b128 v[2:5], v70 offset:16
	ds_read_b128 v[6:9], v69 offset:16
	;; [unrolled: 1-line block ×6, first 2 shown]
	s_waitcnt lgkmcnt(4)
	;;#ASMSTART
	v_dot2_f32_f16 v40, v6, v2, v40
	;;#ASMEND
	;;#ASMSTART
	v_dot2_f32_f16 v40, v7, v3, v40
	;;#ASMEND
	;; [unrolled: 3-line block ×4, first 2 shown]
	s_waitcnt lgkmcnt(0)
	;;#ASMSTART
	v_dot2_f32_f16 v42, v6, v104, v42
	;;#ASMEND
	;;#ASMSTART
	v_dot2_f32_f16 v42, v7, v105, v42
	;;#ASMEND
	;; [unrolled: 3-line block ×28, first 2 shown]
	ds_read_b128 v[2:5], v70 offset:32
	ds_read_b128 v[6:9], v69 offset:32
	ds_read_b128 v[10:13], v69 offset:4640
	ds_read_b128 v[96:99], v69 offset:9248
	ds_read_b128 v[100:103], v69 offset:13856
	ds_read_b128 v[104:107], v70 offset:160
	s_waitcnt lgkmcnt(4)
	;;#ASMSTART
	v_dot2_f32_f16 v40, v6, v2, v40
	;;#ASMEND
	;;#ASMSTART
	v_dot2_f32_f16 v40, v7, v3, v40
	;;#ASMEND
	;;#ASMSTART
	v_dot2_f32_f16 v40, v8, v4, v40
	;;#ASMEND
	;;#ASMSTART
	v_dot2_f32_f16 v40, v9, v5, v40
	;;#ASMEND
	s_waitcnt lgkmcnt(0)
	;;#ASMSTART
	v_dot2_f32_f16 v42, v6, v104, v42
	;;#ASMEND
	;;#ASMSTART
	v_dot2_f32_f16 v42, v7, v105, v42
	;;#ASMEND
	;; [unrolled: 3-line block ×28, first 2 shown]
	ds_read_b128 v[2:5], v70 offset:48
	ds_read_b128 v[6:9], v69 offset:48
	;; [unrolled: 1-line block ×6, first 2 shown]
	s_waitcnt lgkmcnt(4)
	;;#ASMSTART
	v_dot2_f32_f16 v40, v6, v2, v40
	;;#ASMEND
	;;#ASMSTART
	v_dot2_f32_f16 v40, v7, v3, v40
	;;#ASMEND
	;; [unrolled: 3-line block ×4, first 2 shown]
	s_waitcnt lgkmcnt(0)
	;;#ASMSTART
	v_dot2_f32_f16 v42, v6, v104, v42
	;;#ASMEND
	;;#ASMSTART
	v_dot2_f32_f16 v42, v7, v105, v42
	;;#ASMEND
	;; [unrolled: 3-line block ×28, first 2 shown]
	ds_read_b128 v[2:5], v70 offset:64
	ds_read_b128 v[6:9], v69 offset:64
	;; [unrolled: 1-line block ×6, first 2 shown]
	s_waitcnt lgkmcnt(4)
	;;#ASMSTART
	v_dot2_f32_f16 v40, v6, v2, v40
	;;#ASMEND
	;;#ASMSTART
	v_dot2_f32_f16 v40, v7, v3, v40
	;;#ASMEND
	;; [unrolled: 3-line block ×4, first 2 shown]
	s_waitcnt lgkmcnt(0)
	;;#ASMSTART
	v_dot2_f32_f16 v42, v6, v104, v42
	;;#ASMEND
	;;#ASMSTART
	v_dot2_f32_f16 v42, v7, v105, v42
	;;#ASMEND
	;; [unrolled: 3-line block ×28, first 2 shown]
	ds_read_b128 v[2:5], v70 offset:80
	ds_read_b128 v[6:9], v69 offset:80
	;; [unrolled: 1-line block ×6, first 2 shown]
	s_waitcnt lgkmcnt(4)
	;;#ASMSTART
	v_dot2_f32_f16 v40, v6, v2, v40
	;;#ASMEND
	;;#ASMSTART
	v_dot2_f32_f16 v40, v7, v3, v40
	;;#ASMEND
	;; [unrolled: 3-line block ×4, first 2 shown]
	s_waitcnt lgkmcnt(0)
	;;#ASMSTART
	v_dot2_f32_f16 v42, v6, v104, v42
	;;#ASMEND
	;;#ASMSTART
	v_dot2_f32_f16 v42, v7, v105, v42
	;;#ASMEND
	;; [unrolled: 3-line block ×28, first 2 shown]
	ds_read_b128 v[2:5], v70 offset:96
	ds_read_b128 v[6:9], v69 offset:96
	ds_read_b128 v[10:13], v69 offset:4704
	ds_read_b128 v[96:99], v69 offset:9312
	ds_read_b128 v[100:103], v69 offset:13920
	ds_read_b128 v[104:107], v70 offset:224
	s_waitcnt lgkmcnt(4)
	;;#ASMSTART
	v_dot2_f32_f16 v40, v6, v2, v40
	;;#ASMEND
	;;#ASMSTART
	v_dot2_f32_f16 v40, v7, v3, v40
	;;#ASMEND
	;;#ASMSTART
	v_dot2_f32_f16 v40, v8, v4, v40
	;;#ASMEND
	;;#ASMSTART
	v_dot2_f32_f16 v40, v9, v5, v40
	;;#ASMEND
	s_waitcnt lgkmcnt(0)
	;;#ASMSTART
	v_dot2_f32_f16 v42, v6, v104, v42
	;;#ASMEND
	;;#ASMSTART
	v_dot2_f32_f16 v42, v7, v105, v42
	;;#ASMEND
	;; [unrolled: 3-line block ×28, first 2 shown]
	ds_read_b128 v[2:5], v70 offset:112
	ds_read_b128 v[6:9], v69 offset:112
	ds_read_b128 v[10:13], v69 offset:4720
	ds_read_b128 v[96:99], v69 offset:9328
	ds_read_b128 v[100:103], v69 offset:13936
	ds_read_b128 v[104:107], v70 offset:240
	s_waitcnt lgkmcnt(4)
	;;#ASMSTART
	v_dot2_f32_f16 v40, v6, v2, v40
	;;#ASMEND
	;;#ASMSTART
	v_dot2_f32_f16 v40, v7, v3, v40
	;;#ASMEND
	;; [unrolled: 3-line block ×4, first 2 shown]
	s_waitcnt lgkmcnt(0)
	;;#ASMSTART
	v_dot2_f32_f16 v42, v6, v104, v42
	;;#ASMEND
	;;#ASMSTART
	v_dot2_f32_f16 v42, v7, v105, v42
	;;#ASMEND
	;; [unrolled: 3-line block ×28, first 2 shown]
	flat_load_ushort v96, v[0:1] offset:64
	flat_load_ushort v97, v[0:1]
	flat_load_ushort v98, v[0:1] offset:128
	flat_load_ushort v99, v[0:1] offset:192
	s_addc_u32 s19, s64, s19
	v_mov_b32_e32 v49, s19
	v_mov_b32_e32 v51, s19
	v_mov_b32_e32 v53, s19
	v_mov_b32_e32 v55, s19
	v_addc_co_u32_e64 v14, s[0:1], v49, v31, s[0:1]
	v_addc_co_u32_e64 v15, s[0:1], v51, v33, s[2:3]
	;; [unrolled: 1-line block ×5, first 2 shown]
	v_addc_co_u32_e32 v49, vcc, 0, v15, vcc
	v_addc_co_u32_e64 v51, vcc, 0, v51, s[12:13]
	v_addc_co_u32_e64 v53, vcc, 0, v53, s[14:15]
	s_waitcnt lgkmcnt(0)
	s_barrier
	global_load_dwordx4 v[0:3], v[54:55], off
	global_load_dwordx4 v[4:7], v[48:49], off
	;; [unrolled: 1-line block ×4, first 2 shown]
	s_waitcnt vmcnt(0)
	v_cvt_f32_f16_e32 v49, v96
	v_cvt_f32_f16_e32 v48, v97
	;; [unrolled: 1-line block ×4, first 2 shown]
	v_pk_add_f32 v[50:51], v[42:43], v[48:49]
	v_pk_add_f32 v[42:43], v[44:45], v[52:53] op_sel_hi:[1,0]
	v_pk_add_f32 v[44:45], v[46:47], v[54:55] op_sel_hi:[1,0]
	v_pk_add_f32 v[46:47], v[40:41], v[48:49]
	v_mov_b32_e32 v52, v46
	v_mov_b32_e32 v53, v50
	;; [unrolled: 1-line block ×4, first 2 shown]
	v_pk_add_f32 v[52:53], v[52:53], s[6:7] op_sel_hi:[1,0]
	v_pk_add_f32 v[54:55], v[54:55], s[6:7] op_sel_hi:[1,0]
	;; [unrolled: 1-line block ×4, first 2 shown]
	v_max3_f32 v52, v38, v52, v54
	v_max3_f32 v53, v39, v53, v55
	;; [unrolled: 1-line block ×4, first 2 shown]
	ds_bpermute_b32 v48, v108, v41
	ds_bpermute_b32 v49, v108, v40
	s_waitcnt lgkmcnt(1)
	v_max_f32_e32 v48, v48, v48
	s_waitcnt lgkmcnt(0)
	v_max_f32_e32 v49, v49, v49
	v_max_f32_e32 v41, v41, v48
	v_max_f32_e32 v40, v40, v49
	ds_bpermute_b32 v48, v109, v41
	ds_bpermute_b32 v49, v109, v40
	s_waitcnt lgkmcnt(1)
	v_max_f32_e32 v48, v48, v48
	s_waitcnt lgkmcnt(0)
	v_max_f32_e32 v49, v49, v49
	v_max_f32_e32 v41, v41, v48
	v_max_f32_e32 v40, v40, v49
	;; [unrolled: 8-line block ×5, first 2 shown]
	v_pk_add_f32 v[48:49], v[46:47], v[40:41] op_sel_hi:[1,0] neg_lo:[0,1] neg_hi:[0,1]
	v_pk_add_f32 v[46:47], v[42:43], v[40:41] neg_lo:[0,1] neg_hi:[0,1]
	v_mov_b32_e32 v52, v41
	v_mul_f32_e32 v53, 0x3fb8aa3b, v49
	v_pk_add_f32 v[44:45], v[44:45], v[40:41] neg_lo:[0,1] neg_hi:[0,1]
	v_pk_add_f32 v[42:43], v[38:39], v[40:41] neg_lo:[0,1] neg_hi:[0,1]
	v_mul_f32_e32 v54, 0x3fb8aa3b, v48
	v_mul_f32_e32 v55, 0x3fb8aa3b, v47
	;; [unrolled: 1-line block ×3, first 2 shown]
	v_pk_add_f32 v[50:51], v[50:51], v[52:53] op_sel_hi:[1,0] neg_lo:[0,1] neg_hi:[0,1]
	v_mul_f32_e32 v52, 0x3fb8aa3b, v45
	v_mul_f32_e32 v97, 0x3fb8aa3b, v44
	;; [unrolled: 1-line block ×3, first 2 shown]
	v_fma_f32 v100, v49, s59, -v53
	v_rndne_f32_e32 v101, v53
	v_fma_f32 v102, v48, s59, -v54
	v_rndne_f32_e32 v103, v54
	v_fma_f32 v104, v47, s59, -v55
	v_rndne_f32_e32 v105, v55
	v_fma_f32 v106, v46, s59, -v96
	v_rndne_f32_e32 v107, v96
	v_mul_f32_e32 v108, 0x3fb8aa3b, v51
	v_mul_f32_e32 v109, 0x3fb8aa3b, v50
	;; [unrolled: 1-line block ×3, first 2 shown]
	v_cmp_ngt_f32_e32 vcc, s65, v48
	v_cmp_ngt_f32_e64 s[0:1], s65, v47
	v_cmp_ngt_f32_e64 s[34:35], s65, v46
	;; [unrolled: 1-line block ×3, first 2 shown]
	v_cmp_nlt_f32_e64 s[14:15], s66, v48
	v_cmp_nlt_f32_e64 s[16:17], s66, v47
	;; [unrolled: 1-line block ×4, first 2 shown]
	v_fma_f32 v110, v45, s59, -v52
	v_rndne_f32_e32 v111, v52
	v_fma_f32 v112, v44, s59, -v97
	v_rndne_f32_e32 v113, v97
	;; [unrolled: 2-line block ×3, first 2 shown]
	v_fmac_f32_e32 v100, 0x32a5705f, v49
	v_sub_f32_e32 v49, v53, v101
	v_cvt_i32_f32_e32 v53, v101
	v_fmac_f32_e32 v102, 0x32a5705f, v48
	v_sub_f32_e32 v48, v54, v103
	v_cvt_i32_f32_e32 v54, v103
	;; [unrolled: 3-line block ×4, first 2 shown]
	v_fma_f32 v101, v51, s59, -v108
	v_rndne_f32_e32 v103, v108
	v_fma_f32 v105, v50, s59, -v109
	v_rndne_f32_e32 v107, v109
	v_cmp_ngt_f32_e64 s[2:3], s65, v45
	v_cmp_ngt_f32_e64 s[8:9], s65, v44
	;; [unrolled: 1-line block ×3, first 2 shown]
	v_cmp_nlt_f32_e64 s[20:21], s66, v45
	v_cmp_nlt_f32_e64 s[22:23], s66, v44
	;; [unrolled: 1-line block ×3, first 2 shown]
	v_fma_f32 v116, v42, s59, -v99
	v_rndne_f32_e32 v117, v99
	v_cmp_ngt_f32_e64 s[36:37], s65, v51
	v_cmp_ngt_f32_e64 s[38:39], s65, v50
	v_cmp_nlt_f32_e64 s[40:41], s66, v50
	v_cmp_nlt_f32_e64 s[42:43], s66, v51
	v_fmac_f32_e32 v110, 0x32a5705f, v45
	v_sub_f32_e32 v45, v52, v111
	v_fmac_f32_e32 v112, 0x32a5705f, v44
	v_sub_f32_e32 v44, v97, v113
	;; [unrolled: 2-line block ×5, first 2 shown]
	v_cmp_ngt_f32_e64 s[12:13], s65, v42
	v_cmp_nlt_f32_e64 s[28:29], s66, v42
	v_fmac_f32_e32 v116, 0x32a5705f, v42
	v_sub_f32_e32 v42, v99, v117
	v_add_f32_e32 v49, v49, v100
	v_add_f32_e32 v48, v48, v102
	;; [unrolled: 1-line block ×9, first 2 shown]
	v_cvt_i32_f32_e32 v52, v111
	v_cvt_i32_f32_e32 v97, v113
	;; [unrolled: 1-line block ×5, first 2 shown]
	v_add_f32_e32 v42, v42, v116
	v_exp_f32_e32 v49, v49
	v_exp_f32_e32 v48, v48
	;; [unrolled: 1-line block ×9, first 2 shown]
	v_cvt_i32_f32_e32 v99, v117
	v_exp_f32_e32 v42, v42
	v_ldexp_f32 v49, v49, v53
	v_ldexp_f32 v48, v48, v54
	v_ldexp_f32 v47, v47, v55
	v_ldexp_f32 v46, v46, v96
	v_ldexp_f32 v45, v45, v52
	v_ldexp_f32 v44, v44, v97
	v_ldexp_f32 v43, v43, v98
	v_ldexp_f32 v51, v51, v100
	v_ldexp_f32 v50, v50, v102
	v_ldexp_f32 v42, v42, v99
	v_cndmask_b32_e64 v49, 0, v49, s[26:27]
	v_cndmask_b32_e32 v48, 0, v48, vcc
	v_cndmask_b32_e64 v47, 0, v47, s[0:1]
	v_cndmask_b32_e64 v46, 0, v46, s[34:35]
	;; [unrolled: 1-line block ×18, first 2 shown]
	v_cvt_f16_f32_e32 v52, v44
	v_cvt_f16_f32_e32 v53, v42
	;; [unrolled: 1-line block ×8, first 2 shown]
	v_pk_add_f32 v[42:43], v[44:45], v[42:43]
	v_pk_add_f32 v[42:43], v[46:47], v[42:43]
	v_cvt_f16_f32_e32 v244, v50
	v_cvt_f16_f32_e32 v245, v51
	v_pk_add_f32 v[42:43], v[48:49], v[42:43]
	v_pack_b32_f16 v44, v55, v54
	v_pk_fma_f32 v[20:21], v[20:21], v[50:51], v[42:43]
	v_pack_b32_f16 v42, v96, v97
	v_pack_b32_f16 v43, v52, v98
	;; [unrolled: 1-line block ×3, first 2 shown]
	ds_write2_b32 v79, v44, v42 offset0:64 offset1:96
	ds_write2_b32 v79, v43, v45 offset1:32
	ds_write_b128 v72, v[0:3]
	ds_write_b128 v73, v[4:7]
	;; [unrolled: 1-line block ×4, first 2 shown]
	s_waitcnt lgkmcnt(0)
	s_barrier
	ds_read2_b32 v[54:55], v64 offset1:32
	ds_read2_b32 v[156:157], v64 offset0:64 offset1:96
	ds_read2_b32 v[158:159], v64 offset0:128 offset1:160
	ds_read_b128 v[0:3], v71
	ds_read_b128 v[4:7], v71 offset:16
	ds_read2_b32 v[160:161], v64 offset0:192 offset1:224
	ds_read2_b32 v[162:163], v80 offset1:32
	ds_read2_b32 v[164:165], v80 offset0:64 offset1:96
	ds_read2_b32 v[166:167], v80 offset0:128 offset1:160
	ds_read_b128 v[8:11], v71 offset:32
	ds_read_b128 v[12:15], v71 offset:48
	ds_read2_b32 v[168:169], v80 offset0:192 offset1:224
	ds_read2_b32 v[170:171], v81 offset1:32
	ds_read2_b32 v[172:173], v81 offset0:64 offset1:96
	ds_read2_b32 v[174:175], v81 offset0:128 offset1:160
	ds_read_b128 v[42:45], v71 offset:64
	;; [unrolled: 6-line block ×10, first 2 shown]
	ds_read_b128 v[152:155], v71 offset:336
	ds_read2_b32 v[240:241], v90 offset0:192 offset1:224
	ds_read2_b32 v[242:243], v91 offset1:32
	s_waitcnt lgkmcnt(14)
	v_pk_mul_f16 v246, v54, v0 op_sel_hi:[1,0]
	v_pk_mul_f16 v0, v54, v0 op_sel:[0,1]
	v_pk_fma_f16 v88, v244, v88, v246 op_sel_hi:[0,1,1]
	v_pk_fma_f16 v0, v58, v245, v0 op_sel_hi:[1,0,1]
	;; [unrolled: 1-line block ×3, first 2 shown]
	v_pk_fma_f16 v0, v55, v1, v0 op_sel:[0,1,0]
	v_pk_fma_f16 v1, v156, v2, v58 op_sel_hi:[1,0,1]
	v_pk_fma_f16 v0, v156, v2, v0 op_sel:[0,1,0]
	v_pk_fma_f16 v58, v157, v3, v1 op_sel_hi:[1,0,1]
	;; [unrolled: 2-line block ×68, first 2 shown]
	v_pk_fma_f16 v88, v223, v137, v88 op_sel:[0,1,0]
	s_waitcnt lgkmcnt(13)
	v_pk_fma_f16 v58, v224, v138, v58 op_sel_hi:[1,0,1]
	v_pk_fma_f16 v88, v224, v138, v88 op_sel:[0,1,0]
	v_pk_fma_f16 v58, v225, v139, v58 op_sel_hi:[1,0,1]
	v_pk_fma_f16 v88, v225, v139, v88 op_sel:[0,1,0]
	s_waitcnt lgkmcnt(9)
	v_pk_fma_f16 v58, v226, v140, v58 op_sel_hi:[1,0,1]
	v_pk_fma_f16 v88, v226, v140, v88 op_sel:[0,1,0]
	v_pk_fma_f16 v58, v227, v141, v58 op_sel_hi:[1,0,1]
	v_pk_fma_f16 v88, v227, v141, v88 op_sel:[0,1,0]
	;; [unrolled: 2-line block ×4, first 2 shown]
	s_waitcnt lgkmcnt(8)
	v_pk_fma_f16 v58, v230, v144, v58 op_sel_hi:[1,0,1]
	v_pk_fma_f16 v88, v230, v144, v88 op_sel:[0,1,0]
	v_pk_fma_f16 v58, v231, v145, v58 op_sel_hi:[1,0,1]
	v_pk_fma_f16 v88, v231, v145, v88 op_sel:[0,1,0]
	s_waitcnt lgkmcnt(7)
	v_pk_fma_f16 v58, v232, v146, v58 op_sel_hi:[1,0,1]
	v_pk_fma_f16 v88, v232, v146, v88 op_sel:[0,1,0]
	v_pk_fma_f16 v58, v233, v147, v58 op_sel_hi:[1,0,1]
	v_pk_fma_f16 v88, v233, v147, v88 op_sel:[0,1,0]
	;; [unrolled: 5-line block ×3, first 2 shown]
	v_pk_fma_f16 v58, v236, v150, v58 op_sel_hi:[1,0,1]
	v_pk_fma_f16 v88, v236, v150, v88 op_sel:[0,1,0]
	ds_read_b128 v[0:3], v71 offset:352
	ds_read_b128 v[156:159], v71 offset:368
	v_pk_fma_f16 v58, v237, v151, v58 op_sel_hi:[1,0,1]
	v_pk_fma_f16 v88, v237, v151, v88 op_sel:[0,1,0]
	s_waitcnt lgkmcnt(4)
	v_pk_fma_f16 v58, v238, v152, v58 op_sel_hi:[1,0,1]
	v_pk_fma_f16 v88, v238, v152, v88 op_sel:[0,1,0]
	ds_read2_b32 v[244:245], v91 offset0:64 offset1:96
	v_pk_fma_f16 v58, v239, v153, v58 op_sel_hi:[1,0,1]
	v_pk_fma_f16 v88, v239, v153, v88 op_sel:[0,1,0]
	s_waitcnt lgkmcnt(4)
	v_pk_fma_f16 v58, v240, v154, v58 op_sel_hi:[1,0,1]
	v_pk_fma_f16 v88, v240, v154, v88 op_sel:[0,1,0]
	ds_read2_b32 v[54:55], v91 offset0:128 offset1:160
	v_pk_fma_f16 v58, v241, v155, v58 op_sel_hi:[1,0,1]
	v_pk_fma_f16 v88, v241, v155, v88 op_sel:[0,1,0]
	s_waitcnt lgkmcnt(3)
	v_pk_fma_f16 v58, v242, v0, v58 op_sel_hi:[1,0,1]
	v_pk_fma_f16 v0, v242, v0, v88 op_sel:[0,1,0]
	v_pk_fma_f16 v58, v243, v1, v58 op_sel_hi:[1,0,1]
	v_pk_fma_f16 v0, v243, v1, v0 op_sel:[0,1,0]
	s_waitcnt lgkmcnt(1)
	v_pk_fma_f16 v1, v244, v2, v58 op_sel_hi:[1,0,1]
	v_pk_fma_f16 v0, v244, v2, v0 op_sel:[0,1,0]
	ds_read2_b32 v[160:161], v91 offset0:192 offset1:224
	ds_read2_b32 v[246:247], v92 offset1:32
	ds_read2_b32 v[248:249], v92 offset0:64 offset1:96
	ds_read_b128 v[4:7], v71 offset:384
	ds_read_b128 v[8:11], v71 offset:400
	v_pk_fma_f16 v1, v245, v3, v1 op_sel_hi:[1,0,1]
	v_pk_fma_f16 v0, v245, v3, v0 op_sel:[0,1,0]
	s_waitcnt lgkmcnt(5)
	v_pk_fma_f16 v1, v54, v156, v1 op_sel_hi:[1,0,1]
	v_pk_fma_f16 v0, v54, v156, v0 op_sel:[0,1,0]
	v_pk_fma_f16 v1, v55, v157, v1 op_sel_hi:[1,0,1]
	v_pk_fma_f16 v0, v55, v157, v0 op_sel:[0,1,0]
	s_waitcnt lgkmcnt(4)
	v_pk_fma_f16 v1, v160, v158, v1 op_sel_hi:[1,0,1]
	v_pk_fma_f16 v0, v160, v158, v0 op_sel:[0,1,0]
	ds_read2_b32 v[162:163], v92 offset0:128 offset1:160
	v_pk_fma_f16 v1, v161, v159, v1 op_sel_hi:[1,0,1]
	v_pk_fma_f16 v0, v161, v159, v0 op_sel:[0,1,0]
	s_waitcnt lgkmcnt(2)
	v_pk_fma_f16 v1, v246, v4, v1 op_sel_hi:[1,0,1]
	v_pk_fma_f16 v0, v246, v4, v0 op_sel:[0,1,0]
	v_pk_fma_f16 v1, v247, v5, v1 op_sel_hi:[1,0,1]
	v_pk_fma_f16 v0, v247, v5, v0 op_sel:[0,1,0]
	v_pk_fma_f16 v1, v248, v6, v1 op_sel_hi:[1,0,1]
	v_pk_fma_f16 v0, v248, v6, v0 op_sel:[0,1,0]
	ds_read2_b32 v[164:165], v92 offset0:192 offset1:224
	ds_read2_b32 v[166:167], v93 offset1:32
	ds_read2_b32 v[168:169], v93 offset0:64 offset1:96
	ds_read_b128 v[12:15], v71 offset:416
	ds_read_b128 v[42:45], v71 offset:432
	v_pk_fma_f16 v1, v249, v7, v1 op_sel_hi:[1,0,1]
	v_pk_fma_f16 v0, v249, v7, v0 op_sel:[0,1,0]
	s_waitcnt lgkmcnt(5)
	v_pk_fma_f16 v1, v162, v8, v1 op_sel_hi:[1,0,1]
	v_pk_fma_f16 v0, v162, v8, v0 op_sel:[0,1,0]
	v_pk_fma_f16 v1, v163, v9, v1 op_sel_hi:[1,0,1]
	v_pk_fma_f16 v0, v163, v9, v0 op_sel:[0,1,0]
	s_waitcnt lgkmcnt(4)
	v_pk_fma_f16 v1, v164, v10, v1 op_sel_hi:[1,0,1]
	v_pk_fma_f16 v0, v164, v10, v0 op_sel:[0,1,0]
	ds_read2_b32 v[170:171], v93 offset0:128 offset1:160
	v_pk_fma_f16 v1, v165, v11, v1 op_sel_hi:[1,0,1]
	v_pk_fma_f16 v0, v165, v11, v0 op_sel:[0,1,0]
	s_waitcnt lgkmcnt(2)
	v_pk_fma_f16 v1, v166, v12, v1 op_sel_hi:[1,0,1]
	v_pk_fma_f16 v0, v166, v12, v0 op_sel:[0,1,0]
	v_pk_fma_f16 v1, v167, v13, v1 op_sel_hi:[1,0,1]
	v_pk_fma_f16 v0, v167, v13, v0 op_sel:[0,1,0]
	;; [unrolled: 25-line block ×3, first 2 shown]
	v_pk_fma_f16 v1, v176, v48, v1 op_sel_hi:[1,0,1]
	v_pk_fma_f16 v0, v176, v48, v0 op_sel:[0,1,0]
	ds_read2_b32 v[180:181], v94 offset0:192 offset1:224
	ds_read2_b32 v[182:183], v95 offset1:32
	ds_read2_b32 v[184:185], v95 offset0:64 offset1:96
	ds_read_b128 v[96:99], v71 offset:480
	ds_read_b128 v[100:103], v71 offset:496
	v_pk_fma_f16 v1, v177, v49, v1 op_sel_hi:[1,0,1]
	v_pk_fma_f16 v0, v177, v49, v0 op_sel:[0,1,0]
	s_waitcnt lgkmcnt(5)
	v_pk_fma_f16 v1, v178, v50, v1 op_sel_hi:[1,0,1]
	v_pk_fma_f16 v0, v178, v50, v0 op_sel:[0,1,0]
	v_pk_fma_f16 v1, v179, v51, v1 op_sel_hi:[1,0,1]
	v_pk_fma_f16 v0, v179, v51, v0 op_sel:[0,1,0]
	s_waitcnt lgkmcnt(4)
	v_pk_fma_f16 v1, v180, v52, v1 op_sel_hi:[1,0,1]
	v_pk_fma_f16 v0, v180, v52, v0 op_sel:[0,1,0]
	ds_read2_b32 v[186:187], v95 offset0:128 offset1:160
	v_pk_fma_f16 v1, v181, v53, v1 op_sel_hi:[1,0,1]
	v_pk_fma_f16 v0, v181, v53, v0 op_sel:[0,1,0]
	ds_read2_b32 v[104:105], v95 offset0:192 offset1:224
	s_waitcnt lgkmcnt(0)
	s_barrier
	s_load_dword s0, s[46:47], 0x4
	v_pk_fma_f16 v1, v182, v96, v1 op_sel_hi:[1,0,1]
	v_pk_fma_f16 v0, v182, v96, v0 op_sel:[0,1,0]
	v_pk_fma_f16 v1, v183, v97, v1 op_sel_hi:[1,0,1]
	v_pk_fma_f16 v0, v183, v97, v0 op_sel:[0,1,0]
	;; [unrolled: 2-line block ×5, first 2 shown]
	s_waitcnt lgkmcnt(0)
	s_lshl_b32 s0, s0, 7
	v_pk_fma_f16 v1, v187, v101, v1 op_sel_hi:[1,0,1]
	v_pk_fma_f16 v0, v187, v101, v0 op_sel:[0,1,0]
	s_add_i32 s52, s0, s52
	v_pk_fma_f16 v1, v104, v102, v1 op_sel_hi:[1,0,1]
	v_pk_fma_f16 v0, v104, v102, v0 op_sel:[0,1,0]
	v_mov_b32_e32 v38, v40
	v_mov_b32_e32 v39, v41
	s_cmp_ge_i32 s52, s56
	v_pk_fma_f16 v88, v105, v103, v1 op_sel_hi:[1,0,1]
	v_pk_fma_f16 v58, v105, v103, v0 op_sel:[0,1,0]
	s_cbranch_scc0 .LBB24_9
.LBB24_10:
	v_cmp_lt_i32_e32 vcc, v63, v57
	v_cndmask_b32_e32 v0, v19, v63, vcc
	v_lshlrev_b32_e32 v1, 2, v0
	ds_bpermute_b32 v0, v1, v20
	ds_bpermute_b32 v1, v1, v21
	v_cmp_lt_i32_e32 vcc, v62, v57
	v_cndmask_b32_e32 v2, v19, v62, vcc
	v_lshlrev_b32_e32 v3, 2, v2
	v_cmp_lt_i32_e32 vcc, v61, v57
	s_waitcnt lgkmcnt(0)
	v_pk_add_f32 v[0:1], v[20:21], v[0:1]
	ds_bpermute_b32 v2, v3, v0
	ds_bpermute_b32 v3, v3, v1
	v_cndmask_b32_e32 v4, v19, v61, vcc
	v_lshlrev_b32_e32 v4, 2, v4
	v_cmp_lt_i32_e32 vcc, v60, v57
	s_cmp_lg_u64 s[44:45], 0
	s_waitcnt lgkmcnt(0)
	v_pk_add_f32 v[0:1], v[0:1], v[2:3]
	ds_bpermute_b32 v2, v4, v0
	ds_bpermute_b32 v3, v4, v1
	v_cndmask_b32_e32 v4, v19, v60, vcc
	v_lshlrev_b32_e32 v4, 2, v4
	v_cmp_lt_i32_e32 vcc, v59, v57
	s_cselect_b64 s[0:1], -1, 0
	s_waitcnt lgkmcnt(0)
	v_pk_add_f32 v[0:1], v[0:1], v[2:3]
	ds_bpermute_b32 v2, v4, v0
	ds_bpermute_b32 v3, v4, v1
	v_cndmask_b32_e32 v4, v19, v59, vcc
	v_lshlrev_b32_e32 v4, 2, v4
	s_cmp_eq_u32 s7, 0
	s_cselect_b64 s[2:3], -1, 0
	s_waitcnt lgkmcnt(0)
	v_pk_add_f32 v[0:1], v[0:1], v[2:3]
	ds_bpermute_b32 v2, v4, v0
	ds_bpermute_b32 v3, v4, v1
	s_and_b64 s[0:1], s[2:3], s[0:1]
	v_lshlrev_b32_e32 v5, 1, v16
	s_and_b64 vcc, exec, s[0:1]
	s_waitcnt lgkmcnt(0)
	v_pk_add_f32 v[0:1], v[0:1], v[2:3]
	s_cbranch_vccz .LBB24_12
; %bb.11:
	v_add_u32_e32 v2, s57, v56
	v_ashrrev_i32_e32 v3, 31, v2
	v_lshlrev_b64 v[2:3], 2, v[2:3]
	v_mov_b32_e32 v4, s45
	v_add_co_u32_e32 v2, vcc, s44, v2
	v_addc_co_u32_e32 v3, vcc, v4, v3, vcc
	global_load_dwordx2 v[2:3], v[2:3], off
	v_max_f32_e32 v4, v41, v41
	v_max_f32_e32 v6, v40, v40
	s_mov_b32 s0, 0x3fb8aa3b
	s_mov_b32 s1, 0xc2ce8ed0
	;; [unrolled: 1-line block ×3, first 2 shown]
	v_mov_b32_e32 v10, 0x7f800000
	s_waitcnt vmcnt(0)
	v_max_f32_e32 v7, v3, v3
	v_max_f32_e32 v8, v2, v2
	;; [unrolled: 1-line block ×4, first 2 shown]
	v_pk_add_f32 v[8:9], v[40:41], v[6:7] neg_lo:[0,1] neg_hi:[0,1]
	v_mul_f32_e32 v4, 0x3fb8aa3b, v9
	v_pk_add_f32 v[2:3], v[2:3], v[6:7] neg_lo:[0,1] neg_hi:[0,1]
	v_mul_f32_e32 v11, 0x3fb8aa3b, v8
	v_fma_f32 v14, v9, s0, -v4
	v_rndne_f32_e32 v15, v4
	v_mul_f32_e32 v12, 0x3fb8aa3b, v3
	v_fma_f32 v18, v8, s0, -v11
	v_rndne_f32_e32 v19, v11
	v_fmac_f32_e32 v14, 0x32a5705f, v9
	v_sub_f32_e32 v4, v4, v15
	v_mul_f32_e32 v13, 0x3fb8aa3b, v2
	v_fma_f32 v20, v3, s0, -v12
	v_rndne_f32_e32 v21, v12
	v_fmac_f32_e32 v18, 0x32a5705f, v8
	v_sub_f32_e32 v11, v11, v19
	v_add_f32_e32 v4, v4, v14
	v_fma_f32 v22, v2, s0, -v13
	v_rndne_f32_e32 v23, v13
	v_cvt_i32_f32_e32 v15, v15
	v_fmac_f32_e32 v20, 0x32a5705f, v3
	v_sub_f32_e32 v12, v12, v21
	v_add_f32_e32 v11, v11, v18
	v_exp_f32_e32 v4, v4
	v_cvt_i32_f32_e32 v19, v19
	v_fmac_f32_e32 v22, 0x32a5705f, v2
	v_sub_f32_e32 v13, v13, v23
	v_add_f32_e32 v12, v12, v20
	v_exp_f32_e32 v11, v11
	v_cvt_i32_f32_e32 v21, v21
	v_add_f32_e32 v13, v13, v22
	v_exp_f32_e32 v12, v12
	v_cvt_i32_f32_e32 v23, v23
	v_exp_f32_e32 v13, v13
	v_ldexp_f32 v4, v4, v15
	v_cmp_ngt_f32_e32 vcc, s1, v9
	v_ldexp_f32 v11, v11, v19
	v_cndmask_b32_e32 v4, 0, v4, vcc
	v_cmp_ngt_f32_e32 vcc, s1, v8
	v_ldexp_f32 v12, v12, v21
	v_cndmask_b32_e32 v11, 0, v11, vcc
	;; [unrolled: 3-line block ×3, first 2 shown]
	v_cmp_ngt_f32_e32 vcc, s1, v2
	v_cndmask_b32_e32 v13, 0, v13, vcc
	v_cmp_nlt_f32_e32 vcc, s2, v9
	v_cndmask_b32_e32 v9, v10, v4, vcc
	v_cmp_nlt_f32_e32 vcc, s2, v8
	v_cndmask_b32_e32 v8, v10, v11, vcc
	v_cvt_f16_f32_e32 v4, v8
	v_cvt_f16_f32_e32 v11, v9
	v_cmp_nlt_f32_e32 vcc, s2, v3
	v_cndmask_b32_e32 v3, v10, v12, vcc
	v_cmp_nlt_f32_e32 vcc, s2, v2
	v_cndmask_b32_e32 v2, v10, v13, vcc
	v_pk_fma_f32 v[0:1], v[0:1], v[8:9], v[2:3]
	v_pk_mul_f16 v88, v88, v4 op_sel_hi:[1,0]
	v_pk_mul_f16 v58, v58, v11 op_sel_hi:[1,0]
	v_pk_mov_b32 v[40:41], v[6:7], v[6:7] op_sel:[0,1]
.LBB24_12:
	v_cmp_gt_i32_e32 vcc, s54, v17
	s_and_saveexec_b64 s[0:1], vcc
	s_cbranch_execz .LBB24_21
; %bb.13:
	s_load_dword s6, s[4:5], 0xd4
	v_mov_b32_e32 v4, 1.0
	s_waitcnt lgkmcnt(0)
	s_cmp_lg_u32 s6, 1
	s_cselect_b64 s[0:1], -1, 0
	s_cmp_eq_u32 s6, 1
	s_cselect_b64 s[2:3], -1, 0
	s_and_b64 vcc, exec, s[0:1]
	s_cbranch_vccnz .LBB24_15
; %bb.14:
	v_div_scale_f32 v2, s[4:5], v0, v0, 1.0
	v_rcp_f32_e32 v3, v2
	v_div_scale_f32 v4, vcc, 1.0, v0, 1.0
	v_fma_f32 v6, -v2, v3, 1.0
	v_fmac_f32_e32 v3, v6, v3
	v_mul_f32_e32 v6, v4, v3
	v_fma_f32 v7, -v2, v6, v4
	v_fmac_f32_e32 v6, v7, v3
	v_fma_f32 v2, -v2, v6, v4
	v_div_fmas_f32 v2, v2, v3, v6
	v_div_fixup_f32 v4, v2, v0, 1.0
.LBB24_15:
	s_mul_i32 s33, s33, s54
	v_add_u32_e32 v2, s33, v17
	v_mul_lo_u32 v2, v2, s55
	v_add3_u32 v2, s57, v56, v2
	v_mul_lo_u32 v2, s6, v2
	v_add_u32_e32 v2, s7, v2
	v_cvt_f32_f16_sdwa v9, v88 dst_sel:DWORD dst_unused:UNUSED_PAD src0_sel:WORD_1
	v_cvt_f32_f16_e32 v8, v88
	v_lshl_add_u32 v6, v2, 6, v5
	v_mov_b32_e32 v7, 0
	v_cmp_eq_u32_e32 vcc, 0, v16
	v_lshlrev_b64 v[6:7], 2, v[6:7]
	s_and_b64 s[0:1], vcc, s[0:1]
	v_mov_b32_e32 v3, s49
	v_add_co_u32_e32 v6, vcc, s48, v6
	v_addc_co_u32_e32 v7, vcc, v3, v7, vcc
	v_pk_mul_f32 v[8:9], v[4:5], v[8:9] op_sel_hi:[0,1]
	global_store_dwordx2 v[6:7], v[8:9], off
	s_and_saveexec_b64 s[4:5], s[0:1]
	s_cbranch_execz .LBB24_17
; %bb.16:
	v_ashrrev_i32_e32 v3, 31, v2
	v_lshlrev_b64 v[6:7], 3, v[2:3]
	v_mov_b32_e32 v3, s51
	v_add_co_u32_e32 v6, vcc, s50, v6
	v_addc_co_u32_e32 v7, vcc, v3, v7, vcc
	v_mov_b32_e32 v8, v40
	v_mov_b32_e32 v9, v0
	global_store_dwordx2 v[6:7], v[8:9], off
.LBB24_17:
	s_or_b64 exec, exec, s[4:5]
	s_andn2_b64 vcc, exec, s[2:3]
	v_mov_b32_e32 v0, 1.0
	s_cbranch_vccnz .LBB24_19
; %bb.18:
	v_div_scale_f32 v0, s[2:3], v1, v1, 1.0
	v_rcp_f32_e32 v3, v0
	v_div_scale_f32 v4, vcc, 1.0, v1, 1.0
	v_fma_f32 v6, -v0, v3, 1.0
	v_fmac_f32_e32 v3, v6, v3
	v_mul_f32_e32 v6, v4, v3
	v_fma_f32 v7, -v0, v6, v4
	v_fmac_f32_e32 v6, v7, v3
	v_fma_f32 v0, -v0, v6, v4
	v_div_fmas_f32 v0, v0, v3, v6
	v_div_fixup_f32 v0, v0, v1, 1.0
.LBB24_19:
	v_add_u32_e32 v2, s6, v2
	v_cvt_f32_f16_sdwa v7, v58 dst_sel:DWORD dst_unused:UNUSED_PAD src0_sel:WORD_1
	v_cvt_f32_f16_e32 v6, v58
	v_lshl_add_u32 v4, v2, 6, v5
	v_mov_b32_e32 v5, 0
	v_lshlrev_b64 v[4:5], 2, v[4:5]
	v_mov_b32_e32 v3, s49
	v_add_co_u32_e32 v4, vcc, s48, v4
	v_addc_co_u32_e32 v5, vcc, v3, v5, vcc
	v_pk_mul_f32 v[6:7], v[0:1], v[6:7] op_sel_hi:[0,1]
	global_store_dwordx2 v[4:5], v[6:7], off
	s_and_b64 exec, exec, s[0:1]
	s_cbranch_execz .LBB24_21
; %bb.20:
	v_ashrrev_i32_e32 v3, 31, v2
	v_lshlrev_b64 v[2:3], 3, v[2:3]
	v_mov_b32_e32 v0, s51
	v_add_co_u32_e32 v2, vcc, s50, v2
	v_addc_co_u32_e32 v3, vcc, v0, v3, vcc
	v_mov_b32_e32 v0, v41
	global_store_dwordx2 v[2:3], v[0:1], off
.LBB24_21:
	s_endpgm
	.section	.rodata,"a",@progbits
	.p2align	6, 0x0
	.amdhsa_kernel _ZL15flash_attn_tileILi64ELi64ELi4ELi4ELb0EEvPKcS1_S1_S1_S1_PKiPfP15HIP_vector_typeIfLj2EEffffjfiS5_IjLj3EEiiiiiiiiiiiliiliiiiil
		.amdhsa_group_segment_fixed_size 24576
		.amdhsa_private_segment_fixed_size 0
		.amdhsa_kernarg_size 464
		.amdhsa_user_sgpr_count 6
		.amdhsa_user_sgpr_private_segment_buffer 1
		.amdhsa_user_sgpr_dispatch_ptr 0
		.amdhsa_user_sgpr_queue_ptr 0
		.amdhsa_user_sgpr_kernarg_segment_ptr 1
		.amdhsa_user_sgpr_dispatch_id 0
		.amdhsa_user_sgpr_flat_scratch_init 0
		.amdhsa_user_sgpr_kernarg_preload_length 0
		.amdhsa_user_sgpr_kernarg_preload_offset 0
		.amdhsa_user_sgpr_private_segment_size 0
		.amdhsa_uses_dynamic_stack 0
		.amdhsa_system_sgpr_private_segment_wavefront_offset 0
		.amdhsa_system_sgpr_workgroup_id_x 1
		.amdhsa_system_sgpr_workgroup_id_y 1
		.amdhsa_system_sgpr_workgroup_id_z 1
		.amdhsa_system_sgpr_workgroup_info 0
		.amdhsa_system_vgpr_workitem_id 1
		.amdhsa_next_free_vgpr 250
		.amdhsa_next_free_sgpr 67
		.amdhsa_accum_offset 252
		.amdhsa_reserve_vcc 1
		.amdhsa_reserve_flat_scratch 0
		.amdhsa_float_round_mode_32 0
		.amdhsa_float_round_mode_16_64 0
		.amdhsa_float_denorm_mode_32 3
		.amdhsa_float_denorm_mode_16_64 3
		.amdhsa_dx10_clamp 1
		.amdhsa_ieee_mode 1
		.amdhsa_fp16_overflow 0
		.amdhsa_tg_split 0
		.amdhsa_exception_fp_ieee_invalid_op 0
		.amdhsa_exception_fp_denorm_src 0
		.amdhsa_exception_fp_ieee_div_zero 0
		.amdhsa_exception_fp_ieee_overflow 0
		.amdhsa_exception_fp_ieee_underflow 0
		.amdhsa_exception_fp_ieee_inexact 0
		.amdhsa_exception_int_div_zero 0
	.end_amdhsa_kernel
	.section	.text._ZL15flash_attn_tileILi64ELi64ELi4ELi4ELb0EEvPKcS1_S1_S1_S1_PKiPfP15HIP_vector_typeIfLj2EEffffjfiS5_IjLj3EEiiiiiiiiiiiliiliiiiil,"axG",@progbits,_ZL15flash_attn_tileILi64ELi64ELi4ELi4ELb0EEvPKcS1_S1_S1_S1_PKiPfP15HIP_vector_typeIfLj2EEffffjfiS5_IjLj3EEiiiiiiiiiiiliiliiiiil,comdat
.Lfunc_end24:
	.size	_ZL15flash_attn_tileILi64ELi64ELi4ELi4ELb0EEvPKcS1_S1_S1_S1_PKiPfP15HIP_vector_typeIfLj2EEffffjfiS5_IjLj3EEiiiiiiiiiiiliiliiiiil, .Lfunc_end24-_ZL15flash_attn_tileILi64ELi64ELi4ELi4ELb0EEvPKcS1_S1_S1_S1_PKiPfP15HIP_vector_typeIfLj2EEffffjfiS5_IjLj3EEiiiiiiiiiiiliiliiiiil
                                        ; -- End function
	.section	.AMDGPU.csdata,"",@progbits
; Kernel info:
; codeLenInByte = 10360
; NumSgprs: 71
; NumVgprs: 250
; NumAgprs: 0
; TotalNumVgprs: 250
; ScratchSize: 0
; MemoryBound: 0
; FloatMode: 240
; IeeeMode: 1
; LDSByteSize: 24576 bytes/workgroup (compile time only)
; SGPRBlocks: 8
; VGPRBlocks: 31
; NumSGPRsForWavesPerEU: 71
; NumVGPRsForWavesPerEU: 250
; AccumOffset: 252
; Occupancy: 2
; WaveLimiterHint : 1
; COMPUTE_PGM_RSRC2:SCRATCH_EN: 0
; COMPUTE_PGM_RSRC2:USER_SGPR: 6
; COMPUTE_PGM_RSRC2:TRAP_HANDLER: 0
; COMPUTE_PGM_RSRC2:TGID_X_EN: 1
; COMPUTE_PGM_RSRC2:TGID_Y_EN: 1
; COMPUTE_PGM_RSRC2:TGID_Z_EN: 1
; COMPUTE_PGM_RSRC2:TIDIG_COMP_CNT: 1
; COMPUTE_PGM_RSRC3_GFX90A:ACCUM_OFFSET: 62
; COMPUTE_PGM_RSRC3_GFX90A:TG_SPLIT: 0
	.section	.text._ZL33flash_attn_stream_k_fixup_uniformILi64ELi4ELi4EEvPfPK15HIP_vector_typeIfLj2EEiiiiiiS1_IjLj3EES5_S5_,"axG",@progbits,_ZL33flash_attn_stream_k_fixup_uniformILi64ELi4ELi4EEvPfPK15HIP_vector_typeIfLj2EEiiiiiiS1_IjLj3EES5_S5_,comdat
	.globl	_ZL33flash_attn_stream_k_fixup_uniformILi64ELi4ELi4EEvPfPK15HIP_vector_typeIfLj2EEiiiiiiS1_IjLj3EES5_S5_ ; -- Begin function _ZL33flash_attn_stream_k_fixup_uniformILi64ELi4ELi4EEvPfPK15HIP_vector_typeIfLj2EEiiiiiiS1_IjLj3EES5_S5_
	.p2align	8
	.type	_ZL33flash_attn_stream_k_fixup_uniformILi64ELi4ELi4EEvPfPK15HIP_vector_typeIfLj2EEiiiiiiS1_IjLj3EES5_S5_,@function
_ZL33flash_attn_stream_k_fixup_uniformILi64ELi4ELi4EEvPfPK15HIP_vector_typeIfLj2EEiiiiiiS1_IjLj3EES5_S5_: ; @_ZL33flash_attn_stream_k_fixup_uniformILi64ELi4ELi4EEvPfPK15HIP_vector_typeIfLj2EEiiiiiiS1_IjLj3EES5_S5_
; %bb.0:
	s_load_dwordx8 s[12:19], s[4:5], 0x1c
	s_load_dwordx2 s[10:11], s[4:5], 0x10
	s_load_dwordx4 s[0:3], s[4:5], 0x3c
	s_waitcnt lgkmcnt(0)
	s_mul_hi_u32 s9, s15, s6
	s_add_i32 s9, s6, s9
	s_lshr_b32 s9, s9, s16
	s_mul_i32 s15, s9, s17
	s_sub_i32 s15, s6, s15
	s_mul_hi_u32 s16, s15, s18
	s_add_i32 s16, s15, s16
	s_lshr_b32 s16, s16, s19
	s_mul_i32 s0, s16, s0
	s_sub_i32 s0, s15, s0
	;; [unrolled: 5-line block ×3, first 2 shown]
	s_lshl_b32 s0, s17, 2
	s_lshl_b32 s15, s1, 2
	s_add_i32 s0, s0, s7
	s_cmp_lt_i32 s0, s10
	s_cselect_b64 s[0:1], -1, 0
	s_add_i32 s2, s15, s8
	s_cmp_lt_i32 s2, s13
	s_cselect_b64 s[2:3], -1, 0
	s_and_b64 s[0:1], s[0:1], s[2:3]
	s_andn2_b64 vcc, exec, s[0:1]
	s_cbranch_vccnz .LBB25_6
; %bb.1:
	s_load_dwordx4 s[0:3], s[4:5], 0x0
	s_mul_i32 s4, s9, s10
	s_add_i32 s4, s4, s7
	s_mul_i32 s4, s4, s11
	s_mul_i32 s16, s16, s13
	s_add_i32 s4, s4, s8
	s_add_i32 s4, s4, s16
	s_mul_i32 s5, s11, s17
	s_add_i32 s4, s4, s15
	s_lshl_b32 s5, s5, 8
	s_lshl_b32 s4, s4, 6
	s_add_i32 s5, s5, s4
	v_or_b32_e32 v2, s5, v0
	v_ashrrev_i32_e32 v3, 31, v2
	v_lshlrev_b64 v[2:3], 2, v[2:3]
	s_waitcnt lgkmcnt(0)
	v_mov_b32_e32 v1, s1
	v_add_co_u32_e32 v2, vcc, s0, v2
	v_addc_co_u32_e32 v3, vcc, v1, v3, vcc
	global_load_dword v8, v[2:3], off
	s_mul_i32 s9, s6, s14
	s_lshl_b32 s4, s7, 2
	s_add_i32 s11, s9, s14
	s_add_i32 s0, s4, s8
	s_lshl_b32 s1, s11, 4
	s_add_i32 s0, s0, s1
	s_add_i32 s0, s0, -16
	s_ashr_i32 s1, s0, 31
	s_lshl_b64 s[0:1], s[0:1], 3
	s_add_u32 s0, s2, s0
	s_addc_u32 s1, s3, s1
	s_load_dword s5, s[0:1], 0x4
	s_add_i32 s10, s11, -2
	s_cmp_lt_i32 s10, s9
	s_cbranch_scc1 .LBB25_4
; %bb.2:
	s_lshl_b32 s16, s12, 6
	s_ashr_i32 s17, s16, 31
	s_lshl_b64 s[16:17], s[16:17], 2
	s_add_u32 s10, s2, s16
	s_addc_u32 s13, s3, s17
	s_add_i32 s6, s6, 1
	s_load_dword s0, s[0:1], 0x0
	s_mul_i32 s1, s14, s6
	s_lshl_b32 s7, s7, 8
	s_lshl_b32 s14, s8, 6
	;; [unrolled: 1-line block ×3, first 2 shown]
	s_add_i32 s7, s14, s7
	s_lshl_b32 s1, s1, 4
	s_add_i32 s7, s7, s6
	s_add_i32 s1, s8, s1
	s_lshl_b32 s6, s12, 4
	s_add_i32 s1, s1, s6
	v_or_b32_e32 v0, s7, v0
	s_add_i32 s1, s1, s4
	s_add_i32 s11, s11, -1
	v_add_u32_e32 v0, 0xfffff800, v0
	s_sub_i32 s4, s1, 32
	s_waitcnt lgkmcnt(0)
	v_mov_b32_e32 v7, s5
	v_mov_b32_e32 v6, s0
	;; [unrolled: 1-line block ×3, first 2 shown]
	s_mov_b32 s6, 0x3fb8aa3b
	s_mov_b32 s7, 0xc2ce8ed0
	;; [unrolled: 1-line block ×3, first 2 shown]
	v_mov_b32_e32 v5, 0x7f800000
	s_mov_b32 s12, 0xc1a00000
.LBB25_3:                               ; =>This Inner Loop Header: Depth=1
	v_ashrrev_i32_e32 v1, 31, v0
	v_lshlrev_b64 v[10:11], 2, v[0:1]
	v_add_co_u32_e32 v10, vcc, s10, v10
	v_addc_co_u32_e32 v11, vcc, v4, v11, vcc
	global_load_dword v1, v[10:11], off
	s_ashr_i32 s5, s4, 31
	s_lshl_b64 s[0:1], s[4:5], 3
	s_add_u32 s0, s2, s0
	s_addc_u32 s1, s3, s1
	s_load_dwordx2 s[14:15], s[0:1], 0x0
	s_waitcnt vmcnt(1)
	v_mov_b32_e32 v9, v8
	v_max_f32_e32 v8, v6, v6
	v_mov_b32_e32 v10, v7
	s_add_i32 s11, s11, -1
	s_waitcnt lgkmcnt(0)
	v_max_f32_e64 v7, s14, s14
	v_max_f32_e32 v7, v8, v7
	v_sub_f32_e32 v11, s14, v7
	v_sub_f32_e32 v8, v6, v7
	v_mul_f32_e32 v12, 0x3fb8aa3b, v11
	v_mov_b32_e32 v6, v7
	v_mul_f32_e32 v7, 0x3fb8aa3b, v8
	v_fma_f32 v15, v11, s6, -v12
	v_rndne_f32_e32 v16, v12
	v_fma_f32 v13, v8, s6, -v7
	v_rndne_f32_e32 v14, v7
	v_fmac_f32_e32 v15, 0x32a5705f, v11
	v_sub_f32_e32 v12, v12, v16
	v_fmac_f32_e32 v13, 0x32a5705f, v8
	v_sub_f32_e32 v7, v7, v14
	v_add_f32_e32 v12, v12, v15
	v_cvt_i32_f32_e32 v16, v16
	v_add_f32_e32 v7, v7, v13
	v_exp_f32_e32 v12, v12
	v_cvt_i32_f32_e32 v14, v14
	v_exp_f32_e32 v7, v7
	v_cmp_ngt_f32_e32 vcc, s7, v11
	v_ldexp_f32 v12, v12, v16
	v_cmp_ngt_f32_e64 s[0:1], s7, v8
	v_ldexp_f32 v7, v7, v14
	v_cndmask_b32_e32 v12, 0, v12, vcc
	v_cmp_nlt_f32_e32 vcc, s8, v11
	v_cndmask_b32_e64 v7, 0, v7, s[0:1]
	v_cmp_nlt_f32_e64 s[0:1], s8, v8
	v_cndmask_b32_e32 v12, v5, v12, vcc
	v_cmp_le_f32_e32 vcc, s12, v11
	v_cndmask_b32_e64 v7, v5, v7, s[0:1]
	v_cmp_le_f32_e64 s[0:1], s12, v8
	v_cndmask_b32_e32 v8, 0, v12, vcc
	s_add_i32 s4, s4, -16
	v_cndmask_b32_e64 v11, 0, v7, s[0:1]
	v_mul_f32_e32 v7, s15, v8
	v_add_u32_e32 v0, 0xfffffc00, v0
	s_cmp_le_i32 s11, s9
	v_fmac_f32_e32 v7, v10, v11
	s_waitcnt vmcnt(0)
	v_mul_f32_e32 v8, v1, v8
	v_fmac_f32_e32 v8, v9, v11
	s_cbranch_scc0 .LBB25_3
	s_branch .LBB25_5
.LBB25_4:
	s_waitcnt lgkmcnt(0)
	v_mov_b32_e32 v7, s5
.LBB25_5:
	s_waitcnt vmcnt(0)
	v_div_scale_f32 v0, s[0:1], v7, v7, v8
	v_rcp_f32_e32 v1, v0
	v_div_scale_f32 v4, vcc, v8, v7, v8
	v_fma_f32 v5, -v0, v1, 1.0
	v_fmac_f32_e32 v1, v5, v1
	v_mul_f32_e32 v5, v4, v1
	v_fma_f32 v6, -v0, v5, v4
	v_fmac_f32_e32 v5, v6, v1
	v_fma_f32 v0, -v0, v5, v4
	v_div_fmas_f32 v0, v0, v1, v5
	v_div_fixup_f32 v0, v0, v7, v8
	global_store_dword v[2:3], v0, off
.LBB25_6:
	s_endpgm
	.section	.rodata,"a",@progbits
	.p2align	6, 0x0
	.amdhsa_kernel _ZL33flash_attn_stream_k_fixup_uniformILi64ELi4ELi4EEvPfPK15HIP_vector_typeIfLj2EEiiiiiiS1_IjLj3EES5_S5_
		.amdhsa_group_segment_fixed_size 0
		.amdhsa_private_segment_fixed_size 0
		.amdhsa_kernarg_size 76
		.amdhsa_user_sgpr_count 6
		.amdhsa_user_sgpr_private_segment_buffer 1
		.amdhsa_user_sgpr_dispatch_ptr 0
		.amdhsa_user_sgpr_queue_ptr 0
		.amdhsa_user_sgpr_kernarg_segment_ptr 1
		.amdhsa_user_sgpr_dispatch_id 0
		.amdhsa_user_sgpr_flat_scratch_init 0
		.amdhsa_user_sgpr_kernarg_preload_length 0
		.amdhsa_user_sgpr_kernarg_preload_offset 0
		.amdhsa_user_sgpr_private_segment_size 0
		.amdhsa_uses_dynamic_stack 0
		.amdhsa_system_sgpr_private_segment_wavefront_offset 0
		.amdhsa_system_sgpr_workgroup_id_x 1
		.amdhsa_system_sgpr_workgroup_id_y 1
		.amdhsa_system_sgpr_workgroup_id_z 1
		.amdhsa_system_sgpr_workgroup_info 0
		.amdhsa_system_vgpr_workitem_id 0
		.amdhsa_next_free_vgpr 17
		.amdhsa_next_free_sgpr 20
		.amdhsa_accum_offset 20
		.amdhsa_reserve_vcc 1
		.amdhsa_reserve_flat_scratch 0
		.amdhsa_float_round_mode_32 0
		.amdhsa_float_round_mode_16_64 0
		.amdhsa_float_denorm_mode_32 3
		.amdhsa_float_denorm_mode_16_64 3
		.amdhsa_dx10_clamp 1
		.amdhsa_ieee_mode 1
		.amdhsa_fp16_overflow 0
		.amdhsa_tg_split 0
		.amdhsa_exception_fp_ieee_invalid_op 0
		.amdhsa_exception_fp_denorm_src 0
		.amdhsa_exception_fp_ieee_div_zero 0
		.amdhsa_exception_fp_ieee_overflow 0
		.amdhsa_exception_fp_ieee_underflow 0
		.amdhsa_exception_fp_ieee_inexact 0
		.amdhsa_exception_int_div_zero 0
	.end_amdhsa_kernel
	.section	.text._ZL33flash_attn_stream_k_fixup_uniformILi64ELi4ELi4EEvPfPK15HIP_vector_typeIfLj2EEiiiiiiS1_IjLj3EES5_S5_,"axG",@progbits,_ZL33flash_attn_stream_k_fixup_uniformILi64ELi4ELi4EEvPfPK15HIP_vector_typeIfLj2EEiiiiiiS1_IjLj3EES5_S5_,comdat
.Lfunc_end25:
	.size	_ZL33flash_attn_stream_k_fixup_uniformILi64ELi4ELi4EEvPfPK15HIP_vector_typeIfLj2EEiiiiiiS1_IjLj3EES5_S5_, .Lfunc_end25-_ZL33flash_attn_stream_k_fixup_uniformILi64ELi4ELi4EEvPfPK15HIP_vector_typeIfLj2EEiiiiiiS1_IjLj3EES5_S5_
                                        ; -- End function
	.section	.AMDGPU.csdata,"",@progbits
; Kernel info:
; codeLenInByte = 856
; NumSgprs: 24
; NumVgprs: 17
; NumAgprs: 0
; TotalNumVgprs: 17
; ScratchSize: 0
; MemoryBound: 0
; FloatMode: 240
; IeeeMode: 1
; LDSByteSize: 0 bytes/workgroup (compile time only)
; SGPRBlocks: 2
; VGPRBlocks: 2
; NumSGPRsForWavesPerEU: 24
; NumVGPRsForWavesPerEU: 17
; AccumOffset: 20
; Occupancy: 8
; WaveLimiterHint : 0
; COMPUTE_PGM_RSRC2:SCRATCH_EN: 0
; COMPUTE_PGM_RSRC2:USER_SGPR: 6
; COMPUTE_PGM_RSRC2:TRAP_HANDLER: 0
; COMPUTE_PGM_RSRC2:TGID_X_EN: 1
; COMPUTE_PGM_RSRC2:TGID_Y_EN: 1
; COMPUTE_PGM_RSRC2:TGID_Z_EN: 1
; COMPUTE_PGM_RSRC2:TIDIG_COMP_CNT: 0
; COMPUTE_PGM_RSRC3_GFX90A:ACCUM_OFFSET: 4
; COMPUTE_PGM_RSRC3_GFX90A:TG_SPLIT: 0
	.section	.text._ZL33flash_attn_stream_k_fixup_generalILi64ELi4ELi4EEvPfPK15HIP_vector_typeIfLj2EEiiiiS1_IjLj3EES5_S5_S5_,"axG",@progbits,_ZL33flash_attn_stream_k_fixup_generalILi64ELi4ELi4EEvPfPK15HIP_vector_typeIfLj2EEiiiiS1_IjLj3EES5_S5_S5_,comdat
	.globl	_ZL33flash_attn_stream_k_fixup_generalILi64ELi4ELi4EEvPfPK15HIP_vector_typeIfLj2EEiiiiS1_IjLj3EES5_S5_S5_ ; -- Begin function _ZL33flash_attn_stream_k_fixup_generalILi64ELi4ELi4EEvPfPK15HIP_vector_typeIfLj2EEiiiiS1_IjLj3EES5_S5_S5_
	.p2align	8
	.type	_ZL33flash_attn_stream_k_fixup_generalILi64ELi4ELi4EEvPfPK15HIP_vector_typeIfLj2EEiiiiS1_IjLj3EES5_S5_S5_,@function
_ZL33flash_attn_stream_k_fixup_generalILi64ELi4ELi4EEvPfPK15HIP_vector_typeIfLj2EEiiiiS1_IjLj3EES5_S5_S5_: ; @_ZL33flash_attn_stream_k_fixup_generalILi64ELi4ELi4EEvPfPK15HIP_vector_typeIfLj2EEiiiiS1_IjLj3EES5_S5_S5_
; %bb.0:
	s_load_dwordx4 s[12:15], s[4:5], 0x10
	s_load_dword s9, s[4:5], 0x50
	s_mov_b32 s2, 0
	s_waitcnt lgkmcnt(0)
	s_mul_hi_i32 s3, s15, s6
	s_cmp_lg_u64 s[2:3], 0
	s_mul_i32 s2, s15, s6
	s_cbranch_scc0 .LBB26_21
; %bb.1:
	v_cvt_f32_u32_e32 v1, s9
	v_cvt_f32_ubyte0_e32 v2, 0
	s_sub_u32 s10, 0, s9
	s_subb_u32 s11, 0, 0
	v_madmk_f32 v1, v2, 0x4f800000, v1
	v_rcp_f32_e32 v1, v1
	v_mul_f32_e32 v1, 0x5f7ffffc, v1
	v_mul_f32_e32 v2, 0x2f800000, v1
	v_trunc_f32_e32 v2, v2
	v_madmk_f32 v1, v2, 0xcf800000, v1
	v_cvt_u32_f32_e32 v2, v2
	v_cvt_u32_f32_e32 v1, v1
	v_readfirstlane_b32 s16, v2
	v_readfirstlane_b32 s17, v1
	s_mul_i32 s18, s10, s16
	s_mul_hi_u32 s20, s10, s17
	s_mul_i32 s19, s11, s17
	s_add_i32 s18, s20, s18
	s_add_i32 s18, s18, s19
	s_mul_i32 s21, s10, s17
	s_mul_hi_u32 s19, s17, s18
	s_mul_i32 s20, s17, s18
	s_mul_hi_u32 s17, s17, s21
	s_add_u32 s17, s17, s20
	s_addc_u32 s19, 0, s19
	s_mul_hi_u32 s22, s16, s21
	s_mul_i32 s21, s16, s21
	s_add_u32 s17, s17, s21
	s_mul_hi_u32 s20, s16, s18
	s_addc_u32 s17, s19, s22
	s_addc_u32 s19, s20, 0
	s_mul_i32 s18, s16, s18
	s_add_u32 s17, s17, s18
	s_addc_u32 s18, 0, s19
	v_add_co_u32_e32 v1, vcc, s17, v1
	s_cmp_lg_u64 vcc, 0
	s_addc_u32 s16, s16, s18
	v_readfirstlane_b32 s18, v1
	s_mul_i32 s17, s10, s16
	s_mul_hi_u32 s19, s10, s18
	s_add_i32 s17, s19, s17
	s_mul_i32 s11, s11, s18
	s_add_i32 s17, s17, s11
	s_mul_i32 s10, s10, s18
	s_mul_hi_u32 s19, s16, s10
	s_mul_i32 s20, s16, s10
	s_mul_i32 s22, s18, s17
	s_mul_hi_u32 s10, s18, s10
	s_mul_hi_u32 s21, s18, s17
	s_add_u32 s10, s10, s22
	s_addc_u32 s18, 0, s21
	s_add_u32 s10, s10, s20
	s_mul_hi_u32 s11, s16, s17
	s_addc_u32 s10, s18, s19
	s_addc_u32 s11, s11, 0
	s_mul_i32 s17, s16, s17
	s_add_u32 s10, s10, s17
	s_addc_u32 s11, 0, s11
	v_add_co_u32_e32 v1, vcc, s10, v1
	s_cmp_lg_u64 vcc, 0
	s_addc_u32 s18, s16, s11
	s_ashr_i32 s10, s3, 31
	s_add_u32 s16, s2, s10
	s_mov_b32 s11, s10
	s_addc_u32 s17, s3, s10
	s_xor_b64 s[16:17], s[16:17], s[10:11]
	v_readfirstlane_b32 s20, v1
	s_mul_i32 s19, s16, s18
	s_mul_hi_u32 s21, s16, s20
	s_mul_hi_u32 s3, s16, s18
	s_add_u32 s19, s21, s19
	s_addc_u32 s3, 0, s3
	s_mul_hi_u32 s22, s17, s20
	s_mul_i32 s20, s17, s20
	s_add_u32 s19, s19, s20
	s_mul_hi_u32 s21, s17, s18
	s_addc_u32 s3, s3, s22
	s_addc_u32 s19, s21, 0
	s_mul_i32 s18, s17, s18
	s_add_u32 s3, s3, s18
	s_addc_u32 s18, 0, s19
	s_add_u32 s19, s3, 1
	s_addc_u32 s20, s18, 0
	s_add_u32 s21, s3, 2
	s_mul_i32 s23, s9, s18
	s_mul_hi_u32 s24, s9, s3
	s_addc_u32 s22, s18, 0
	s_add_i32 s24, s24, s23
	s_mul_i32 s23, s9, s3
	v_mov_b32_e32 v1, s23
	v_sub_co_u32_e32 v1, vcc, s16, v1
	s_cmp_lg_u64 vcc, 0
	s_subb_u32 s16, s17, s24
	v_subrev_co_u32_e32 v2, vcc, s9, v1
	s_cmp_lg_u64 vcc, 0
	s_subb_u32 s17, s16, 0
	v_readfirstlane_b32 s23, v2
	s_cmp_ge_u32 s23, s9
	s_cselect_b32 s23, -1, 0
	s_cmp_eq_u32 s17, 0
	s_cselect_b32 s17, s23, -1
	s_cmp_lg_u32 s17, 0
	s_cselect_b32 s17, s22, s20
	v_readfirstlane_b32 s20, v1
	s_cselect_b32 s19, s21, s19
	s_cmp_ge_u32 s20, s9
	s_cselect_b32 s20, -1, 0
	s_cmp_eq_u32 s16, 0
	s_cselect_b32 s16, s20, -1
	s_cmp_lg_u32 s16, 0
	s_cselect_b32 s17, s17, s18
	s_cselect_b32 s16, s19, s3
	s_xor_b64 s[16:17], s[16:17], s[10:11]
	s_sub_u32 s20, s16, s10
	s_load_dwordx4 s[16:19], s[4:5], 0x44
	s_cbranch_execnz .LBB26_3
.LBB26_2:
	v_cvt_f32_u32_e32 v1, s9
	s_sub_i32 s0, 0, s9
	v_rcp_iflag_f32_e32 v1, v1
	v_mul_f32_e32 v1, 0x4f7ffffe, v1
	v_cvt_u32_f32_e32 v1, v1
	v_readfirstlane_b32 s1, v1
	s_mul_i32 s0, s0, s1
	s_mul_hi_u32 s0, s1, s0
	s_add_i32 s1, s1, s0
	s_mul_hi_u32 s0, s2, s1
	s_mul_i32 s3, s0, s9
	s_sub_i32 s2, s2, s3
	s_add_i32 s1, s0, 1
	s_sub_i32 s3, s2, s9
	s_cmp_ge_u32 s2, s9
	s_cselect_b32 s0, s1, s0
	s_cselect_b32 s2, s3, s2
	s_add_i32 s1, s0, 1
	s_cmp_ge_u32 s2, s9
	s_cselect_b32 s20, s1, s0
.LBB26_3:
	s_add_i32 s0, s6, 1
	s_mul_hi_i32 s3, s15, s0
	s_mov_b32 s2, 0
	s_cmp_lg_u64 s[2:3], 0
	s_mul_i32 s2, s15, s0
	s_cbranch_scc0 .LBB26_22
; %bb.4:
	v_cvt_f32_u32_e32 v1, s9
	v_cvt_f32_ubyte0_e32 v2, 0
	s_sub_u32 s10, 0, s9
	s_subb_u32 s11, 0, 0
	v_madmk_f32 v1, v2, 0x4f800000, v1
	v_rcp_f32_e32 v1, v1
	v_mul_f32_e32 v1, 0x5f7ffffc, v1
	v_mul_f32_e32 v2, 0x2f800000, v1
	v_trunc_f32_e32 v2, v2
	v_madmk_f32 v1, v2, 0xcf800000, v1
	v_cvt_u32_f32_e32 v2, v2
	v_cvt_u32_f32_e32 v1, v1
	s_waitcnt lgkmcnt(0)
	v_readfirstlane_b32 s19, v2
	v_readfirstlane_b32 s21, v1
	s_mul_i32 s22, s10, s19
	s_mul_hi_u32 s24, s10, s21
	s_mul_i32 s23, s11, s21
	s_add_i32 s22, s24, s22
	s_add_i32 s22, s22, s23
	s_mul_i32 s25, s10, s21
	s_mul_hi_u32 s23, s21, s22
	s_mul_i32 s24, s21, s22
	s_mul_hi_u32 s21, s21, s25
	s_add_u32 s21, s21, s24
	s_addc_u32 s23, 0, s23
	s_mul_hi_u32 s26, s19, s25
	s_mul_i32 s25, s19, s25
	s_add_u32 s21, s21, s25
	s_mul_hi_u32 s24, s19, s22
	s_addc_u32 s21, s23, s26
	s_addc_u32 s23, s24, 0
	s_mul_i32 s22, s19, s22
	s_add_u32 s21, s21, s22
	s_addc_u32 s22, 0, s23
	v_add_co_u32_e32 v1, vcc, s21, v1
	s_cmp_lg_u64 vcc, 0
	s_addc_u32 s19, s19, s22
	v_readfirstlane_b32 s22, v1
	s_mul_i32 s21, s10, s19
	s_mul_hi_u32 s23, s10, s22
	s_add_i32 s21, s23, s21
	s_mul_i32 s11, s11, s22
	s_add_i32 s21, s21, s11
	s_mul_i32 s10, s10, s22
	s_mul_hi_u32 s23, s19, s10
	s_mul_i32 s24, s19, s10
	s_mul_i32 s26, s22, s21
	s_mul_hi_u32 s10, s22, s10
	s_mul_hi_u32 s25, s22, s21
	s_add_u32 s10, s10, s26
	s_addc_u32 s22, 0, s25
	s_add_u32 s10, s10, s24
	s_mul_hi_u32 s11, s19, s21
	s_addc_u32 s10, s22, s23
	s_addc_u32 s11, s11, 0
	s_mul_i32 s21, s19, s21
	s_add_u32 s10, s10, s21
	s_addc_u32 s11, 0, s11
	v_add_co_u32_e32 v1, vcc, s10, v1
	s_cmp_lg_u64 vcc, 0
	s_addc_u32 s19, s19, s11
	s_ashr_i32 s10, s3, 31
	s_add_u32 s22, s2, s10
	s_mov_b32 s11, s10
	s_addc_u32 s23, s3, s10
	s_xor_b64 s[22:23], s[22:23], s[10:11]
	v_readfirstlane_b32 s21, v1
	s_mul_i32 s11, s22, s19
	s_mul_hi_u32 s24, s22, s21
	s_mul_hi_u32 s3, s22, s19
	s_add_u32 s11, s24, s11
	s_addc_u32 s3, 0, s3
	s_mul_hi_u32 s25, s23, s21
	s_mul_i32 s21, s23, s21
	s_add_u32 s11, s11, s21
	s_mul_hi_u32 s24, s23, s19
	s_addc_u32 s3, s3, s25
	s_addc_u32 s11, s24, 0
	s_mul_i32 s19, s23, s19
	s_add_u32 s3, s3, s19
	s_addc_u32 s11, 0, s11
	s_mul_i32 s11, s9, s11
	s_mul_hi_u32 s24, s9, s3
	s_add_i32 s24, s24, s11
	s_mul_i32 s11, s9, s3
	v_mov_b32_e32 v1, s11
	s_add_u32 s19, s3, 1
	s_add_u32 s21, s3, 2
	v_sub_co_u32_e32 v1, vcc, s22, v1
	s_cmp_lg_u64 vcc, 0
	s_subb_u32 s11, s23, s24
	v_subrev_co_u32_e32 v2, vcc, s9, v1
	s_cmp_lg_u64 vcc, 0
	s_subb_u32 s22, s11, 0
	v_cmp_le_u32_e32 vcc, s9, v2
	s_cmp_eq_u32 s22, 0
	v_cndmask_b32_e64 v2, 0, -1, vcc
	s_cselect_b64 vcc, -1, 0
	v_cndmask_b32_e32 v2, -1, v2, vcc
	v_mov_b32_e32 v3, s19
	v_mov_b32_e32 v4, s21
	v_cmp_ne_u32_e32 vcc, 0, v2
	v_cndmask_b32_e32 v2, v3, v4, vcc
	v_cmp_le_u32_e32 vcc, s9, v1
	s_cmp_eq_u32 s11, 0
	v_cndmask_b32_e64 v1, 0, -1, vcc
	s_cselect_b64 vcc, -1, 0
	v_cndmask_b32_e32 v1, -1, v1, vcc
	v_mov_b32_e32 v3, s3
	v_cmp_ne_u32_e32 vcc, 0, v1
	v_cndmask_b32_e32 v1, v3, v2, vcc
	v_xor_b32_e32 v1, s10, v1
	v_subrev_co_u32_e32 v2, vcc, s10, v1
	s_cbranch_execnz .LBB26_6
.LBB26_5:
	v_cvt_f32_u32_e32 v1, s9
	s_sub_i32 s0, 0, s9
	s_mov_b32 s1, 0
	v_rcp_iflag_f32_e32 v1, v1
	v_mul_f32_e32 v1, 0x4f7ffffe, v1
	v_cvt_u32_f32_e32 v1, v1
	v_readfirstlane_b32 s3, v1
	s_mul_i32 s0, s0, s3
	s_mul_hi_u32 s0, s3, s0
	s_add_i32 s3, s3, s0
	s_mul_hi_u32 s0, s2, s3
	s_mul_i32 s10, s0, s9
	s_sub_i32 s2, s2, s10
	s_add_i32 s3, s0, 1
	s_sub_i32 s10, s2, s9
	s_cmp_ge_u32 s2, s9
	s_cselect_b32 s0, s3, s0
	s_cselect_b32 s2, s10, s2
	s_add_i32 s3, s0, 1
	s_cmp_ge_u32 s2, s9
	s_cselect_b32 s0, s3, s0
	v_pk_mov_b32 v[2:3], s[0:1], s[0:1] op_sel:[0,1]
.LBB26_6:
	s_waitcnt lgkmcnt(0)
	s_mul_hi_u32 s0, s20, s16
	s_add_i32 s0, s0, s20
	v_mul_hi_u32 v1, v2, s16
	s_lshr_b32 s19, s0, s17
	v_add_u32_e32 v1, v1, v2
	s_mul_i32 s0, s19, s18
	v_lshrrev_b32_e32 v1, s17, v1
	s_cmp_eq_u32 s0, s20
	v_cmp_eq_u32_e64 s[0:1], s19, v1
	v_mul_lo_u32 v1, v1, s18
	v_cmp_eq_u32_e32 vcc, s20, v2
	s_cselect_b64 s[10:11], -1, 0
	v_cmp_ne_u32_e64 s[2:3], v1, v2
	s_and_b64 s[0:1], s[0:1], s[2:3]
	s_or_b64 s[2:3], vcc, s[10:11]
	s_or_b64 s[0:1], s[2:3], s[0:1]
	s_and_b64 vcc, exec, s[0:1]
	s_cbranch_vccnz .LBB26_24
; %bb.7:
	s_load_dwordx8 s[24:31], s[4:5], 0x20
	s_load_dword s0, s[4:5], 0x40
	s_mov_b32 s10, 0
	s_waitcnt lgkmcnt(0)
	s_mul_hi_u32 s1, s20, s24
	s_add_i32 s1, s1, s20
	s_lshr_b32 s11, s1, s25
	s_mul_i32 s1, s11, s26
	s_sub_i32 s1, s20, s1
	s_mul_hi_u32 s2, s1, s27
	s_add_i32 s2, s1, s2
	s_lshr_b32 s24, s2, s28
	s_mul_i32 s2, s24, s29
	s_sub_i32 s1, s1, s2
	;; [unrolled: 5-line block ×3, first 2 shown]
	s_mul_hi_u32 s1, s0, s16
	s_add_i32 s0, s0, s1
	s_lshr_b32 s26, s0, s17
	s_lshl_b32 s0, s26, 2
	s_lshl_b32 s25, s2, 2
	s_add_i32 s0, s0, s7
	s_cmp_lt_i32 s0, s12
	s_cselect_b64 s[0:1], -1, 0
	s_add_i32 s2, s25, s8
	s_cmp_lt_i32 s2, s14
	s_cselect_b64 s[2:3], -1, 0
	s_and_b64 s[0:1], s[0:1], s[2:3]
	s_andn2_b64 vcc, exec, s[0:1]
	s_cbranch_vccnz .LBB26_24
; %bb.8:
	s_load_dwordx4 s[0:3], s[4:5], 0x0
	s_lshl_b32 s21, s7, 2
	s_lshl_b32 s4, s9, 6
	s_mov_b32 s5, s10
	s_add_i32 s21, s21, s8
	s_lshl_b64 s[4:5], s[4:5], 2
	s_waitcnt lgkmcnt(0)
	s_add_u32 s22, s2, s4
	s_mul_i32 s4, s11, s12
	s_addc_u32 s23, s3, s5
	s_add_i32 s4, s4, s7
	s_mul_i32 s4, s4, s13
	s_mul_i32 s24, s24, s14
	s_add_i32 s4, s4, s8
	s_add_i32 s4, s4, s24
	s_mul_i32 s5, s13, s26
	s_add_i32 s4, s4, s25
	s_lshl_b32 s5, s5, 8
	s_lshl_b32 s4, s4, 6
	s_add_i32 s5, s5, s4
	v_or_b32_e32 v2, s5, v0
	v_ashrrev_i32_e32 v3, 31, v2
	v_lshlrev_b64 v[2:3], 2, v[2:3]
	v_mov_b32_e32 v1, s1
	v_add_co_u32_e32 v2, vcc, s0, v2
	v_addc_co_u32_e32 v3, vcc, v1, v3, vcc
	global_load_dword v5, v[2:3], off
	v_lshl_or_b32 v4, s21, 6, v0
	v_cvt_f32_u32_e32 v0, s9
	v_cvt_f32_ubyte0_e32 v1, 0
	s_lshl_b32 s0, s6, 4
	s_add_i32 s0, s21, s0
	v_mac_f32_e32 v0, 0x4f800000, v1
	v_rcp_f32_e32 v0, v0
	v_cvt_f32_u32_e32 v1, s9
	s_ashr_i32 s1, s0, 31
	s_lshl_b64 s[0:1], s[0:1], 3
	v_mul_f32_e32 v0, 0x5f7ffffc, v0
	v_rcp_iflag_f32_e32 v1, v1
	s_add_u32 s0, s2, s0
	v_mul_f32_e32 v9, 0x2f800000, v0
	s_addc_u32 s1, s3, s1
	v_trunc_f32_e32 v10, v9
	s_load_dwordx2 s[0:1], s[0:1], 0x0
	v_mac_f32_e32 v0, 0xcf800000, v10
	v_cvt_u32_f32_e32 v9, v0
	v_mul_f32_e32 v0, 0x4f7ffffe, v1
	v_cvt_u32_f32_e32 v10, v10
	v_cvt_u32_f32_e32 v11, v0
	s_add_i32 s8, s6, -1
	s_waitcnt lgkmcnt(0)
	v_mov_b32_e32 v6, s1
	v_mov_b32_e32 v7, s0
	;; [unrolled: 1-line block ×3, first 2 shown]
	s_mov_b32 s6, 0x3fb8aa3b
	s_mov_b32 s7, 0xc2ce8ed0
	;; [unrolled: 1-line block ×4, first 2 shown]
	v_mov_b32_e32 v12, 0x7f800000
	s_mul_hi_i32 s11, s8, s15
	s_cmp_lg_u64 s[10:11], 0
	s_mul_i32 s4, s8, s15
	s_cbranch_scc0 .LBB26_15
.LBB26_9:
	s_sub_u32 s0, 0, s9
	v_readfirstlane_b32 s5, v9
	v_readfirstlane_b32 s24, v10
	s_subb_u32 s1, 0, 0
	s_mul_hi_u32 s20, s0, s5
	s_mul_i32 s25, s0, s24
	s_mul_i32 s14, s1, s5
	s_add_i32 s20, s20, s25
	s_add_i32 s20, s20, s14
	s_mul_i32 s26, s0, s5
	s_mul_hi_u32 s14, s5, s20
	s_mul_i32 s25, s5, s20
	s_mul_hi_u32 s5, s5, s26
	s_add_u32 s5, s5, s25
	s_addc_u32 s14, 0, s14
	s_mul_hi_u32 s27, s24, s26
	s_mul_i32 s26, s24, s26
	s_add_u32 s5, s5, s26
	s_mul_hi_u32 s25, s24, s20
	s_addc_u32 s5, s14, s27
	s_addc_u32 s14, s25, 0
	s_mul_i32 s20, s24, s20
	s_add_u32 s5, s5, s20
	s_addc_u32 s14, 0, s14
	v_add_co_u32_e32 v0, vcc, s5, v9
	s_cmp_lg_u64 vcc, 0
	s_addc_u32 s5, s24, s14
	v_readfirstlane_b32 s20, v0
	s_mul_i32 s14, s0, s5
	s_mul_hi_u32 s24, s0, s20
	s_add_i32 s14, s24, s14
	s_mul_i32 s1, s1, s20
	s_add_i32 s14, s14, s1
	s_mul_i32 s0, s0, s20
	s_mul_hi_u32 s24, s5, s0
	s_mul_i32 s25, s5, s0
	s_mul_i32 s27, s20, s14
	s_mul_hi_u32 s0, s20, s0
	s_mul_hi_u32 s26, s20, s14
	s_add_u32 s0, s0, s27
	s_addc_u32 s20, 0, s26
	s_add_u32 s0, s0, s25
	s_mul_hi_u32 s1, s5, s14
	s_addc_u32 s0, s20, s24
	s_addc_u32 s1, s1, 0
	s_mul_i32 s14, s5, s14
	s_add_u32 s0, s0, s14
	s_addc_u32 s1, 0, s1
	v_add_co_u32_e32 v0, vcc, s0, v0
	s_cmp_lg_u64 vcc, 0
	s_addc_u32 s5, s5, s1
	s_ashr_i32 s0, s11, 31
	s_add_u32 s24, s4, s0
	s_mov_b32 s1, s0
	s_addc_u32 s25, s11, s0
	s_xor_b64 s[24:25], s[24:25], s[0:1]
	v_readfirstlane_b32 s14, v0
	s_mul_i32 s11, s24, s5
	s_mul_hi_u32 s20, s24, s14
	s_mul_hi_u32 s1, s24, s5
	s_add_u32 s11, s20, s11
	s_addc_u32 s1, 0, s1
	s_mul_hi_u32 s26, s25, s14
	s_mul_i32 s14, s25, s14
	s_add_u32 s11, s11, s14
	s_mul_hi_u32 s20, s25, s5
	s_addc_u32 s1, s1, s26
	s_addc_u32 s11, s20, 0
	s_mul_i32 s5, s25, s5
	s_add_u32 s1, s1, s5
	s_addc_u32 s5, 0, s11
	s_mul_i32 s5, s9, s5
	s_mul_hi_u32 s20, s9, s1
	s_add_i32 s20, s20, s5
	s_mul_i32 s5, s9, s1
	v_mov_b32_e32 v0, s5
	s_add_u32 s11, s1, 1
	s_add_u32 s14, s1, 2
	v_sub_co_u32_e32 v0, vcc, s24, v0
	s_cmp_lg_u64 vcc, 0
	s_subb_u32 s5, s25, s20
	v_subrev_co_u32_e32 v1, vcc, s9, v0
	s_cmp_lg_u64 vcc, 0
	s_subb_u32 s20, s5, 0
	v_cmp_le_u32_e32 vcc, s9, v1
	s_cmp_eq_u32 s20, 0
	v_cndmask_b32_e64 v1, 0, -1, vcc
	s_cselect_b64 vcc, -1, 0
	v_cndmask_b32_e32 v1, -1, v1, vcc
	v_mov_b32_e32 v13, s11
	v_mov_b32_e32 v14, s14
	v_cmp_ne_u32_e32 vcc, 0, v1
	v_cndmask_b32_e32 v1, v13, v14, vcc
	v_cmp_le_u32_e32 vcc, s9, v0
	s_cmp_eq_u32 s5, 0
	v_cndmask_b32_e64 v0, 0, -1, vcc
	s_cselect_b64 vcc, -1, 0
	v_cndmask_b32_e32 v0, -1, v0, vcc
	v_mov_b32_e32 v13, s1
	v_cmp_ne_u32_e32 vcc, 0, v0
	v_cndmask_b32_e32 v0, v13, v1, vcc
	v_xor_b32_e32 v0, s0, v0
	v_subrev_co_u32_e32 v0, vcc, s0, v0
	s_cbranch_execnz .LBB26_11
.LBB26_10:
	s_sub_i32 s0, 0, s9
	v_mul_lo_u32 v0, s0, v11
	v_mul_hi_u32 v0, v11, v0
	v_add_u32_e32 v0, v11, v0
	v_mul_hi_u32 v0, s4, v0
	v_mul_lo_u32 v13, v0, s9
	v_sub_u32_e32 v13, s4, v13
	v_add_u32_e32 v1, 1, v0
	v_subrev_u32_e32 v14, s9, v13
	v_cmp_le_u32_e32 vcc, s9, v13
	v_cndmask_b32_e32 v13, v13, v14, vcc
	v_cndmask_b32_e32 v0, v0, v1, vcc
	v_add_u32_e32 v1, 1, v0
	v_cmp_le_u32_e32 vcc, s9, v13
	v_cndmask_b32_e32 v0, v0, v1, vcc
.LBB26_11:
	v_cmp_ne_u32_e32 vcc, v8, v0
	s_cbranch_vccz .LBB26_14
; %bb.12:
	s_add_i32 s0, s8, s9
	s_lshl_b32 s0, s0, 4
	v_mul_hi_u32 v1, v0, s16
	s_add_i32 s0, s0, s21
	s_mov_b32 s1, s10
	v_add_u32_e32 v1, v1, v0
	s_lshl_b64 s[0:1], s[0:1], 3
	v_lshrrev_b32_e32 v1, s17, v1
	s_add_u32 s4, s2, s0
	v_mul_lo_u32 v13, v1, s18
	s_addc_u32 s5, s3, s1
	v_cmp_eq_u32_e32 vcc, v13, v0
	v_cmp_gt_u32_e64 s[0:1], s19, v1
	s_or_b64 s[0:1], s[0:1], vcc
	s_and_b64 vcc, exec, s[0:1]
	s_cbranch_vccnz .LBB26_16
; %bb.13:
	s_add_i32 s11, s8, -1
	s_mov_b64 s[0:1], 0
	s_branch .LBB26_17
.LBB26_14:
                                        ; implicit-def: $sgpr0_sgpr1
                                        ; implicit-def: $vgpr14
                                        ; implicit-def: $vgpr1
                                        ; implicit-def: $vgpr13
                                        ; implicit-def: $sgpr11
                                        ; implicit-def: $vgpr0
	s_branch .LBB26_18
.LBB26_15:
                                        ; implicit-def: $vgpr0_vgpr1
	s_branch .LBB26_10
.LBB26_16:
	s_mov_b64 s[0:1], -1
	s_mov_b32 s11, s8
	v_mov_b32_e32 v0, v8
.LBB26_17:
	v_lshl_add_u32 v14, s8, 10, v4
	v_ashrrev_i32_e32 v15, 31, v14
	v_lshlrev_b64 v[14:15], 2, v[14:15]
	v_mov_b32_e32 v1, s23
	v_add_co_u32_e32 v14, vcc, s22, v14
	v_addc_co_u32_e32 v15, vcc, v1, v15, vcc
	global_load_dword v14, v[14:15], off
	s_load_dwordx2 s[4:5], s[4:5], 0x0
	v_max_f32_e32 v1, v7, v7
	s_waitcnt lgkmcnt(0)
	v_max_f32_e64 v13, s4, s4
	v_max_f32_e32 v1, v1, v13
	v_sub_f32_e32 v13, v7, v1
	v_sub_f32_e32 v15, s4, v1
	v_mul_f32_e32 v16, 0x3fb8aa3b, v13
	v_mul_f32_e32 v17, 0x3fb8aa3b, v15
	v_fma_f32 v18, v13, s6, -v16
	v_rndne_f32_e32 v19, v16
	v_fma_f32 v20, v15, s6, -v17
	v_rndne_f32_e32 v21, v17
	v_fmac_f32_e32 v18, 0x32a5705f, v13
	v_sub_f32_e32 v16, v16, v19
	v_fmac_f32_e32 v20, 0x32a5705f, v15
	v_sub_f32_e32 v17, v17, v21
	v_add_f32_e32 v16, v16, v18
	v_cvt_i32_f32_e32 v19, v19
	v_add_f32_e32 v17, v17, v20
	v_exp_f32_e32 v16, v16
	v_cvt_i32_f32_e32 v21, v21
	v_exp_f32_e32 v17, v17
	v_cmp_ngt_f32_e32 vcc, s7, v13
	v_ldexp_f32 v16, v16, v19
	v_cndmask_b32_e32 v16, 0, v16, vcc
	v_ldexp_f32 v17, v17, v21
	v_cmp_ngt_f32_e32 vcc, s7, v15
	v_cndmask_b32_e32 v17, 0, v17, vcc
	v_cmp_nlt_f32_e32 vcc, s12, v13
	v_cndmask_b32_e32 v16, v12, v16, vcc
	v_cmp_nlt_f32_e32 vcc, s12, v15
	v_cndmask_b32_e32 v17, v12, v17, vcc
	v_cmp_le_f32_e32 vcc, s13, v13
	v_cndmask_b32_e32 v16, 0, v16, vcc
	v_cmp_le_f32_e32 vcc, s13, v15
	v_cndmask_b32_e32 v15, 0, v17, vcc
	v_mul_f32_e32 v13, s5, v15
	v_fmac_f32_e32 v13, v6, v16
	s_waitcnt vmcnt(0)
	v_mul_f32_e32 v14, v14, v15
	v_fmac_f32_e32 v14, v5, v16
	s_cbranch_execnz .LBB26_19
.LBB26_18:
	s_add_i32 s11, s8, -1
	s_mov_b64 s[0:1], 0
	v_mov_b32_e32 v0, v8
	v_mov_b32_e32 v13, v6
	;; [unrolled: 1-line block ×3, first 2 shown]
	s_waitcnt vmcnt(0)
	v_mov_b32_e32 v14, v5
.LBB26_19:
	s_andn2_b64 vcc, exec, s[0:1]
	s_cbranch_vccz .LBB26_23
; %bb.20:
	v_mov_b32_e32 v8, v0
	s_mov_b32 s8, s11
	v_mov_b32_e32 v6, v13
	v_mov_b32_e32 v7, v1
	s_waitcnt vmcnt(0)
	v_mov_b32_e32 v5, v14
	s_mul_hi_i32 s11, s8, s15
	s_cmp_lg_u64 s[10:11], 0
	s_mul_i32 s4, s8, s15
	s_cbranch_scc1 .LBB26_9
	s_branch .LBB26_15
.LBB26_21:
                                        ; implicit-def: $sgpr20_sgpr21
	s_load_dwordx4 s[16:19], s[4:5], 0x44
	s_branch .LBB26_2
.LBB26_22:
                                        ; implicit-def: $vgpr2_vgpr3
	s_branch .LBB26_5
.LBB26_23:
	v_div_scale_f32 v0, s[0:1], v13, v13, v14
	v_rcp_f32_e32 v1, v0
	v_div_scale_f32 v4, vcc, v14, v13, v14
	s_waitcnt vmcnt(0)
	v_fma_f32 v5, -v0, v1, 1.0
	v_fmac_f32_e32 v1, v5, v1
	v_mul_f32_e32 v5, v4, v1
	v_fma_f32 v6, -v0, v5, v4
	v_fmac_f32_e32 v5, v6, v1
	v_fma_f32 v0, -v0, v5, v4
	v_div_fmas_f32 v0, v0, v1, v5
	v_div_fixup_f32 v0, v0, v13, v14
	global_store_dword v[2:3], v0, off
.LBB26_24:
	s_endpgm
	.section	.rodata,"a",@progbits
	.p2align	6, 0x0
	.amdhsa_kernel _ZL33flash_attn_stream_k_fixup_generalILi64ELi4ELi4EEvPfPK15HIP_vector_typeIfLj2EEiiiiS1_IjLj3EES5_S5_S5_
		.amdhsa_group_segment_fixed_size 0
		.amdhsa_private_segment_fixed_size 0
		.amdhsa_kernarg_size 336
		.amdhsa_user_sgpr_count 6
		.amdhsa_user_sgpr_private_segment_buffer 1
		.amdhsa_user_sgpr_dispatch_ptr 0
		.amdhsa_user_sgpr_queue_ptr 0
		.amdhsa_user_sgpr_kernarg_segment_ptr 1
		.amdhsa_user_sgpr_dispatch_id 0
		.amdhsa_user_sgpr_flat_scratch_init 0
		.amdhsa_user_sgpr_kernarg_preload_length 0
		.amdhsa_user_sgpr_kernarg_preload_offset 0
		.amdhsa_user_sgpr_private_segment_size 0
		.amdhsa_uses_dynamic_stack 0
		.amdhsa_system_sgpr_private_segment_wavefront_offset 0
		.amdhsa_system_sgpr_workgroup_id_x 1
		.amdhsa_system_sgpr_workgroup_id_y 1
		.amdhsa_system_sgpr_workgroup_id_z 1
		.amdhsa_system_sgpr_workgroup_info 0
		.amdhsa_system_vgpr_workitem_id 0
		.amdhsa_next_free_vgpr 22
		.amdhsa_next_free_sgpr 32
		.amdhsa_accum_offset 24
		.amdhsa_reserve_vcc 1
		.amdhsa_reserve_flat_scratch 0
		.amdhsa_float_round_mode_32 0
		.amdhsa_float_round_mode_16_64 0
		.amdhsa_float_denorm_mode_32 3
		.amdhsa_float_denorm_mode_16_64 3
		.amdhsa_dx10_clamp 1
		.amdhsa_ieee_mode 1
		.amdhsa_fp16_overflow 0
		.amdhsa_tg_split 0
		.amdhsa_exception_fp_ieee_invalid_op 0
		.amdhsa_exception_fp_denorm_src 0
		.amdhsa_exception_fp_ieee_div_zero 0
		.amdhsa_exception_fp_ieee_overflow 0
		.amdhsa_exception_fp_ieee_underflow 0
		.amdhsa_exception_fp_ieee_inexact 0
		.amdhsa_exception_int_div_zero 0
	.end_amdhsa_kernel
	.section	.text._ZL33flash_attn_stream_k_fixup_generalILi64ELi4ELi4EEvPfPK15HIP_vector_typeIfLj2EEiiiiS1_IjLj3EES5_S5_S5_,"axG",@progbits,_ZL33flash_attn_stream_k_fixup_generalILi64ELi4ELi4EEvPfPK15HIP_vector_typeIfLj2EEiiiiS1_IjLj3EES5_S5_S5_,comdat
.Lfunc_end26:
	.size	_ZL33flash_attn_stream_k_fixup_generalILi64ELi4ELi4EEvPfPK15HIP_vector_typeIfLj2EEiiiiS1_IjLj3EES5_S5_S5_, .Lfunc_end26-_ZL33flash_attn_stream_k_fixup_generalILi64ELi4ELi4EEvPfPK15HIP_vector_typeIfLj2EEiiiiS1_IjLj3EES5_S5_S5_
                                        ; -- End function
	.section	.AMDGPU.csdata,"",@progbits
; Kernel info:
; codeLenInByte = 2824
; NumSgprs: 36
; NumVgprs: 22
; NumAgprs: 0
; TotalNumVgprs: 22
; ScratchSize: 0
; MemoryBound: 0
; FloatMode: 240
; IeeeMode: 1
; LDSByteSize: 0 bytes/workgroup (compile time only)
; SGPRBlocks: 4
; VGPRBlocks: 2
; NumSGPRsForWavesPerEU: 36
; NumVGPRsForWavesPerEU: 22
; AccumOffset: 24
; Occupancy: 8
; WaveLimiterHint : 0
; COMPUTE_PGM_RSRC2:SCRATCH_EN: 0
; COMPUTE_PGM_RSRC2:USER_SGPR: 6
; COMPUTE_PGM_RSRC2:TRAP_HANDLER: 0
; COMPUTE_PGM_RSRC2:TGID_X_EN: 1
; COMPUTE_PGM_RSRC2:TGID_Y_EN: 1
; COMPUTE_PGM_RSRC2:TGID_Z_EN: 1
; COMPUTE_PGM_RSRC2:TIDIG_COMP_CNT: 0
; COMPUTE_PGM_RSRC3_GFX90A:ACCUM_OFFSET: 5
; COMPUTE_PGM_RSRC3_GFX90A:TG_SPLIT: 0
	.section	.text._ZL15flash_attn_tileILi64ELi64ELi2ELi4ELb0EEvPKcS1_S1_S1_S1_PKiPfP15HIP_vector_typeIfLj2EEffffjfiS5_IjLj3EEiiiiiiiiiiiliiliiiiil,"axG",@progbits,_ZL15flash_attn_tileILi64ELi64ELi2ELi4ELb0EEvPKcS1_S1_S1_S1_PKiPfP15HIP_vector_typeIfLj2EEffffjfiS5_IjLj3EEiiiiiiiiiiiliiliiiiil,comdat
	.globl	_ZL15flash_attn_tileILi64ELi64ELi2ELi4ELb0EEvPKcS1_S1_S1_S1_PKiPfP15HIP_vector_typeIfLj2EEffffjfiS5_IjLj3EEiiiiiiiiiiiliiliiiiil ; -- Begin function _ZL15flash_attn_tileILi64ELi64ELi2ELi4ELb0EEvPKcS1_S1_S1_S1_PKiPfP15HIP_vector_typeIfLj2EEffffjfiS5_IjLj3EEiiiiiiiiiiiliiliiiiil
	.p2align	8
	.type	_ZL15flash_attn_tileILi64ELi64ELi2ELi4ELb0EEvPKcS1_S1_S1_S1_PKiPfP15HIP_vector_typeIfLj2EEffffjfiS5_IjLj3EEiiiiiiiiiiiliiliiiiil,@function
_ZL15flash_attn_tileILi64ELi64ELi2ELi4ELb0EEvPKcS1_S1_S1_S1_PKiPfP15HIP_vector_typeIfLj2EEffffjfiS5_IjLj3EEiiiiiiiiiiiliiliiiiil: ; @_ZL15flash_attn_tileILi64ELi64ELi2ELi4ELb0EEvPKcS1_S1_S1_S1_PKiPfP15HIP_vector_typeIfLj2EEffffjfiS5_IjLj3EEiiiiiiiiiiiliiliiiiil
; %bb.0:
	s_load_dwordx4 s[28:31], s[4:5], 0x5c
	s_load_dwordx2 s[34:35], s[4:5], 0x80
	s_load_dwordx16 s[12:27], s[4:5], 0x0
	s_mov_b64 s[36:37], 0
	s_waitcnt lgkmcnt(0)
	s_ashr_i32 s0, s31, 31
	s_lshr_b32 s0, s0, 30
	s_add_i32 s0, s31, s0
	s_ashr_i32 s0, s0, 2
	v_cvt_f32_u32_e32 v1, s0
	s_sub_i32 s1, 0, s0
	v_rcp_iflag_f32_e32 v1, v1
	v_mul_f32_e32 v1, 0x4f7ffffe, v1
	v_cvt_u32_f32_e32 v1, v1
	v_readfirstlane_b32 s2, v1
	s_mul_i32 s1, s1, s2
	s_mul_hi_u32 s1, s2, s1
	s_add_i32 s2, s2, s1
	s_mul_hi_u32 s1, s8, s2
	s_mul_i32 s2, s1, s0
	s_sub_i32 s2, s8, s2
	s_add_i32 s3, s1, 1
	s_sub_i32 s9, s2, s0
	s_cmp_ge_u32 s2, s0
	s_cselect_b32 s1, s3, s1
	s_cselect_b32 s2, s9, s2
	s_add_i32 s3, s1, 1
	s_cmp_ge_u32 s2, s0
	s_cselect_b32 s33, s3, s1
	s_abs_i32 s0, s35
	v_cvt_f32_u32_e32 v1, s0
	s_lshl_b32 s1, s8, 2
	s_mul_i32 s8, s33, s31
	s_xor_b32 s2, s31, s35
	v_rcp_iflag_f32_e32 v1, v1
	s_sub_i32 s9, 0, s0
	s_sub_i32 s35, s1, s8
	s_abs_i32 s3, s31
	v_mul_f32_e32 v1, 0x4f7ffffe, v1
	v_cvt_u32_f32_e32 v1, v1
	s_ashr_i32 s2, s2, 31
	v_readfirstlane_b32 s1, v1
	s_mul_i32 s9, s9, s1
	s_mul_hi_u32 s8, s1, s9
	s_add_i32 s1, s1, s8
	s_mul_hi_u32 s1, s3, s1
	s_mul_i32 s8, s1, s0
	s_sub_i32 s3, s3, s8
	s_add_i32 s9, s1, 1
	s_sub_i32 s8, s3, s0
	s_cmp_ge_u32 s3, s0
	s_cselect_b32 s1, s9, s1
	s_cselect_b32 s3, s8, s3
	s_add_i32 s8, s1, 1
	s_cmp_ge_u32 s3, s0
	s_cselect_b32 s0, s8, s1
	s_xor_b32 s0, s0, s2
	s_sub_i32 s11, s0, s2
	s_abs_i32 s10, s11
	v_cvt_f32_u32_e32 v1, s10
	s_load_dwordx2 s[8:9], s[4:5], 0xb8
	s_cmp_eq_u64 s[18:19], 0
	v_rcp_iflag_f32_e32 v1, v1
	v_mul_f32_e32 v1, 0x4f7ffffe, v1
	v_cvt_u32_f32_e32 v1, v1
	v_readfirstlane_b32 s38, v1
	s_cbranch_scc1 .LBB27_2
; %bb.1:
	s_waitcnt lgkmcnt(0)
	s_abs_i32 s2, s8
	v_cvt_f32_u32_e32 v1, s2
	s_sub_i32 s36, 0, s2
	s_abs_i32 s8, s33
	s_ashr_i32 s3, s33, 31
	v_rcp_iflag_f32_e32 v1, v1
	s_load_dwordx2 s[0:1], s[4:5], 0xc8
	v_mul_f32_e32 v1, 0x4f7ffffe, v1
	v_cvt_u32_f32_e32 v1, v1
	v_readfirstlane_b32 s37, v1
	s_mul_i32 s36, s36, s37
	s_mul_hi_u32 s36, s37, s36
	s_add_i32 s37, s37, s36
	s_mul_hi_u32 s36, s8, s37
	s_mul_i32 s36, s36, s2
	s_sub_i32 s8, s8, s36
	s_sub_i32 s36, s8, s2
	s_cmp_ge_u32 s8, s2
	s_cselect_b32 s8, s36, s8
	s_sub_i32 s36, s8, s2
	s_cmp_ge_u32 s8, s2
	s_cselect_b32 s2, s36, s8
	s_xor_b32 s2, s2, s3
	s_sub_i32 s2, s2, s3
	s_ashr_i32 s3, s2, 31
	s_waitcnt lgkmcnt(0)
	s_mul_i32 s1, s2, s1
	s_mul_hi_u32 s8, s2, s0
	s_add_i32 s1, s8, s1
	s_mul_i32 s3, s3, s0
	s_add_i32 s1, s1, s3
	s_mul_i32 s2, s2, s0
	s_add_u32 s36, s18, s2
	s_addc_u32 s37, s19, s1
.LBB27_2:
	s_load_dwordx4 s[0:3], s[4:5], 0x70
	v_bfe_u32 v6, v0, 10, 10
	v_lshrrev_b32_e32 v1, 1, v6
	v_lshl_add_u32 v1, s6, 1, v1
	v_mul_hi_u32 v2, s28, v1
	s_waitcnt lgkmcnt(0)
	s_mul_i32 s2, s33, s2
	s_ashr_i32 s8, s2, 31
	s_mul_i32 s3, s35, s1
	s_add_u32 s2, s12, s2
	v_add_u32_e32 v2, v1, v2
	s_addc_u32 s8, s13, s8
	s_ashr_i32 s12, s3, 31
	v_lshrrev_b32_e32 v2, s29, v2
	s_add_u32 s13, s2, s3
	v_mul_lo_u32 v2, v2, s30
	s_addc_u32 s8, s8, s12
	v_sub_u32_e32 v4, v1, v2
	s_ashr_i32 s18, s0, 31
	v_mov_b32_e32 v2, s0
	v_alignbit_b32 v2, s18, v2, 2
	v_mad_u64_u32 v[2:3], s[2:3], v2, v4, 0
	v_mov_b32_e32 v8, v3
	s_lshr_b32 s0, s18, 2
	v_mad_u64_u32 v[8:9], s[2:3], s0, v4, v[8:9]
	v_mov_b32_e32 v3, v8
	v_lshlrev_b64 v[2:3], 2, v[2:3]
	v_and_b32_e32 v0, 0x3ff, v0
	v_mov_b32_e32 v7, s8
	v_add_co_u32_e32 v2, vcc, s13, v2
	v_addc_co_u32_e32 v3, vcc, v7, v3, vcc
	v_lshlrev_b32_e32 v7, 3, v0
	v_lshlrev_b32_e32 v5, 1, v6
	s_ashr_i32 s12, s1, 31
	v_add_co_u32_e32 v7, vcc, v2, v7
	v_mov_b32_e32 v2, s1
	v_and_b32_e32 v18, 2, v5
	s_lshr_b32 s2, s12, 2
	v_alignbit_b32 v9, s12, v2, 2
	v_or_b32_e32 v5, 1, v5
	v_addc_co_u32_e32 v12, vcc, 0, v3, vcc
	v_mul_lo_u32 v8, s2, v18
	v_mad_u64_u32 v[2:3], s[0:1], v9, v18, 0
	v_and_b32_e32 v11, 3, v5
	v_or_b32_e32 v3, v3, v8
	v_mad_u64_u32 v[8:9], s[0:1], v9, v11, 0
	v_mov_b32_e32 v10, v9
	v_lshlrev_b64 v[2:3], 2, v[2:3]
	v_mad_u64_u32 v[10:11], s[0:1], s2, v11, v[10:11]
	v_add_co_u32_e32 v2, vcc, v7, v2
	v_mov_b32_e32 v9, v10
	v_addc_co_u32_e32 v3, vcc, v12, v3, vcc
	v_lshlrev_b64 v[8:9], 2, v[8:9]
	v_add_co_u32_e32 v8, vcc, v7, v8
	v_addc_co_u32_e32 v9, vcc, v12, v9, vcc
	global_load_dwordx2 v[10:11], v[2:3], off
	global_load_dwordx2 v[12:13], v[8:9], off
	s_load_dword s0, s[4:5], 0x40
	v_lshlrev_b32_e32 v2, 6, v6
	v_lshlrev_b32_e32 v3, 5, v5
	v_add_lshl_u32 v2, v2, v0, 2
	s_cmp_eq_u64 s[22:23], 0
	v_add_lshl_u32 v3, v3, v0, 2
	s_waitcnt vmcnt(1) lgkmcnt(0)
	v_fma_mixlo_f16 v5, v10, s0, 0
	s_waitcnt vmcnt(0)
	v_fma_mixlo_f16 v7, v12, s0, 0
	v_fma_mixhi_f16 v5, v11, s0, 0
	v_fma_mixhi_f16 v7, v13, s0, 0
	ds_write_b32 v2, v5 offset:4608
	ds_write_b32 v3, v7 offset:4608
	s_waitcnt lgkmcnt(0)
	s_barrier
	s_cbranch_scc1 .LBB27_4
; %bb.3:
	s_load_dword s0, s[4:5], 0xd0
	s_mov_b32 s1, 0
	s_waitcnt lgkmcnt(0)
	s_mul_i32 s0, s0, s33
	s_add_i32 s0, s0, s6
	s_lshl_b64 s[0:1], s[0:1], 2
	s_add_u32 s0, s22, s0
	s_addc_u32 s1, s23, s1
	s_load_dword s34, s[0:1], 0x0
.LBB27_4:
	s_lshl_b32 s22, s7, 5
	s_waitcnt lgkmcnt(0)
	s_cmp_lt_i32 s22, s34
	v_mbcnt_lo_u32_b32 v10, -1, 0
	s_cbranch_scc1 .LBB27_6
; %bb.5:
	v_mbcnt_hi_u32_b32 v20, -1, v10
	v_and_b32_e32 v2, 0x60, v20
	s_mov_b32 s0, 0xfeffffff
	s_mov_b32 s6, 0
	v_add_u32_e32 v21, 32, v2
	v_xor_b32_e32 v26, 16, v20
	v_xor_b32_e32 v25, 8, v20
	;; [unrolled: 1-line block ×5, first 2 shown]
	s_mov_b32 s1, s0
	s_mov_b64 s[2:3], 0
	s_branch .LBB27_7
.LBB27_6:
	s_mov_b64 s[2:3], -1
                                        ; implicit-def: $sgpr6
                                        ; implicit-def: $sgpr0_sgpr1
                                        ; implicit-def: $vgpr20
                                        ; implicit-def: $vgpr21
                                        ; implicit-def: $vgpr26
                                        ; implicit-def: $vgpr25
                                        ; implicit-def: $vgpr24
                                        ; implicit-def: $vgpr23
                                        ; implicit-def: $vgpr22
.LBB27_7:
	s_andn2_b64 vcc, exec, s[2:3]
	v_mov_b32_e32 v3, s6
	v_pk_mov_b32 v[16:17], s[0:1], s[0:1] op_sel:[0,1]
	v_mov_b32_e32 v5, s6
	v_mov_b32_e32 v2, s6
	;; [unrolled: 1-line block ×3, first 2 shown]
	s_cbranch_vccnz .LBB27_10
; %bb.8:
	s_sub_i32 s0, 0, s10
	s_mul_i32 s0, s0, s38
	s_mul_hi_u32 s0, s38, s0
	s_add_i32 s38, s38, s0
	s_load_dwordx2 s[12:13], s[4:5], 0x8c
	s_load_dwordx4 s[0:3], s[4:5], 0x98
	s_abs_i32 s6, s35
	s_mul_hi_u32 s8, s6, s38
	s_ashr_i32 s29, s35, 31
	s_waitcnt lgkmcnt(0)
	s_ashr_i32 s28, s12, 2
	s_ashr_i32 s23, s2, 2
	;; [unrolled: 1-line block ×4, first 2 shown]
	s_mul_i32 s1, s33, s1
	s_mul_hi_u32 s12, s33, s0
	s_add_i32 s1, s12, s1
	s_mul_i32 s12, s9, s0
	s_ashr_i32 s11, s11, 31
	s_add_i32 s1, s1, s12
	s_mul_i32 s0, s33, s0
	s_add_u32 s0, s14, s0
	s_mul_i32 s12, s8, s10
	s_addc_u32 s1, s15, s1
	s_sub_i32 s6, s6, s12
	s_xor_b32 s11, s29, s11
	s_add_i32 s12, s8, 1
	s_sub_i32 s14, s6, s10
	s_cmp_ge_u32 s6, s10
	s_cselect_b32 s8, s12, s8
	s_cselect_b32 s6, s14, s6
	s_add_i32 s12, s8, 1
	s_cmp_ge_u32 s6, s10
	s_cselect_b32 s6, s12, s8
	s_load_dwordx2 s[18:19], s[4:5], 0xa8
	s_xor_b32 s6, s6, s11
	s_sub_i32 s6, s6, s11
	s_mul_i32 s8, s6, s13
	s_ashr_i32 s10, s8, 31
	s_add_u32 s29, s0, s8
	s_addc_u32 s38, s1, s10
	s_waitcnt lgkmcnt(0)
	s_mul_i32 s0, s33, s19
	s_mul_hi_u32 s1, s33, s18
	s_add_i32 s0, s1, s0
	s_mul_i32 s9, s9, s18
	s_add_i32 s0, s0, s9
	s_mul_i32 s1, s33, s18
	s_add_u32 s1, s16, s1
	s_mul_i32 s6, s6, s3
	s_addc_u32 s0, s17, s0
	s_ashr_i32 s3, s6, 31
	v_lshrrev_b32_e32 v2, 3, v0
	v_lshlrev_b32_e32 v27, 2, v0
	s_add_u32 s39, s1, s6
	v_lshl_add_u32 v3, v6, 2, v2
	v_and_b32_e32 v2, 28, v27
	s_addc_u32 s40, s0, s3
	v_lshlrev_b32_e32 v7, 2, v2
	s_movk_i32 s0, 0x90
	v_mov_b32_e32 v5, 0x1200
	v_mad_u32_u24 v28, v3, s0, v7
	v_mul_lo_u32 v8, s28, v3
	v_lshl_add_u32 v31, v6, 8, v5
	v_mad_u64_u32 v[4:5], s[0:1], v4, s2, v[0:1]
	v_mul_lo_u32 v16, s23, v3
	v_lshl_add_u32 v12, s28, 4, v8
	v_mov_b32_e32 v5, 0x1600
	v_lshl_add_u32 v40, s23, 4, v16
	v_mbcnt_hi_u32_b32 v20, -1, v10
	v_mov_b32_e32 v19, 0
	v_ashrrev_i32_e32 v9, 31, v8
	v_ashrrev_i32_e32 v13, 31, v12
	v_lshl_add_u32 v32, v6, 7, v5
	v_lshl_or_b32 v33, v3, 7, v7
	v_ashrrev_i32_e32 v17, 31, v16
	v_ashrrev_i32_e32 v41, 31, v40
	s_add_u32 s18, s4, 0xd0
	v_mov_b32_e32 v14, 0xfeffffff
	v_lshlrev_b32_e32 v35, 2, v2
	v_and_b32_e32 v2, 0x60, v20
	v_add_u32_e32 v29, 0x900, v28
	v_mul_u32_u24_e32 v30, 0x90, v0
	v_add_u32_e32 v34, 0x800, v33
	s_addc_u32 s19, s5, 0
	v_lshlrev_b64 v[6:7], 2, v[8:9]
	v_lshlrev_b64 v[8:9], 2, v[12:13]
	v_mov_b32_e32 v36, s37
	v_add_u32_e32 v21, 32, v2
	v_xor_b32_e32 v26, 16, v20
	v_xor_b32_e32 v25, 8, v20
	;; [unrolled: 1-line block ×5, first 2 shown]
	s_mov_b32 s6, 0x40051340
	s_mov_b32 s37, 0x3fb8aa3b
	;; [unrolled: 1-line block ×4, first 2 shown]
	v_mov_b32_e32 v37, 0x7f800000
	v_add_u32_e32 v38, v32, v27
	v_lshlrev_b64 v[10:11], 2, v[16:17]
	v_lshlrev_b64 v[12:13], 2, v[40:41]
	v_add_u32_e32 v39, 0x400, v27
	v_add_u32_e32 v40, 0x800, v27
	;; [unrolled: 1-line block ×3, first 2 shown]
	v_mov_b32_e32 v5, 0
	v_mov_b32_e32 v15, v14
	;; [unrolled: 1-line block ×4, first 2 shown]
.LBB27_9:                               ; =>This Inner Loop Header: Depth=1
	s_mul_hi_i32 s13, s22, s28
	s_mul_i32 s12, s22, s28
	v_add_u32_e32 v42, s22, v4
	v_cmp_lt_i32_e64 s[0:1], v25, v21
	v_cmp_lt_i32_e64 s[2:3], v24, v21
	v_cndmask_b32_e64 v45, v20, v25, s[0:1]
	s_lshl_b64 s[0:1], s[12:13], 2
	v_ashrrev_i32_e32 v43, 31, v42
	v_cmp_lt_i32_e32 vcc, v26, v21
	v_cmp_lt_i32_e64 s[8:9], v22, v21
	v_cndmask_b32_e64 v46, v20, v24, s[2:3]
	s_add_u32 s2, s29, s0
	v_lshlrev_b64 v[42:43], 1, v[42:43]
	v_cmp_lt_i32_e64 s[10:11], v23, v21
	s_mul_hi_i32 s15, s22, s23
	s_mul_i32 s14, s22, s23
	v_cndmask_b32_e32 v44, v20, v26, vcc
	v_cndmask_b32_e64 v48, v20, v22, s[8:9]
	s_addc_u32 s8, s38, s1
	v_add_co_u32_e32 v54, vcc, s36, v42
	v_cndmask_b32_e64 v47, v20, v23, s[10:11]
	v_lshlrev_b32_e32 v62, 2, v44
	v_lshlrev_b32_e32 v63, 2, v45
	s_lshl_b64 s[10:11], s[14:15], 2
	v_add_co_u32_e64 v42, s[0:1], s2, v8
	v_add_co_u32_e64 v44, s[2:3], s2, v6
	v_addc_co_u32_e32 v55, vcc, v36, v43, vcc
	v_mov_b32_e32 v43, s8
	v_mov_b32_e32 v45, s8
	s_add_u32 s10, s39, s10
	v_add_co_u32_e32 v50, vcc, v42, v35
	v_add_co_u32_e64 v52, s[8:9], v44, v35
	v_addc_co_u32_e64 v42, s[2:3], v43, v7, s[2:3]
	v_addc_co_u32_e64 v43, s[0:1], v45, v9, s[0:1]
	v_add_co_u32_e64 v44, s[0:1], s10, v10
	v_add_co_u32_e64 v45, s[2:3], s10, v12
	v_addc_co_u32_e64 v53, s[8:9], 0, v42, s[8:9]
	v_addc_co_u32_e32 v51, vcc, 0, v43, vcc
	v_lshlrev_b32_e32 v64, 2, v46
	v_lshlrev_b32_e32 v65, 2, v47
	v_lshlrev_b32_e32 v66, 2, v48
	v_add_co_u32_e32 v56, vcc, v45, v35
	v_add_co_u32_e64 v58, s[8:9], v44, v35
	global_load_dwordx4 v[42:45], v[52:53], off
	global_load_dwordx4 v[46:49], v[50:51], off
	s_addc_u32 s11, s40, s11
	v_mov_b32_e32 v57, s11
	v_mov_b32_e32 v59, s11
	v_addc_co_u32_e64 v50, s[0:1], v57, v11, s[0:1]
	v_addc_co_u32_e64 v51, s[0:1], v59, v13, s[2:3]
	;; [unrolled: 1-line block ×3, first 2 shown]
	v_addc_co_u32_e32 v57, vcc, 0, v51, vcc
	v_mov_b32_e32 v16, 0
	v_mov_b32_e32 v17, 0
	v_max_f32_e32 v60, v15, v15
	v_max_f32_e32 v61, v14, v14
	s_waitcnt vmcnt(1)
	ds_write_b128 v28, v[42:45]
	s_waitcnt vmcnt(0)
	ds_write_b128 v29, v[46:49]
	s_waitcnt lgkmcnt(0)
	s_barrier
	ds_read_b128 v[42:45], v30
	ds_read_b128 v[46:49], v31
	ds_read_b128 v[50:53], v31 offset:128
	s_waitcnt lgkmcnt(1)
	;;#ASMSTART
	v_dot2_f32_f16 v16, v42, v46, v16
	;;#ASMEND
	;;#ASMSTART
	v_dot2_f32_f16 v16, v43, v47, v16
	;;#ASMEND
	;;#ASMSTART
	v_dot2_f32_f16 v16, v44, v48, v16
	;;#ASMEND
	;;#ASMSTART
	v_dot2_f32_f16 v16, v45, v49, v16
	;;#ASMEND
	s_waitcnt lgkmcnt(0)
	;;#ASMSTART
	v_dot2_f32_f16 v17, v42, v50, v17
	;;#ASMEND
	;;#ASMSTART
	v_dot2_f32_f16 v17, v43, v51, v17
	;;#ASMEND
	;;#ASMSTART
	v_dot2_f32_f16 v17, v44, v52, v17
	;;#ASMEND
	;;#ASMSTART
	v_dot2_f32_f16 v17, v45, v53, v17
	;;#ASMEND
	ds_read_b128 v[42:45], v30 offset:16
	ds_read_b128 v[46:49], v31 offset:16
	ds_read_b128 v[50:53], v31 offset:144
	s_waitcnt lgkmcnt(1)
	;;#ASMSTART
	v_dot2_f32_f16 v16, v42, v46, v16
	;;#ASMEND
	;;#ASMSTART
	v_dot2_f32_f16 v16, v43, v47, v16
	;;#ASMEND
	;;#ASMSTART
	v_dot2_f32_f16 v16, v44, v48, v16
	;;#ASMEND
	;;#ASMSTART
	v_dot2_f32_f16 v16, v45, v49, v16
	;;#ASMEND
	s_waitcnt lgkmcnt(0)
	;;#ASMSTART
	v_dot2_f32_f16 v17, v42, v50, v17
	;;#ASMEND
	;;#ASMSTART
	v_dot2_f32_f16 v17, v43, v51, v17
	;;#ASMEND
	;;#ASMSTART
	v_dot2_f32_f16 v17, v44, v52, v17
	;;#ASMEND
	;;#ASMSTART
	v_dot2_f32_f16 v17, v45, v53, v17
	;;#ASMEND
	ds_read_b128 v[42:45], v30 offset:32
	ds_read_b128 v[46:49], v31 offset:32
	ds_read_b128 v[50:53], v31 offset:160
	s_waitcnt lgkmcnt(1)
	;;#ASMSTART
	v_dot2_f32_f16 v16, v42, v46, v16
	;;#ASMEND
	;;#ASMSTART
	v_dot2_f32_f16 v16, v43, v47, v16
	;;#ASMEND
	;;#ASMSTART
	v_dot2_f32_f16 v16, v44, v48, v16
	;;#ASMEND
	;;#ASMSTART
	v_dot2_f32_f16 v16, v45, v49, v16
	;;#ASMEND
	s_waitcnt lgkmcnt(0)
	;;#ASMSTART
	v_dot2_f32_f16 v17, v42, v50, v17
	;;#ASMEND
	;;#ASMSTART
	v_dot2_f32_f16 v17, v43, v51, v17
	;;#ASMEND
	;;#ASMSTART
	v_dot2_f32_f16 v17, v44, v52, v17
	;;#ASMEND
	;;#ASMSTART
	v_dot2_f32_f16 v17, v45, v53, v17
	;;#ASMEND
	ds_read_b128 v[42:45], v30 offset:48
	ds_read_b128 v[46:49], v31 offset:48
	ds_read_b128 v[50:53], v31 offset:176
	s_waitcnt lgkmcnt(1)
	;;#ASMSTART
	v_dot2_f32_f16 v16, v42, v46, v16
	;;#ASMEND
	;;#ASMSTART
	v_dot2_f32_f16 v16, v43, v47, v16
	;;#ASMEND
	;;#ASMSTART
	v_dot2_f32_f16 v16, v44, v48, v16
	;;#ASMEND
	;;#ASMSTART
	v_dot2_f32_f16 v16, v45, v49, v16
	;;#ASMEND
	s_waitcnt lgkmcnt(0)
	;;#ASMSTART
	v_dot2_f32_f16 v17, v42, v50, v17
	;;#ASMEND
	;;#ASMSTART
	v_dot2_f32_f16 v17, v43, v51, v17
	;;#ASMEND
	;;#ASMSTART
	v_dot2_f32_f16 v17, v44, v52, v17
	;;#ASMEND
	;;#ASMSTART
	v_dot2_f32_f16 v17, v45, v53, v17
	;;#ASMEND
	ds_read_b128 v[42:45], v30 offset:64
	ds_read_b128 v[46:49], v31 offset:64
	ds_read_b128 v[50:53], v31 offset:192
	s_waitcnt lgkmcnt(1)
	;;#ASMSTART
	v_dot2_f32_f16 v16, v42, v46, v16
	;;#ASMEND
	;;#ASMSTART
	v_dot2_f32_f16 v16, v43, v47, v16
	;;#ASMEND
	;;#ASMSTART
	v_dot2_f32_f16 v16, v44, v48, v16
	;;#ASMEND
	;;#ASMSTART
	v_dot2_f32_f16 v16, v45, v49, v16
	;;#ASMEND
	s_waitcnt lgkmcnt(0)
	;;#ASMSTART
	v_dot2_f32_f16 v17, v42, v50, v17
	;;#ASMEND
	;;#ASMSTART
	v_dot2_f32_f16 v17, v43, v51, v17
	;;#ASMEND
	;;#ASMSTART
	v_dot2_f32_f16 v17, v44, v52, v17
	;;#ASMEND
	;;#ASMSTART
	v_dot2_f32_f16 v17, v45, v53, v17
	;;#ASMEND
	ds_read_b128 v[42:45], v30 offset:80
	ds_read_b128 v[46:49], v31 offset:80
	ds_read_b128 v[50:53], v31 offset:208
	s_waitcnt lgkmcnt(1)
	;;#ASMSTART
	v_dot2_f32_f16 v16, v42, v46, v16
	;;#ASMEND
	;;#ASMSTART
	v_dot2_f32_f16 v16, v43, v47, v16
	;;#ASMEND
	;;#ASMSTART
	v_dot2_f32_f16 v16, v44, v48, v16
	;;#ASMEND
	;;#ASMSTART
	v_dot2_f32_f16 v16, v45, v49, v16
	;;#ASMEND
	s_waitcnt lgkmcnt(0)
	;;#ASMSTART
	v_dot2_f32_f16 v17, v42, v50, v17
	;;#ASMEND
	;;#ASMSTART
	v_dot2_f32_f16 v17, v43, v51, v17
	;;#ASMEND
	;;#ASMSTART
	v_dot2_f32_f16 v17, v44, v52, v17
	;;#ASMEND
	;;#ASMSTART
	v_dot2_f32_f16 v17, v45, v53, v17
	;;#ASMEND
	ds_read_b128 v[42:45], v30 offset:96
	ds_read_b128 v[46:49], v31 offset:96
	ds_read_b128 v[50:53], v31 offset:224
	s_waitcnt lgkmcnt(1)
	;;#ASMSTART
	v_dot2_f32_f16 v16, v42, v46, v16
	;;#ASMEND
	;;#ASMSTART
	v_dot2_f32_f16 v16, v43, v47, v16
	;;#ASMEND
	;;#ASMSTART
	v_dot2_f32_f16 v16, v44, v48, v16
	;;#ASMEND
	;;#ASMSTART
	v_dot2_f32_f16 v16, v45, v49, v16
	;;#ASMEND
	s_waitcnt lgkmcnt(0)
	;;#ASMSTART
	v_dot2_f32_f16 v17, v42, v50, v17
	;;#ASMEND
	;;#ASMSTART
	v_dot2_f32_f16 v17, v43, v51, v17
	;;#ASMEND
	;;#ASMSTART
	v_dot2_f32_f16 v17, v44, v52, v17
	;;#ASMEND
	;;#ASMSTART
	v_dot2_f32_f16 v17, v45, v53, v17
	;;#ASMEND
	ds_read_b128 v[42:45], v30 offset:112
	ds_read_b128 v[46:49], v31 offset:112
	ds_read_b128 v[50:53], v31 offset:240
	s_waitcnt lgkmcnt(1)
	;;#ASMSTART
	v_dot2_f32_f16 v16, v42, v46, v16
	;;#ASMEND
	;;#ASMSTART
	v_dot2_f32_f16 v16, v43, v47, v16
	;;#ASMEND
	;; [unrolled: 3-line block ×4, first 2 shown]
	s_waitcnt lgkmcnt(0)
	;;#ASMSTART
	v_dot2_f32_f16 v17, v42, v50, v17
	;;#ASMEND
	;;#ASMSTART
	v_dot2_f32_f16 v17, v43, v51, v17
	;;#ASMEND
	;; [unrolled: 3-line block ×4, first 2 shown]
	flat_load_ushort v50, v[54:55]
	s_waitcnt lgkmcnt(0)
	s_barrier
	global_load_dwordx4 v[42:45], v[58:59], off
	global_load_dwordx4 v[46:49], v[56:57], off
	s_waitcnt vmcnt(0)
	v_cvt_f32_f16_e32 v50, v50
	v_pk_add_f32 v[50:51], v[16:17], v[50:51] op_sel_hi:[1,0]
	v_pk_add_f32 v[16:17], v[50:51], s[6:7] op_sel_hi:[1,0]
	v_max_f32_e32 v17, v60, v17
	v_max_f32_e32 v16, v61, v16
	ds_bpermute_b32 v52, v62, v17
	ds_bpermute_b32 v53, v62, v16
	s_waitcnt lgkmcnt(1)
	v_max_f32_e32 v52, v52, v52
	s_waitcnt lgkmcnt(0)
	v_max_f32_e32 v53, v53, v53
	v_max_f32_e32 v17, v17, v52
	v_max_f32_e32 v16, v16, v53
	ds_bpermute_b32 v52, v63, v17
	ds_bpermute_b32 v53, v63, v16
	s_waitcnt lgkmcnt(1)
	v_max_f32_e32 v52, v52, v52
	s_waitcnt lgkmcnt(0)
	v_max_f32_e32 v53, v53, v53
	;; [unrolled: 8-line block ×5, first 2 shown]
	v_max_f32_e32 v17, v17, v52
	v_max_f32_e32 v16, v16, v53
	v_pk_add_f32 v[50:51], v[50:51], v[16:17] neg_lo:[0,1] neg_hi:[0,1]
	v_mul_f32_e32 v54, 0x3fb8aa3b, v51
	v_mul_f32_e32 v55, 0x3fb8aa3b, v50
	v_fma_f32 v58, v51, s37, -v54
	v_rndne_f32_e32 v59, v54
	v_fma_f32 v60, v50, s37, -v55
	v_rndne_f32_e32 v61, v55
	v_pk_add_f32 v[52:53], v[14:15], v[16:17] neg_lo:[0,1] neg_hi:[0,1]
	v_cmp_ngt_f32_e32 vcc, s41, v50
	v_cmp_ngt_f32_e64 s[8:9], s41, v51
	v_cmp_nlt_f32_e64 s[10:11], s42, v50
	v_cmp_nlt_f32_e64 s[16:17], s42, v51
	v_fmac_f32_e32 v58, 0x32a5705f, v51
	v_sub_f32_e32 v51, v54, v59
	v_fmac_f32_e32 v60, 0x32a5705f, v50
	v_sub_f32_e32 v50, v55, v61
	v_mul_f32_e32 v56, 0x3fb8aa3b, v53
	v_mul_f32_e32 v57, 0x3fb8aa3b, v52
	v_add_f32_e32 v51, v51, v58
	v_add_f32_e32 v50, v50, v60
	v_fma_f32 v62, v53, s37, -v56
	v_rndne_f32_e32 v63, v56
	v_fma_f32 v64, v52, s37, -v57
	v_rndne_f32_e32 v65, v57
	v_cvt_i32_f32_e32 v54, v59
	v_cvt_i32_f32_e32 v55, v61
	v_exp_f32_e32 v51, v51
	v_exp_f32_e32 v50, v50
	v_cmp_ngt_f32_e64 s[0:1], s41, v53
	v_cmp_ngt_f32_e64 s[2:3], s41, v52
	v_cmp_nlt_f32_e64 s[12:13], s42, v53
	v_cmp_nlt_f32_e64 s[14:15], s42, v52
	v_fmac_f32_e32 v62, 0x32a5705f, v53
	v_sub_f32_e32 v53, v56, v63
	v_fmac_f32_e32 v64, 0x32a5705f, v52
	v_sub_f32_e32 v52, v57, v65
	v_add_f32_e32 v53, v53, v62
	v_add_f32_e32 v52, v52, v64
	v_cvt_i32_f32_e32 v56, v63
	v_cvt_i32_f32_e32 v57, v65
	v_exp_f32_e32 v53, v53
	v_exp_f32_e32 v52, v52
	v_ldexp_f32 v51, v51, v54
	v_ldexp_f32 v50, v50, v55
	v_cndmask_b32_e64 v51, 0, v51, s[8:9]
	v_cndmask_b32_e32 v50, 0, v50, vcc
	v_cndmask_b32_e64 v51, v37, v51, s[16:17]
	v_cndmask_b32_e64 v50, v37, v50, s[10:11]
	v_ldexp_f32 v53, v53, v56
	v_ldexp_f32 v52, v52, v57
	v_cvt_f16_f32_e32 v54, v51
	v_cvt_f16_f32_e32 v55, v50
	v_cndmask_b32_e64 v53, 0, v53, s[0:1]
	v_cndmask_b32_e64 v52, 0, v52, s[2:3]
	;; [unrolled: 1-line block ×4, first 2 shown]
	v_cvt_f16_f32_e32 v64, v52
	v_cvt_f16_f32_e32 v65, v53
	v_pk_fma_f32 v[2:3], v[2:3], v[52:53], v[50:51]
	v_pack_b32_f16 v50, v55, v54
	ds_write_b32 v38, v50
	ds_write_b128 v33, v[42:45]
	ds_write_b128 v34, v[46:49]
	s_waitcnt lgkmcnt(0)
	s_barrier
	ds_read2_b32 v[62:63], v27 offset1:32
	ds_read_b128 v[42:45], v32
	ds_read_b128 v[46:49], v32 offset:16
	ds_read_b128 v[50:53], v32 offset:32
	;; [unrolled: 1-line block ×3, first 2 shown]
	ds_read2_b32 v[66:67], v27 offset0:64 offset1:96
	ds_read2_b32 v[68:69], v27 offset0:128 offset1:160
	;; [unrolled: 1-line block ×3, first 2 shown]
	ds_read2_b32 v[72:73], v39 offset1:32
	ds_read2_b32 v[74:75], v39 offset0:64 offset1:96
	ds_read2_b32 v[76:77], v39 offset0:128 offset1:160
	;; [unrolled: 1-line block ×3, first 2 shown]
	ds_read2_b32 v[80:81], v40 offset1:32
	ds_read2_b32 v[82:83], v40 offset0:64 offset1:96
	ds_read2_b32 v[84:85], v40 offset0:128 offset1:160
	ds_read_b128 v[58:61], v32 offset:64
	s_waitcnt lgkmcnt(14)
	v_pk_mul_f16 v86, v62, v42 op_sel_hi:[1,0]
	v_pk_mul_f16 v42, v62, v42 op_sel:[0,1]
	v_pk_fma_f16 v5, v64, v5, v86 op_sel_hi:[0,1,1]
	v_pk_fma_f16 v19, v19, v65, v42 op_sel_hi:[1,0,1]
	;; [unrolled: 1-line block ×3, first 2 shown]
	v_pk_fma_f16 v19, v63, v43, v19 op_sel:[0,1,0]
	s_waitcnt lgkmcnt(10)
	v_pk_fma_f16 v5, v66, v44, v5 op_sel_hi:[1,0,1]
	v_pk_fma_f16 v19, v66, v44, v19 op_sel:[0,1,0]
	v_pk_fma_f16 v5, v67, v45, v5 op_sel_hi:[1,0,1]
	v_pk_fma_f16 v19, v67, v45, v19 op_sel:[0,1,0]
	s_waitcnt lgkmcnt(9)
	v_pk_fma_f16 v5, v68, v46, v5 op_sel_hi:[1,0,1]
	v_pk_fma_f16 v19, v68, v46, v19 op_sel:[0,1,0]
	v_pk_fma_f16 v5, v69, v47, v5 op_sel_hi:[1,0,1]
	;; [unrolled: 5-line block ×6, first 2 shown]
	v_pk_fma_f16 v19, v77, v55, v19 op_sel:[0,1,0]
	s_waitcnt lgkmcnt(4)
	v_pk_fma_f16 v5, v78, v56, v5 op_sel_hi:[1,0,1]
	v_pk_fma_f16 v19, v78, v56, v19 op_sel:[0,1,0]
	ds_read_b128 v[62:65], v32 offset:80
	v_pk_fma_f16 v5, v79, v57, v5 op_sel_hi:[1,0,1]
	v_pk_fma_f16 v19, v79, v57, v19 op_sel:[0,1,0]
	s_waitcnt lgkmcnt(1)
	v_pk_fma_f16 v5, v80, v58, v5 op_sel_hi:[1,0,1]
	v_pk_fma_f16 v19, v80, v58, v19 op_sel:[0,1,0]
	v_pk_fma_f16 v5, v81, v59, v5 op_sel_hi:[1,0,1]
	v_pk_fma_f16 v19, v81, v59, v19 op_sel:[0,1,0]
	;; [unrolled: 2-line block ×3, first 2 shown]
	ds_read2_b32 v[66:67], v40 offset0:192 offset1:224
	ds_read2_b32 v[86:87], v41 offset1:32
	ds_read2_b32 v[88:89], v41 offset0:64 offset1:96
	ds_read_b128 v[42:45], v32 offset:96
	ds_read_b128 v[46:49], v32 offset:112
	v_pk_fma_f16 v5, v83, v61, v5 op_sel_hi:[1,0,1]
	v_pk_fma_f16 v19, v83, v61, v19 op_sel:[0,1,0]
	s_waitcnt lgkmcnt(5)
	v_pk_fma_f16 v5, v84, v62, v5 op_sel_hi:[1,0,1]
	v_pk_fma_f16 v19, v84, v62, v19 op_sel:[0,1,0]
	v_pk_fma_f16 v5, v85, v63, v5 op_sel_hi:[1,0,1]
	v_pk_fma_f16 v19, v85, v63, v19 op_sel:[0,1,0]
	s_waitcnt lgkmcnt(4)
	v_pk_fma_f16 v5, v66, v64, v5 op_sel_hi:[1,0,1]
	v_pk_fma_f16 v19, v66, v64, v19 op_sel:[0,1,0]
	ds_read2_b32 v[68:69], v41 offset0:128 offset1:160
	v_pk_fma_f16 v5, v67, v65, v5 op_sel_hi:[1,0,1]
	v_pk_fma_f16 v19, v67, v65, v19 op_sel:[0,1,0]
	ds_read2_b32 v[50:51], v41 offset0:192 offset1:224
	s_waitcnt lgkmcnt(0)
	s_barrier
	s_load_dword s0, s[18:19], 0x4
	v_pk_fma_f16 v5, v86, v42, v5 op_sel_hi:[1,0,1]
	v_pk_fma_f16 v19, v86, v42, v19 op_sel:[0,1,0]
	v_pk_fma_f16 v5, v87, v43, v5 op_sel_hi:[1,0,1]
	v_pk_fma_f16 v19, v87, v43, v19 op_sel:[0,1,0]
	;; [unrolled: 2-line block ×5, first 2 shown]
	s_waitcnt lgkmcnt(0)
	s_lshl_b32 s0, s0, 5
	v_pk_fma_f16 v5, v69, v47, v5 op_sel_hi:[1,0,1]
	v_pk_fma_f16 v19, v69, v47, v19 op_sel:[0,1,0]
	s_add_i32 s22, s0, s22
	v_pk_fma_f16 v5, v50, v48, v5 op_sel_hi:[1,0,1]
	v_pk_fma_f16 v19, v50, v48, v19 op_sel:[0,1,0]
	v_mov_b32_e32 v14, v16
	v_mov_b32_e32 v15, v17
	s_cmp_ge_i32 s22, s34
	v_pk_fma_f16 v5, v51, v49, v5 op_sel_hi:[1,0,1]
	v_pk_fma_f16 v19, v51, v49, v19 op_sel:[0,1,0]
	s_cbranch_scc0 .LBB27_9
.LBB27_10:
	v_cmp_lt_i32_e32 vcc, v26, v21
	v_cndmask_b32_e32 v4, v20, v26, vcc
	v_lshlrev_b32_e32 v4, 2, v4
	ds_bpermute_b32 v8, v4, v2
	ds_bpermute_b32 v9, v4, v3
	v_cmp_lt_i32_e32 vcc, v25, v21
	v_cndmask_b32_e32 v4, v20, v25, vcc
	v_lshlrev_b32_e32 v4, 2, v4
	v_cmp_lt_i32_e32 vcc, v24, v21
	s_waitcnt lgkmcnt(0)
	v_pk_add_f32 v[2:3], v[2:3], v[8:9]
	ds_bpermute_b32 v8, v4, v2
	ds_bpermute_b32 v9, v4, v3
	v_cndmask_b32_e32 v4, v20, v24, vcc
	v_lshlrev_b32_e32 v4, 2, v4
	v_cmp_lt_i32_e32 vcc, v23, v21
	s_cmp_lg_u64 s[20:21], 0
	s_waitcnt lgkmcnt(0)
	v_pk_add_f32 v[2:3], v[2:3], v[8:9]
	ds_bpermute_b32 v8, v4, v2
	ds_bpermute_b32 v9, v4, v3
	v_cndmask_b32_e32 v4, v20, v23, vcc
	v_lshlrev_b32_e32 v4, 2, v4
	v_cmp_lt_i32_e32 vcc, v22, v21
	s_cselect_b64 s[0:1], -1, 0
	s_waitcnt lgkmcnt(0)
	v_pk_add_f32 v[2:3], v[2:3], v[8:9]
	ds_bpermute_b32 v8, v4, v2
	ds_bpermute_b32 v9, v4, v3
	v_cndmask_b32_e32 v4, v20, v22, vcc
	v_lshlrev_b32_e32 v4, 2, v4
	s_cmp_eq_u32 s7, 0
	s_cselect_b64 s[2:3], -1, 0
	s_waitcnt lgkmcnt(0)
	v_pk_add_f32 v[2:3], v[2:3], v[8:9]
	ds_bpermute_b32 v8, v4, v2
	ds_bpermute_b32 v9, v4, v3
	s_and_b64 s[0:1], s[2:3], s[0:1]
	v_lshlrev_b32_e32 v6, 1, v0
	s_and_b64 vcc, exec, s[0:1]
	s_waitcnt lgkmcnt(0)
	v_pk_add_f32 v[2:3], v[2:3], v[8:9]
	s_cbranch_vccz .LBB27_12
; %bb.11:
	v_add_u32_e32 v8, s35, v18
	v_ashrrev_i32_e32 v9, 31, v8
	v_lshlrev_b64 v[8:9], 2, v[8:9]
	v_mov_b32_e32 v4, s21
	v_add_co_u32_e32 v8, vcc, s20, v8
	v_addc_co_u32_e32 v9, vcc, v4, v9, vcc
	global_load_dwordx2 v[8:9], v[8:9], off
	v_max_f32_e32 v4, v17, v17
	v_max_f32_e32 v7, v16, v16
	s_mov_b32 s0, 0x3fb8aa3b
	s_mov_b32 s1, 0xc2ce8ed0
	;; [unrolled: 1-line block ×3, first 2 shown]
	v_mov_b32_e32 v14, 0x7f800000
	s_waitcnt vmcnt(0)
	v_max_f32_e32 v10, v9, v9
	v_max_f32_e32 v12, v8, v8
	v_max_f32_e32 v11, v4, v10
	v_max_f32_e32 v10, v7, v12
	v_pk_add_f32 v[12:13], v[16:17], v[10:11] neg_lo:[0,1] neg_hi:[0,1]
	v_mul_f32_e32 v4, 0x3fb8aa3b, v13
	v_pk_add_f32 v[8:9], v[8:9], v[10:11] neg_lo:[0,1] neg_hi:[0,1]
	v_mul_f32_e32 v7, 0x3fb8aa3b, v12
	v_fma_f32 v17, v13, s0, -v4
	v_rndne_f32_e32 v20, v4
	v_mul_f32_e32 v15, 0x3fb8aa3b, v9
	v_fma_f32 v21, v12, s0, -v7
	v_rndne_f32_e32 v22, v7
	v_fmac_f32_e32 v17, 0x32a5705f, v13
	v_sub_f32_e32 v4, v4, v20
	v_mul_f32_e32 v16, 0x3fb8aa3b, v8
	v_fma_f32 v23, v9, s0, -v15
	v_rndne_f32_e32 v24, v15
	v_fmac_f32_e32 v21, 0x32a5705f, v12
	v_sub_f32_e32 v7, v7, v22
	v_add_f32_e32 v4, v4, v17
	v_fma_f32 v25, v8, s0, -v16
	v_rndne_f32_e32 v26, v16
	v_cvt_i32_f32_e32 v20, v20
	v_fmac_f32_e32 v23, 0x32a5705f, v9
	v_sub_f32_e32 v15, v15, v24
	v_add_f32_e32 v7, v7, v21
	v_exp_f32_e32 v4, v4
	v_cvt_i32_f32_e32 v22, v22
	v_fmac_f32_e32 v25, 0x32a5705f, v8
	v_sub_f32_e32 v16, v16, v26
	v_add_f32_e32 v15, v15, v23
	v_exp_f32_e32 v7, v7
	v_cvt_i32_f32_e32 v24, v24
	v_add_f32_e32 v16, v16, v25
	v_exp_f32_e32 v15, v15
	v_cvt_i32_f32_e32 v26, v26
	v_exp_f32_e32 v16, v16
	v_ldexp_f32 v4, v4, v20
	v_cmp_ngt_f32_e32 vcc, s1, v13
	v_ldexp_f32 v7, v7, v22
	v_cndmask_b32_e32 v4, 0, v4, vcc
	v_cmp_ngt_f32_e32 vcc, s1, v12
	v_ldexp_f32 v15, v15, v24
	v_cndmask_b32_e32 v7, 0, v7, vcc
	;; [unrolled: 3-line block ×3, first 2 shown]
	v_cmp_ngt_f32_e32 vcc, s1, v8
	v_cndmask_b32_e32 v16, 0, v16, vcc
	v_cmp_nlt_f32_e32 vcc, s2, v13
	v_cndmask_b32_e32 v13, v14, v4, vcc
	v_cmp_nlt_f32_e32 vcc, s2, v12
	v_cndmask_b32_e32 v12, v14, v7, vcc
	v_cvt_f16_f32_e32 v4, v12
	v_cvt_f16_f32_e32 v7, v13
	v_cmp_nlt_f32_e32 vcc, s2, v9
	v_cndmask_b32_e32 v9, v14, v15, vcc
	v_cmp_nlt_f32_e32 vcc, s2, v8
	v_cndmask_b32_e32 v8, v14, v16, vcc
	v_pk_fma_f32 v[2:3], v[2:3], v[12:13], v[8:9]
	v_pk_mul_f16 v5, v5, v4 op_sel_hi:[1,0]
	v_pk_mul_f16 v19, v19, v7 op_sel_hi:[1,0]
	v_pk_mov_b32 v[16:17], v[10:11], v[10:11] op_sel:[0,1]
.LBB27_12:
	v_cmp_gt_i32_e32 vcc, s30, v1
	s_and_saveexec_b64 s[0:1], vcc
	s_cbranch_execz .LBB27_21
; %bb.13:
	s_load_dword s6, s[4:5], 0xd4
	v_mov_b32_e32 v4, 1.0
	s_waitcnt lgkmcnt(0)
	s_cmp_lg_u32 s6, 1
	s_cselect_b64 s[0:1], -1, 0
	s_cmp_eq_u32 s6, 1
	s_cselect_b64 s[2:3], -1, 0
	s_and_b64 vcc, exec, s[0:1]
	s_cbranch_vccnz .LBB27_15
; %bb.14:
	v_div_scale_f32 v4, s[4:5], v2, v2, 1.0
	v_rcp_f32_e32 v7, v4
	v_div_scale_f32 v8, vcc, 1.0, v2, 1.0
	v_fma_f32 v9, -v4, v7, 1.0
	v_fmac_f32_e32 v7, v9, v7
	v_mul_f32_e32 v9, v8, v7
	v_fma_f32 v10, -v4, v9, v8
	v_fmac_f32_e32 v9, v10, v7
	v_fma_f32 v4, -v4, v9, v8
	v_div_fmas_f32 v4, v4, v7, v9
	v_div_fixup_f32 v4, v4, v2, 1.0
.LBB27_15:
	s_mul_i32 s33, s33, s30
	v_add_u32_e32 v1, s33, v1
	v_mul_lo_u32 v1, v1, s31
	v_add3_u32 v1, s35, v18, v1
	v_cmp_eq_u32_e32 vcc, 0, v0
	v_mul_lo_u32 v0, s6, v1
	v_add_u32_e32 v0, s7, v0
	v_cvt_f32_f16_sdwa v11, v5 dst_sel:DWORD dst_unused:UNUSED_PAD src0_sel:WORD_1
	v_cvt_f32_f16_e32 v10, v5
	v_lshl_add_u32 v8, v0, 6, v6
	v_mov_b32_e32 v9, 0
	v_lshlrev_b64 v[8:9], 2, v[8:9]
	s_and_b64 s[0:1], vcc, s[0:1]
	v_mov_b32_e32 v1, s25
	v_add_co_u32_e32 v8, vcc, s24, v8
	v_addc_co_u32_e32 v9, vcc, v1, v9, vcc
	v_pk_mul_f32 v[4:5], v[4:5], v[10:11] op_sel_hi:[0,1]
	global_store_dwordx2 v[8:9], v[4:5], off
	s_and_saveexec_b64 s[4:5], s[0:1]
	s_cbranch_execz .LBB27_17
; %bb.16:
	v_ashrrev_i32_e32 v1, 31, v0
	v_lshlrev_b64 v[4:5], 3, v[0:1]
	v_mov_b32_e32 v1, s27
	v_add_co_u32_e32 v4, vcc, s26, v4
	v_addc_co_u32_e32 v5, vcc, v1, v5, vcc
	v_mov_b32_e32 v8, v16
	v_mov_b32_e32 v9, v2
	global_store_dwordx2 v[4:5], v[8:9], off
.LBB27_17:
	s_or_b64 exec, exec, s[4:5]
	s_andn2_b64 vcc, exec, s[2:3]
	v_mov_b32_e32 v2, 1.0
	s_cbranch_vccnz .LBB27_19
; %bb.18:
	v_div_scale_f32 v1, s[2:3], v3, v3, 1.0
	v_rcp_f32_e32 v2, v1
	v_div_scale_f32 v4, vcc, 1.0, v3, 1.0
	v_fma_f32 v5, -v1, v2, 1.0
	v_fmac_f32_e32 v2, v5, v2
	v_mul_f32_e32 v5, v4, v2
	v_fma_f32 v7, -v1, v5, v4
	v_fmac_f32_e32 v5, v7, v2
	v_fma_f32 v1, -v1, v5, v4
	v_div_fmas_f32 v1, v1, v2, v5
	v_div_fixup_f32 v2, v1, v3, 1.0
.LBB27_19:
	v_add_u32_e32 v0, s6, v0
	v_lshl_add_u32 v4, v0, 6, v6
	v_cvt_f32_f16_sdwa v7, v19 dst_sel:DWORD dst_unused:UNUSED_PAD src0_sel:WORD_1
	v_cvt_f32_f16_e32 v6, v19
	v_mov_b32_e32 v5, 0
	v_lshlrev_b64 v[4:5], 2, v[4:5]
	v_mov_b32_e32 v1, s25
	v_add_co_u32_e32 v4, vcc, s24, v4
	v_addc_co_u32_e32 v5, vcc, v1, v5, vcc
	v_pk_mul_f32 v[6:7], v[2:3], v[6:7] op_sel_hi:[0,1]
	global_store_dwordx2 v[4:5], v[6:7], off
	s_and_b64 exec, exec, s[0:1]
	s_cbranch_execz .LBB27_21
; %bb.20:
	v_ashrrev_i32_e32 v1, 31, v0
	v_lshlrev_b64 v[0:1], 3, v[0:1]
	v_mov_b32_e32 v2, s27
	v_add_co_u32_e32 v0, vcc, s26, v0
	v_addc_co_u32_e32 v1, vcc, v2, v1, vcc
	v_mov_b32_e32 v2, v17
	global_store_dwordx2 v[0:1], v[2:3], off
.LBB27_21:
	s_endpgm
	.section	.rodata,"a",@progbits
	.p2align	6, 0x0
	.amdhsa_kernel _ZL15flash_attn_tileILi64ELi64ELi2ELi4ELb0EEvPKcS1_S1_S1_S1_PKiPfP15HIP_vector_typeIfLj2EEffffjfiS5_IjLj3EEiiiiiiiiiiiliiliiiiil
		.amdhsa_group_segment_fixed_size 6144
		.amdhsa_private_segment_fixed_size 0
		.amdhsa_kernarg_size 464
		.amdhsa_user_sgpr_count 6
		.amdhsa_user_sgpr_private_segment_buffer 1
		.amdhsa_user_sgpr_dispatch_ptr 0
		.amdhsa_user_sgpr_queue_ptr 0
		.amdhsa_user_sgpr_kernarg_segment_ptr 1
		.amdhsa_user_sgpr_dispatch_id 0
		.amdhsa_user_sgpr_flat_scratch_init 0
		.amdhsa_user_sgpr_kernarg_preload_length 0
		.amdhsa_user_sgpr_kernarg_preload_offset 0
		.amdhsa_user_sgpr_private_segment_size 0
		.amdhsa_uses_dynamic_stack 0
		.amdhsa_system_sgpr_private_segment_wavefront_offset 0
		.amdhsa_system_sgpr_workgroup_id_x 1
		.amdhsa_system_sgpr_workgroup_id_y 1
		.amdhsa_system_sgpr_workgroup_id_z 1
		.amdhsa_system_sgpr_workgroup_info 0
		.amdhsa_system_vgpr_workitem_id 1
		.amdhsa_next_free_vgpr 90
		.amdhsa_next_free_sgpr 43
		.amdhsa_accum_offset 92
		.amdhsa_reserve_vcc 1
		.amdhsa_reserve_flat_scratch 0
		.amdhsa_float_round_mode_32 0
		.amdhsa_float_round_mode_16_64 0
		.amdhsa_float_denorm_mode_32 3
		.amdhsa_float_denorm_mode_16_64 3
		.amdhsa_dx10_clamp 1
		.amdhsa_ieee_mode 1
		.amdhsa_fp16_overflow 0
		.amdhsa_tg_split 0
		.amdhsa_exception_fp_ieee_invalid_op 0
		.amdhsa_exception_fp_denorm_src 0
		.amdhsa_exception_fp_ieee_div_zero 0
		.amdhsa_exception_fp_ieee_overflow 0
		.amdhsa_exception_fp_ieee_underflow 0
		.amdhsa_exception_fp_ieee_inexact 0
		.amdhsa_exception_int_div_zero 0
	.end_amdhsa_kernel
	.section	.text._ZL15flash_attn_tileILi64ELi64ELi2ELi4ELb0EEvPKcS1_S1_S1_S1_PKiPfP15HIP_vector_typeIfLj2EEffffjfiS5_IjLj3EEiiiiiiiiiiiliiliiiiil,"axG",@progbits,_ZL15flash_attn_tileILi64ELi64ELi2ELi4ELb0EEvPKcS1_S1_S1_S1_PKiPfP15HIP_vector_typeIfLj2EEffffjfiS5_IjLj3EEiiiiiiiiiiiliiliiiiil,comdat
.Lfunc_end27:
	.size	_ZL15flash_attn_tileILi64ELi64ELi2ELi4ELb0EEvPKcS1_S1_S1_S1_PKiPfP15HIP_vector_typeIfLj2EEffffjfiS5_IjLj3EEiiiiiiiiiiiliiliiiiil, .Lfunc_end27-_ZL15flash_attn_tileILi64ELi64ELi2ELi4ELb0EEvPKcS1_S1_S1_S1_PKiPfP15HIP_vector_typeIfLj2EEffffjfiS5_IjLj3EEiiiiiiiiiiiliiliiiiil
                                        ; -- End function
	.section	.AMDGPU.csdata,"",@progbits
; Kernel info:
; codeLenInByte = 5320
; NumSgprs: 47
; NumVgprs: 90
; NumAgprs: 0
; TotalNumVgprs: 90
; ScratchSize: 0
; MemoryBound: 0
; FloatMode: 240
; IeeeMode: 1
; LDSByteSize: 6144 bytes/workgroup (compile time only)
; SGPRBlocks: 5
; VGPRBlocks: 11
; NumSGPRsForWavesPerEU: 47
; NumVGPRsForWavesPerEU: 90
; AccumOffset: 92
; Occupancy: 5
; WaveLimiterHint : 1
; COMPUTE_PGM_RSRC2:SCRATCH_EN: 0
; COMPUTE_PGM_RSRC2:USER_SGPR: 6
; COMPUTE_PGM_RSRC2:TRAP_HANDLER: 0
; COMPUTE_PGM_RSRC2:TGID_X_EN: 1
; COMPUTE_PGM_RSRC2:TGID_Y_EN: 1
; COMPUTE_PGM_RSRC2:TGID_Z_EN: 1
; COMPUTE_PGM_RSRC2:TIDIG_COMP_CNT: 1
; COMPUTE_PGM_RSRC3_GFX90A:ACCUM_OFFSET: 22
; COMPUTE_PGM_RSRC3_GFX90A:TG_SPLIT: 0
	.section	.text._ZL33flash_attn_stream_k_fixup_uniformILi64ELi2ELi4EEvPfPK15HIP_vector_typeIfLj2EEiiiiiiS1_IjLj3EES5_S5_,"axG",@progbits,_ZL33flash_attn_stream_k_fixup_uniformILi64ELi2ELi4EEvPfPK15HIP_vector_typeIfLj2EEiiiiiiS1_IjLj3EES5_S5_,comdat
	.globl	_ZL33flash_attn_stream_k_fixup_uniformILi64ELi2ELi4EEvPfPK15HIP_vector_typeIfLj2EEiiiiiiS1_IjLj3EES5_S5_ ; -- Begin function _ZL33flash_attn_stream_k_fixup_uniformILi64ELi2ELi4EEvPfPK15HIP_vector_typeIfLj2EEiiiiiiS1_IjLj3EES5_S5_
	.p2align	8
	.type	_ZL33flash_attn_stream_k_fixup_uniformILi64ELi2ELi4EEvPfPK15HIP_vector_typeIfLj2EEiiiiiiS1_IjLj3EES5_S5_,@function
_ZL33flash_attn_stream_k_fixup_uniformILi64ELi2ELi4EEvPfPK15HIP_vector_typeIfLj2EEiiiiiiS1_IjLj3EES5_S5_: ; @_ZL33flash_attn_stream_k_fixup_uniformILi64ELi2ELi4EEvPfPK15HIP_vector_typeIfLj2EEiiiiiiS1_IjLj3EES5_S5_
; %bb.0:
	s_load_dwordx8 s[12:19], s[4:5], 0x1c
	s_load_dwordx2 s[10:11], s[4:5], 0x10
	s_load_dwordx4 s[0:3], s[4:5], 0x3c
	s_waitcnt lgkmcnt(0)
	s_mul_hi_u32 s9, s15, s6
	s_add_i32 s9, s6, s9
	s_lshr_b32 s9, s9, s16
	s_mul_i32 s15, s9, s17
	s_sub_i32 s15, s6, s15
	s_mul_hi_u32 s16, s15, s18
	s_add_i32 s16, s15, s16
	s_lshr_b32 s16, s16, s19
	s_mul_i32 s0, s16, s0
	s_sub_i32 s0, s15, s0
	;; [unrolled: 5-line block ×3, first 2 shown]
	s_lshl_b32 s0, s17, 1
	s_lshl_b32 s15, s1, 2
	s_add_i32 s0, s0, s7
	s_cmp_lt_i32 s0, s10
	s_cselect_b64 s[0:1], -1, 0
	s_add_i32 s2, s15, s8
	s_cmp_lt_i32 s2, s13
	s_cselect_b64 s[2:3], -1, 0
	s_and_b64 s[0:1], s[0:1], s[2:3]
	s_andn2_b64 vcc, exec, s[0:1]
	s_cbranch_vccnz .LBB28_6
; %bb.1:
	s_load_dwordx4 s[0:3], s[4:5], 0x0
	s_mul_i32 s4, s9, s10
	s_add_i32 s4, s4, s7
	s_mul_i32 s4, s4, s11
	s_mul_i32 s16, s16, s13
	s_add_i32 s4, s4, s8
	s_add_i32 s4, s4, s16
	s_mul_i32 s5, s11, s17
	s_add_i32 s4, s4, s15
	s_lshl_b32 s5, s5, 7
	s_lshl_b32 s4, s4, 6
	s_add_i32 s5, s5, s4
	v_or_b32_e32 v2, s5, v0
	v_ashrrev_i32_e32 v3, 31, v2
	v_lshlrev_b64 v[2:3], 2, v[2:3]
	s_waitcnt lgkmcnt(0)
	v_mov_b32_e32 v1, s1
	v_add_co_u32_e32 v2, vcc, s0, v2
	v_addc_co_u32_e32 v3, vcc, v1, v3, vcc
	global_load_dword v8, v[2:3], off
	s_mul_i32 s9, s6, s14
	s_lshl_b32 s4, s7, 2
	s_add_i32 s11, s9, s14
	s_add_i32 s0, s4, s8
	s_lshl_b32 s1, s11, 3
	s_add_i32 s0, s0, s1
	s_add_i32 s0, s0, -8
	s_ashr_i32 s1, s0, 31
	s_lshl_b64 s[0:1], s[0:1], 3
	s_add_u32 s0, s2, s0
	s_addc_u32 s1, s3, s1
	s_load_dword s5, s[0:1], 0x4
	s_add_i32 s10, s11, -2
	s_cmp_lt_i32 s10, s9
	s_cbranch_scc1 .LBB28_4
; %bb.2:
	s_lshl_b32 s16, s12, 5
	s_ashr_i32 s17, s16, 31
	s_lshl_b64 s[16:17], s[16:17], 2
	s_add_u32 s10, s2, s16
	s_addc_u32 s13, s3, s17
	s_add_i32 s6, s6, 1
	s_load_dword s0, s[0:1], 0x0
	s_mul_i32 s1, s14, s6
	s_lshl_b32 s7, s7, 8
	s_lshl_b32 s14, s8, 6
	;; [unrolled: 1-line block ×3, first 2 shown]
	s_add_i32 s7, s14, s7
	s_lshl_b32 s1, s1, 3
	s_add_i32 s7, s7, s6
	s_add_i32 s1, s8, s1
	s_lshl_b32 s6, s12, 3
	s_add_i32 s1, s1, s6
	v_or_b32_e32 v0, s7, v0
	s_add_i32 s1, s1, s4
	s_add_i32 s11, s11, -1
	v_add_u32_e32 v0, 0xfffffc00, v0
	s_add_i32 s4, s1, -16
	s_waitcnt lgkmcnt(0)
	v_mov_b32_e32 v7, s5
	v_mov_b32_e32 v6, s0
	;; [unrolled: 1-line block ×3, first 2 shown]
	s_mov_b32 s6, 0x3fb8aa3b
	s_mov_b32 s7, 0xc2ce8ed0
	;; [unrolled: 1-line block ×3, first 2 shown]
	v_mov_b32_e32 v5, 0x7f800000
	s_mov_b32 s12, 0xc1a00000
.LBB28_3:                               ; =>This Inner Loop Header: Depth=1
	v_ashrrev_i32_e32 v1, 31, v0
	v_lshlrev_b64 v[10:11], 2, v[0:1]
	v_add_co_u32_e32 v10, vcc, s10, v10
	v_addc_co_u32_e32 v11, vcc, v4, v11, vcc
	global_load_dword v1, v[10:11], off
	s_ashr_i32 s5, s4, 31
	s_lshl_b64 s[0:1], s[4:5], 3
	s_add_u32 s0, s2, s0
	s_addc_u32 s1, s3, s1
	s_load_dwordx2 s[14:15], s[0:1], 0x0
	s_waitcnt vmcnt(1)
	v_mov_b32_e32 v9, v8
	v_max_f32_e32 v8, v6, v6
	v_mov_b32_e32 v10, v7
	s_add_i32 s11, s11, -1
	s_waitcnt lgkmcnt(0)
	v_max_f32_e64 v7, s14, s14
	v_max_f32_e32 v7, v8, v7
	v_sub_f32_e32 v11, s14, v7
	v_sub_f32_e32 v8, v6, v7
	v_mul_f32_e32 v12, 0x3fb8aa3b, v11
	v_mov_b32_e32 v6, v7
	v_mul_f32_e32 v7, 0x3fb8aa3b, v8
	v_fma_f32 v15, v11, s6, -v12
	v_rndne_f32_e32 v16, v12
	v_fma_f32 v13, v8, s6, -v7
	v_rndne_f32_e32 v14, v7
	v_fmac_f32_e32 v15, 0x32a5705f, v11
	v_sub_f32_e32 v12, v12, v16
	v_fmac_f32_e32 v13, 0x32a5705f, v8
	v_sub_f32_e32 v7, v7, v14
	v_add_f32_e32 v12, v12, v15
	v_cvt_i32_f32_e32 v16, v16
	v_add_f32_e32 v7, v7, v13
	v_exp_f32_e32 v12, v12
	v_cvt_i32_f32_e32 v14, v14
	v_exp_f32_e32 v7, v7
	v_cmp_ngt_f32_e32 vcc, s7, v11
	v_ldexp_f32 v12, v12, v16
	v_cmp_ngt_f32_e64 s[0:1], s7, v8
	v_ldexp_f32 v7, v7, v14
	v_cndmask_b32_e32 v12, 0, v12, vcc
	v_cmp_nlt_f32_e32 vcc, s8, v11
	v_cndmask_b32_e64 v7, 0, v7, s[0:1]
	v_cmp_nlt_f32_e64 s[0:1], s8, v8
	v_cndmask_b32_e32 v12, v5, v12, vcc
	v_cmp_le_f32_e32 vcc, s12, v11
	v_cndmask_b32_e64 v7, v5, v7, s[0:1]
	v_cmp_le_f32_e64 s[0:1], s12, v8
	v_cndmask_b32_e32 v8, 0, v12, vcc
	s_add_i32 s4, s4, -8
	v_cndmask_b32_e64 v11, 0, v7, s[0:1]
	v_mul_f32_e32 v7, s15, v8
	v_add_u32_e32 v0, 0xfffffe00, v0
	s_cmp_le_i32 s11, s9
	v_fmac_f32_e32 v7, v10, v11
	s_waitcnt vmcnt(0)
	v_mul_f32_e32 v8, v1, v8
	v_fmac_f32_e32 v8, v9, v11
	s_cbranch_scc0 .LBB28_3
	s_branch .LBB28_5
.LBB28_4:
	s_waitcnt lgkmcnt(0)
	v_mov_b32_e32 v7, s5
.LBB28_5:
	s_waitcnt vmcnt(0)
	v_div_scale_f32 v0, s[0:1], v7, v7, v8
	v_rcp_f32_e32 v1, v0
	v_div_scale_f32 v4, vcc, v8, v7, v8
	v_fma_f32 v5, -v0, v1, 1.0
	v_fmac_f32_e32 v1, v5, v1
	v_mul_f32_e32 v5, v4, v1
	v_fma_f32 v6, -v0, v5, v4
	v_fmac_f32_e32 v5, v6, v1
	v_fma_f32 v0, -v0, v5, v4
	v_div_fmas_f32 v0, v0, v1, v5
	v_div_fixup_f32 v0, v0, v7, v8
	global_store_dword v[2:3], v0, off
.LBB28_6:
	s_endpgm
	.section	.rodata,"a",@progbits
	.p2align	6, 0x0
	.amdhsa_kernel _ZL33flash_attn_stream_k_fixup_uniformILi64ELi2ELi4EEvPfPK15HIP_vector_typeIfLj2EEiiiiiiS1_IjLj3EES5_S5_
		.amdhsa_group_segment_fixed_size 0
		.amdhsa_private_segment_fixed_size 0
		.amdhsa_kernarg_size 76
		.amdhsa_user_sgpr_count 6
		.amdhsa_user_sgpr_private_segment_buffer 1
		.amdhsa_user_sgpr_dispatch_ptr 0
		.amdhsa_user_sgpr_queue_ptr 0
		.amdhsa_user_sgpr_kernarg_segment_ptr 1
		.amdhsa_user_sgpr_dispatch_id 0
		.amdhsa_user_sgpr_flat_scratch_init 0
		.amdhsa_user_sgpr_kernarg_preload_length 0
		.amdhsa_user_sgpr_kernarg_preload_offset 0
		.amdhsa_user_sgpr_private_segment_size 0
		.amdhsa_uses_dynamic_stack 0
		.amdhsa_system_sgpr_private_segment_wavefront_offset 0
		.amdhsa_system_sgpr_workgroup_id_x 1
		.amdhsa_system_sgpr_workgroup_id_y 1
		.amdhsa_system_sgpr_workgroup_id_z 1
		.amdhsa_system_sgpr_workgroup_info 0
		.amdhsa_system_vgpr_workitem_id 0
		.amdhsa_next_free_vgpr 17
		.amdhsa_next_free_sgpr 20
		.amdhsa_accum_offset 20
		.amdhsa_reserve_vcc 1
		.amdhsa_reserve_flat_scratch 0
		.amdhsa_float_round_mode_32 0
		.amdhsa_float_round_mode_16_64 0
		.amdhsa_float_denorm_mode_32 3
		.amdhsa_float_denorm_mode_16_64 3
		.amdhsa_dx10_clamp 1
		.amdhsa_ieee_mode 1
		.amdhsa_fp16_overflow 0
		.amdhsa_tg_split 0
		.amdhsa_exception_fp_ieee_invalid_op 0
		.amdhsa_exception_fp_denorm_src 0
		.amdhsa_exception_fp_ieee_div_zero 0
		.amdhsa_exception_fp_ieee_overflow 0
		.amdhsa_exception_fp_ieee_underflow 0
		.amdhsa_exception_fp_ieee_inexact 0
		.amdhsa_exception_int_div_zero 0
	.end_amdhsa_kernel
	.section	.text._ZL33flash_attn_stream_k_fixup_uniformILi64ELi2ELi4EEvPfPK15HIP_vector_typeIfLj2EEiiiiiiS1_IjLj3EES5_S5_,"axG",@progbits,_ZL33flash_attn_stream_k_fixup_uniformILi64ELi2ELi4EEvPfPK15HIP_vector_typeIfLj2EEiiiiiiS1_IjLj3EES5_S5_,comdat
.Lfunc_end28:
	.size	_ZL33flash_attn_stream_k_fixup_uniformILi64ELi2ELi4EEvPfPK15HIP_vector_typeIfLj2EEiiiiiiS1_IjLj3EES5_S5_, .Lfunc_end28-_ZL33flash_attn_stream_k_fixup_uniformILi64ELi2ELi4EEvPfPK15HIP_vector_typeIfLj2EEiiiiiiS1_IjLj3EES5_S5_
                                        ; -- End function
	.section	.AMDGPU.csdata,"",@progbits
; Kernel info:
; codeLenInByte = 856
; NumSgprs: 24
; NumVgprs: 17
; NumAgprs: 0
; TotalNumVgprs: 17
; ScratchSize: 0
; MemoryBound: 0
; FloatMode: 240
; IeeeMode: 1
; LDSByteSize: 0 bytes/workgroup (compile time only)
; SGPRBlocks: 2
; VGPRBlocks: 2
; NumSGPRsForWavesPerEU: 24
; NumVGPRsForWavesPerEU: 17
; AccumOffset: 20
; Occupancy: 8
; WaveLimiterHint : 0
; COMPUTE_PGM_RSRC2:SCRATCH_EN: 0
; COMPUTE_PGM_RSRC2:USER_SGPR: 6
; COMPUTE_PGM_RSRC2:TRAP_HANDLER: 0
; COMPUTE_PGM_RSRC2:TGID_X_EN: 1
; COMPUTE_PGM_RSRC2:TGID_Y_EN: 1
; COMPUTE_PGM_RSRC2:TGID_Z_EN: 1
; COMPUTE_PGM_RSRC2:TIDIG_COMP_CNT: 0
; COMPUTE_PGM_RSRC3_GFX90A:ACCUM_OFFSET: 4
; COMPUTE_PGM_RSRC3_GFX90A:TG_SPLIT: 0
	.section	.text._ZL33flash_attn_stream_k_fixup_generalILi64ELi2ELi4EEvPfPK15HIP_vector_typeIfLj2EEiiiiS1_IjLj3EES5_S5_S5_,"axG",@progbits,_ZL33flash_attn_stream_k_fixup_generalILi64ELi2ELi4EEvPfPK15HIP_vector_typeIfLj2EEiiiiS1_IjLj3EES5_S5_S5_,comdat
	.globl	_ZL33flash_attn_stream_k_fixup_generalILi64ELi2ELi4EEvPfPK15HIP_vector_typeIfLj2EEiiiiS1_IjLj3EES5_S5_S5_ ; -- Begin function _ZL33flash_attn_stream_k_fixup_generalILi64ELi2ELi4EEvPfPK15HIP_vector_typeIfLj2EEiiiiS1_IjLj3EES5_S5_S5_
	.p2align	8
	.type	_ZL33flash_attn_stream_k_fixup_generalILi64ELi2ELi4EEvPfPK15HIP_vector_typeIfLj2EEiiiiS1_IjLj3EES5_S5_S5_,@function
_ZL33flash_attn_stream_k_fixup_generalILi64ELi2ELi4EEvPfPK15HIP_vector_typeIfLj2EEiiiiS1_IjLj3EES5_S5_S5_: ; @_ZL33flash_attn_stream_k_fixup_generalILi64ELi2ELi4EEvPfPK15HIP_vector_typeIfLj2EEiiiiS1_IjLj3EES5_S5_S5_
; %bb.0:
	s_load_dwordx4 s[12:15], s[4:5], 0x10
	s_load_dword s9, s[4:5], 0x50
	s_mov_b32 s2, 0
	s_waitcnt lgkmcnt(0)
	s_mul_hi_i32 s3, s15, s6
	s_cmp_lg_u64 s[2:3], 0
	s_mul_i32 s2, s15, s6
	s_cbranch_scc0 .LBB29_21
; %bb.1:
	v_cvt_f32_u32_e32 v1, s9
	v_cvt_f32_ubyte0_e32 v2, 0
	s_sub_u32 s10, 0, s9
	s_subb_u32 s11, 0, 0
	v_madmk_f32 v1, v2, 0x4f800000, v1
	v_rcp_f32_e32 v1, v1
	v_mul_f32_e32 v1, 0x5f7ffffc, v1
	v_mul_f32_e32 v2, 0x2f800000, v1
	v_trunc_f32_e32 v2, v2
	v_madmk_f32 v1, v2, 0xcf800000, v1
	v_cvt_u32_f32_e32 v2, v2
	v_cvt_u32_f32_e32 v1, v1
	v_readfirstlane_b32 s16, v2
	v_readfirstlane_b32 s17, v1
	s_mul_i32 s18, s10, s16
	s_mul_hi_u32 s20, s10, s17
	s_mul_i32 s19, s11, s17
	s_add_i32 s18, s20, s18
	s_add_i32 s18, s18, s19
	s_mul_i32 s21, s10, s17
	s_mul_hi_u32 s19, s17, s18
	s_mul_i32 s20, s17, s18
	s_mul_hi_u32 s17, s17, s21
	s_add_u32 s17, s17, s20
	s_addc_u32 s19, 0, s19
	s_mul_hi_u32 s22, s16, s21
	s_mul_i32 s21, s16, s21
	s_add_u32 s17, s17, s21
	s_mul_hi_u32 s20, s16, s18
	s_addc_u32 s17, s19, s22
	s_addc_u32 s19, s20, 0
	s_mul_i32 s18, s16, s18
	s_add_u32 s17, s17, s18
	s_addc_u32 s18, 0, s19
	v_add_co_u32_e32 v1, vcc, s17, v1
	s_cmp_lg_u64 vcc, 0
	s_addc_u32 s16, s16, s18
	v_readfirstlane_b32 s18, v1
	s_mul_i32 s17, s10, s16
	s_mul_hi_u32 s19, s10, s18
	s_add_i32 s17, s19, s17
	s_mul_i32 s11, s11, s18
	s_add_i32 s17, s17, s11
	s_mul_i32 s10, s10, s18
	s_mul_hi_u32 s19, s16, s10
	s_mul_i32 s20, s16, s10
	s_mul_i32 s22, s18, s17
	s_mul_hi_u32 s10, s18, s10
	s_mul_hi_u32 s21, s18, s17
	s_add_u32 s10, s10, s22
	s_addc_u32 s18, 0, s21
	s_add_u32 s10, s10, s20
	s_mul_hi_u32 s11, s16, s17
	s_addc_u32 s10, s18, s19
	s_addc_u32 s11, s11, 0
	s_mul_i32 s17, s16, s17
	s_add_u32 s10, s10, s17
	s_addc_u32 s11, 0, s11
	v_add_co_u32_e32 v1, vcc, s10, v1
	s_cmp_lg_u64 vcc, 0
	s_addc_u32 s18, s16, s11
	s_ashr_i32 s10, s3, 31
	s_add_u32 s16, s2, s10
	s_mov_b32 s11, s10
	s_addc_u32 s17, s3, s10
	s_xor_b64 s[16:17], s[16:17], s[10:11]
	v_readfirstlane_b32 s20, v1
	s_mul_i32 s19, s16, s18
	s_mul_hi_u32 s21, s16, s20
	s_mul_hi_u32 s3, s16, s18
	s_add_u32 s19, s21, s19
	s_addc_u32 s3, 0, s3
	s_mul_hi_u32 s22, s17, s20
	s_mul_i32 s20, s17, s20
	s_add_u32 s19, s19, s20
	s_mul_hi_u32 s21, s17, s18
	s_addc_u32 s3, s3, s22
	s_addc_u32 s19, s21, 0
	s_mul_i32 s18, s17, s18
	s_add_u32 s3, s3, s18
	s_addc_u32 s18, 0, s19
	s_add_u32 s19, s3, 1
	s_addc_u32 s20, s18, 0
	s_add_u32 s21, s3, 2
	s_mul_i32 s23, s9, s18
	s_mul_hi_u32 s24, s9, s3
	s_addc_u32 s22, s18, 0
	s_add_i32 s24, s24, s23
	s_mul_i32 s23, s9, s3
	v_mov_b32_e32 v1, s23
	v_sub_co_u32_e32 v1, vcc, s16, v1
	s_cmp_lg_u64 vcc, 0
	s_subb_u32 s16, s17, s24
	v_subrev_co_u32_e32 v2, vcc, s9, v1
	s_cmp_lg_u64 vcc, 0
	s_subb_u32 s17, s16, 0
	v_readfirstlane_b32 s23, v2
	s_cmp_ge_u32 s23, s9
	s_cselect_b32 s23, -1, 0
	s_cmp_eq_u32 s17, 0
	s_cselect_b32 s17, s23, -1
	s_cmp_lg_u32 s17, 0
	s_cselect_b32 s17, s22, s20
	v_readfirstlane_b32 s20, v1
	s_cselect_b32 s19, s21, s19
	s_cmp_ge_u32 s20, s9
	s_cselect_b32 s20, -1, 0
	s_cmp_eq_u32 s16, 0
	s_cselect_b32 s16, s20, -1
	s_cmp_lg_u32 s16, 0
	s_cselect_b32 s17, s17, s18
	s_cselect_b32 s16, s19, s3
	s_xor_b64 s[16:17], s[16:17], s[10:11]
	s_sub_u32 s20, s16, s10
	s_load_dwordx4 s[16:19], s[4:5], 0x44
	s_cbranch_execnz .LBB29_3
.LBB29_2:
	v_cvt_f32_u32_e32 v1, s9
	s_sub_i32 s0, 0, s9
	v_rcp_iflag_f32_e32 v1, v1
	v_mul_f32_e32 v1, 0x4f7ffffe, v1
	v_cvt_u32_f32_e32 v1, v1
	v_readfirstlane_b32 s1, v1
	s_mul_i32 s0, s0, s1
	s_mul_hi_u32 s0, s1, s0
	s_add_i32 s1, s1, s0
	s_mul_hi_u32 s0, s2, s1
	s_mul_i32 s3, s0, s9
	s_sub_i32 s2, s2, s3
	s_add_i32 s1, s0, 1
	s_sub_i32 s3, s2, s9
	s_cmp_ge_u32 s2, s9
	s_cselect_b32 s0, s1, s0
	s_cselect_b32 s2, s3, s2
	s_add_i32 s1, s0, 1
	s_cmp_ge_u32 s2, s9
	s_cselect_b32 s20, s1, s0
.LBB29_3:
	s_add_i32 s0, s6, 1
	s_mul_hi_i32 s3, s15, s0
	s_mov_b32 s2, 0
	s_cmp_lg_u64 s[2:3], 0
	s_mul_i32 s2, s15, s0
	s_cbranch_scc0 .LBB29_22
; %bb.4:
	v_cvt_f32_u32_e32 v1, s9
	v_cvt_f32_ubyte0_e32 v2, 0
	s_sub_u32 s10, 0, s9
	s_subb_u32 s11, 0, 0
	v_madmk_f32 v1, v2, 0x4f800000, v1
	v_rcp_f32_e32 v1, v1
	v_mul_f32_e32 v1, 0x5f7ffffc, v1
	v_mul_f32_e32 v2, 0x2f800000, v1
	v_trunc_f32_e32 v2, v2
	v_madmk_f32 v1, v2, 0xcf800000, v1
	v_cvt_u32_f32_e32 v2, v2
	v_cvt_u32_f32_e32 v1, v1
	s_waitcnt lgkmcnt(0)
	v_readfirstlane_b32 s19, v2
	v_readfirstlane_b32 s21, v1
	s_mul_i32 s22, s10, s19
	s_mul_hi_u32 s24, s10, s21
	s_mul_i32 s23, s11, s21
	s_add_i32 s22, s24, s22
	s_add_i32 s22, s22, s23
	s_mul_i32 s25, s10, s21
	s_mul_hi_u32 s23, s21, s22
	s_mul_i32 s24, s21, s22
	s_mul_hi_u32 s21, s21, s25
	s_add_u32 s21, s21, s24
	s_addc_u32 s23, 0, s23
	s_mul_hi_u32 s26, s19, s25
	s_mul_i32 s25, s19, s25
	s_add_u32 s21, s21, s25
	s_mul_hi_u32 s24, s19, s22
	s_addc_u32 s21, s23, s26
	s_addc_u32 s23, s24, 0
	s_mul_i32 s22, s19, s22
	s_add_u32 s21, s21, s22
	s_addc_u32 s22, 0, s23
	v_add_co_u32_e32 v1, vcc, s21, v1
	s_cmp_lg_u64 vcc, 0
	s_addc_u32 s19, s19, s22
	v_readfirstlane_b32 s22, v1
	s_mul_i32 s21, s10, s19
	s_mul_hi_u32 s23, s10, s22
	s_add_i32 s21, s23, s21
	s_mul_i32 s11, s11, s22
	s_add_i32 s21, s21, s11
	s_mul_i32 s10, s10, s22
	s_mul_hi_u32 s23, s19, s10
	s_mul_i32 s24, s19, s10
	s_mul_i32 s26, s22, s21
	s_mul_hi_u32 s10, s22, s10
	s_mul_hi_u32 s25, s22, s21
	s_add_u32 s10, s10, s26
	s_addc_u32 s22, 0, s25
	s_add_u32 s10, s10, s24
	s_mul_hi_u32 s11, s19, s21
	s_addc_u32 s10, s22, s23
	s_addc_u32 s11, s11, 0
	s_mul_i32 s21, s19, s21
	s_add_u32 s10, s10, s21
	s_addc_u32 s11, 0, s11
	v_add_co_u32_e32 v1, vcc, s10, v1
	s_cmp_lg_u64 vcc, 0
	s_addc_u32 s19, s19, s11
	s_ashr_i32 s10, s3, 31
	s_add_u32 s22, s2, s10
	s_mov_b32 s11, s10
	s_addc_u32 s23, s3, s10
	s_xor_b64 s[22:23], s[22:23], s[10:11]
	v_readfirstlane_b32 s21, v1
	s_mul_i32 s11, s22, s19
	s_mul_hi_u32 s24, s22, s21
	s_mul_hi_u32 s3, s22, s19
	s_add_u32 s11, s24, s11
	s_addc_u32 s3, 0, s3
	s_mul_hi_u32 s25, s23, s21
	s_mul_i32 s21, s23, s21
	s_add_u32 s11, s11, s21
	s_mul_hi_u32 s24, s23, s19
	s_addc_u32 s3, s3, s25
	s_addc_u32 s11, s24, 0
	s_mul_i32 s19, s23, s19
	s_add_u32 s3, s3, s19
	s_addc_u32 s11, 0, s11
	s_mul_i32 s11, s9, s11
	s_mul_hi_u32 s24, s9, s3
	s_add_i32 s24, s24, s11
	s_mul_i32 s11, s9, s3
	v_mov_b32_e32 v1, s11
	s_add_u32 s19, s3, 1
	s_add_u32 s21, s3, 2
	v_sub_co_u32_e32 v1, vcc, s22, v1
	s_cmp_lg_u64 vcc, 0
	s_subb_u32 s11, s23, s24
	v_subrev_co_u32_e32 v2, vcc, s9, v1
	s_cmp_lg_u64 vcc, 0
	s_subb_u32 s22, s11, 0
	v_cmp_le_u32_e32 vcc, s9, v2
	s_cmp_eq_u32 s22, 0
	v_cndmask_b32_e64 v2, 0, -1, vcc
	s_cselect_b64 vcc, -1, 0
	v_cndmask_b32_e32 v2, -1, v2, vcc
	v_mov_b32_e32 v3, s19
	v_mov_b32_e32 v4, s21
	v_cmp_ne_u32_e32 vcc, 0, v2
	v_cndmask_b32_e32 v2, v3, v4, vcc
	v_cmp_le_u32_e32 vcc, s9, v1
	s_cmp_eq_u32 s11, 0
	v_cndmask_b32_e64 v1, 0, -1, vcc
	s_cselect_b64 vcc, -1, 0
	v_cndmask_b32_e32 v1, -1, v1, vcc
	v_mov_b32_e32 v3, s3
	v_cmp_ne_u32_e32 vcc, 0, v1
	v_cndmask_b32_e32 v1, v3, v2, vcc
	v_xor_b32_e32 v1, s10, v1
	v_subrev_co_u32_e32 v2, vcc, s10, v1
	s_cbranch_execnz .LBB29_6
.LBB29_5:
	v_cvt_f32_u32_e32 v1, s9
	s_sub_i32 s0, 0, s9
	s_mov_b32 s1, 0
	v_rcp_iflag_f32_e32 v1, v1
	v_mul_f32_e32 v1, 0x4f7ffffe, v1
	v_cvt_u32_f32_e32 v1, v1
	v_readfirstlane_b32 s3, v1
	s_mul_i32 s0, s0, s3
	s_mul_hi_u32 s0, s3, s0
	s_add_i32 s3, s3, s0
	s_mul_hi_u32 s0, s2, s3
	s_mul_i32 s10, s0, s9
	s_sub_i32 s2, s2, s10
	s_add_i32 s3, s0, 1
	s_sub_i32 s10, s2, s9
	s_cmp_ge_u32 s2, s9
	s_cselect_b32 s0, s3, s0
	s_cselect_b32 s2, s10, s2
	s_add_i32 s3, s0, 1
	s_cmp_ge_u32 s2, s9
	s_cselect_b32 s0, s3, s0
	v_pk_mov_b32 v[2:3], s[0:1], s[0:1] op_sel:[0,1]
.LBB29_6:
	s_waitcnt lgkmcnt(0)
	s_mul_hi_u32 s0, s20, s16
	s_add_i32 s0, s0, s20
	v_mul_hi_u32 v1, v2, s16
	s_lshr_b32 s19, s0, s17
	v_add_u32_e32 v1, v1, v2
	s_mul_i32 s0, s19, s18
	v_lshrrev_b32_e32 v1, s17, v1
	s_cmp_eq_u32 s0, s20
	v_cmp_eq_u32_e64 s[0:1], s19, v1
	v_mul_lo_u32 v1, v1, s18
	v_cmp_eq_u32_e32 vcc, s20, v2
	s_cselect_b64 s[10:11], -1, 0
	v_cmp_ne_u32_e64 s[2:3], v1, v2
	s_and_b64 s[0:1], s[0:1], s[2:3]
	s_or_b64 s[2:3], vcc, s[10:11]
	s_or_b64 s[0:1], s[2:3], s[0:1]
	s_and_b64 vcc, exec, s[0:1]
	s_cbranch_vccnz .LBB29_24
; %bb.7:
	s_load_dwordx8 s[24:31], s[4:5], 0x20
	s_load_dword s0, s[4:5], 0x40
	s_mov_b32 s10, 0
	s_waitcnt lgkmcnt(0)
	s_mul_hi_u32 s1, s20, s24
	s_add_i32 s1, s1, s20
	s_lshr_b32 s11, s1, s25
	s_mul_i32 s1, s11, s26
	s_sub_i32 s1, s20, s1
	s_mul_hi_u32 s2, s1, s27
	s_add_i32 s2, s1, s2
	s_lshr_b32 s24, s2, s28
	s_mul_i32 s2, s24, s29
	s_sub_i32 s1, s1, s2
	s_mul_hi_u32 s2, s1, s30
	s_add_i32 s2, s1, s2
	s_lshr_b32 s2, s2, s31
	s_mul_i32 s0, s2, s0
	s_sub_i32 s0, s1, s0
	s_mul_hi_u32 s1, s0, s16
	s_add_i32 s0, s0, s1
	s_lshr_b32 s26, s0, s17
	s_lshl_b32 s0, s26, 1
	s_lshl_b32 s25, s2, 2
	s_add_i32 s0, s0, s7
	s_cmp_lt_i32 s0, s12
	s_cselect_b64 s[0:1], -1, 0
	s_add_i32 s2, s25, s8
	s_cmp_lt_i32 s2, s14
	s_cselect_b64 s[2:3], -1, 0
	s_and_b64 s[0:1], s[0:1], s[2:3]
	s_andn2_b64 vcc, exec, s[0:1]
	s_cbranch_vccnz .LBB29_24
; %bb.8:
	s_load_dwordx4 s[0:3], s[4:5], 0x0
	s_lshl_b32 s21, s7, 2
	s_lshl_b32 s4, s9, 5
	s_mov_b32 s5, s10
	s_add_i32 s21, s21, s8
	s_lshl_b64 s[4:5], s[4:5], 2
	s_waitcnt lgkmcnt(0)
	s_add_u32 s22, s2, s4
	s_mul_i32 s4, s11, s12
	s_addc_u32 s23, s3, s5
	s_add_i32 s4, s4, s7
	s_mul_i32 s4, s4, s13
	s_mul_i32 s24, s24, s14
	s_add_i32 s4, s4, s8
	s_add_i32 s4, s4, s24
	s_mul_i32 s5, s13, s26
	s_add_i32 s4, s4, s25
	s_lshl_b32 s5, s5, 7
	s_lshl_b32 s4, s4, 6
	s_add_i32 s5, s5, s4
	v_or_b32_e32 v2, s5, v0
	v_ashrrev_i32_e32 v3, 31, v2
	v_lshlrev_b64 v[2:3], 2, v[2:3]
	v_mov_b32_e32 v1, s1
	v_add_co_u32_e32 v2, vcc, s0, v2
	v_addc_co_u32_e32 v3, vcc, v1, v3, vcc
	global_load_dword v5, v[2:3], off
	v_lshl_or_b32 v4, s21, 6, v0
	v_cvt_f32_u32_e32 v0, s9
	v_cvt_f32_ubyte0_e32 v1, 0
	s_lshl_b32 s0, s6, 3
	s_add_i32 s0, s21, s0
	v_mac_f32_e32 v0, 0x4f800000, v1
	v_rcp_f32_e32 v0, v0
	v_cvt_f32_u32_e32 v1, s9
	s_ashr_i32 s1, s0, 31
	s_lshl_b64 s[0:1], s[0:1], 3
	v_mul_f32_e32 v0, 0x5f7ffffc, v0
	v_rcp_iflag_f32_e32 v1, v1
	s_add_u32 s0, s2, s0
	v_mul_f32_e32 v9, 0x2f800000, v0
	s_addc_u32 s1, s3, s1
	v_trunc_f32_e32 v10, v9
	s_load_dwordx2 s[0:1], s[0:1], 0x0
	v_mac_f32_e32 v0, 0xcf800000, v10
	v_cvt_u32_f32_e32 v9, v0
	v_mul_f32_e32 v0, 0x4f7ffffe, v1
	v_cvt_u32_f32_e32 v10, v10
	v_cvt_u32_f32_e32 v11, v0
	s_add_i32 s8, s6, -1
	s_waitcnt lgkmcnt(0)
	v_mov_b32_e32 v6, s1
	v_mov_b32_e32 v7, s0
	;; [unrolled: 1-line block ×3, first 2 shown]
	s_mov_b32 s6, 0x3fb8aa3b
	s_mov_b32 s7, 0xc2ce8ed0
	;; [unrolled: 1-line block ×4, first 2 shown]
	v_mov_b32_e32 v12, 0x7f800000
	s_mul_hi_i32 s11, s8, s15
	s_cmp_lg_u64 s[10:11], 0
	s_mul_i32 s4, s8, s15
	s_cbranch_scc0 .LBB29_15
.LBB29_9:
	s_sub_u32 s0, 0, s9
	v_readfirstlane_b32 s5, v9
	v_readfirstlane_b32 s24, v10
	s_subb_u32 s1, 0, 0
	s_mul_hi_u32 s20, s0, s5
	s_mul_i32 s25, s0, s24
	s_mul_i32 s14, s1, s5
	s_add_i32 s20, s20, s25
	s_add_i32 s20, s20, s14
	s_mul_i32 s26, s0, s5
	s_mul_hi_u32 s14, s5, s20
	s_mul_i32 s25, s5, s20
	s_mul_hi_u32 s5, s5, s26
	s_add_u32 s5, s5, s25
	s_addc_u32 s14, 0, s14
	s_mul_hi_u32 s27, s24, s26
	s_mul_i32 s26, s24, s26
	s_add_u32 s5, s5, s26
	s_mul_hi_u32 s25, s24, s20
	s_addc_u32 s5, s14, s27
	s_addc_u32 s14, s25, 0
	s_mul_i32 s20, s24, s20
	s_add_u32 s5, s5, s20
	s_addc_u32 s14, 0, s14
	v_add_co_u32_e32 v0, vcc, s5, v9
	s_cmp_lg_u64 vcc, 0
	s_addc_u32 s5, s24, s14
	v_readfirstlane_b32 s20, v0
	s_mul_i32 s14, s0, s5
	s_mul_hi_u32 s24, s0, s20
	s_add_i32 s14, s24, s14
	s_mul_i32 s1, s1, s20
	s_add_i32 s14, s14, s1
	s_mul_i32 s0, s0, s20
	s_mul_hi_u32 s24, s5, s0
	s_mul_i32 s25, s5, s0
	s_mul_i32 s27, s20, s14
	s_mul_hi_u32 s0, s20, s0
	s_mul_hi_u32 s26, s20, s14
	s_add_u32 s0, s0, s27
	s_addc_u32 s20, 0, s26
	s_add_u32 s0, s0, s25
	s_mul_hi_u32 s1, s5, s14
	s_addc_u32 s0, s20, s24
	s_addc_u32 s1, s1, 0
	s_mul_i32 s14, s5, s14
	s_add_u32 s0, s0, s14
	s_addc_u32 s1, 0, s1
	v_add_co_u32_e32 v0, vcc, s0, v0
	s_cmp_lg_u64 vcc, 0
	s_addc_u32 s5, s5, s1
	s_ashr_i32 s0, s11, 31
	s_add_u32 s24, s4, s0
	s_mov_b32 s1, s0
	s_addc_u32 s25, s11, s0
	s_xor_b64 s[24:25], s[24:25], s[0:1]
	v_readfirstlane_b32 s14, v0
	s_mul_i32 s11, s24, s5
	s_mul_hi_u32 s20, s24, s14
	s_mul_hi_u32 s1, s24, s5
	s_add_u32 s11, s20, s11
	s_addc_u32 s1, 0, s1
	s_mul_hi_u32 s26, s25, s14
	s_mul_i32 s14, s25, s14
	s_add_u32 s11, s11, s14
	s_mul_hi_u32 s20, s25, s5
	s_addc_u32 s1, s1, s26
	s_addc_u32 s11, s20, 0
	s_mul_i32 s5, s25, s5
	s_add_u32 s1, s1, s5
	s_addc_u32 s5, 0, s11
	s_mul_i32 s5, s9, s5
	s_mul_hi_u32 s20, s9, s1
	s_add_i32 s20, s20, s5
	s_mul_i32 s5, s9, s1
	v_mov_b32_e32 v0, s5
	s_add_u32 s11, s1, 1
	s_add_u32 s14, s1, 2
	v_sub_co_u32_e32 v0, vcc, s24, v0
	s_cmp_lg_u64 vcc, 0
	s_subb_u32 s5, s25, s20
	v_subrev_co_u32_e32 v1, vcc, s9, v0
	s_cmp_lg_u64 vcc, 0
	s_subb_u32 s20, s5, 0
	v_cmp_le_u32_e32 vcc, s9, v1
	s_cmp_eq_u32 s20, 0
	v_cndmask_b32_e64 v1, 0, -1, vcc
	s_cselect_b64 vcc, -1, 0
	v_cndmask_b32_e32 v1, -1, v1, vcc
	v_mov_b32_e32 v13, s11
	v_mov_b32_e32 v14, s14
	v_cmp_ne_u32_e32 vcc, 0, v1
	v_cndmask_b32_e32 v1, v13, v14, vcc
	v_cmp_le_u32_e32 vcc, s9, v0
	s_cmp_eq_u32 s5, 0
	v_cndmask_b32_e64 v0, 0, -1, vcc
	s_cselect_b64 vcc, -1, 0
	v_cndmask_b32_e32 v0, -1, v0, vcc
	v_mov_b32_e32 v13, s1
	v_cmp_ne_u32_e32 vcc, 0, v0
	v_cndmask_b32_e32 v0, v13, v1, vcc
	v_xor_b32_e32 v0, s0, v0
	v_subrev_co_u32_e32 v0, vcc, s0, v0
	s_cbranch_execnz .LBB29_11
.LBB29_10:
	s_sub_i32 s0, 0, s9
	v_mul_lo_u32 v0, s0, v11
	v_mul_hi_u32 v0, v11, v0
	v_add_u32_e32 v0, v11, v0
	v_mul_hi_u32 v0, s4, v0
	v_mul_lo_u32 v13, v0, s9
	v_sub_u32_e32 v13, s4, v13
	v_add_u32_e32 v1, 1, v0
	v_subrev_u32_e32 v14, s9, v13
	v_cmp_le_u32_e32 vcc, s9, v13
	v_cndmask_b32_e32 v13, v13, v14, vcc
	v_cndmask_b32_e32 v0, v0, v1, vcc
	v_add_u32_e32 v1, 1, v0
	v_cmp_le_u32_e32 vcc, s9, v13
	v_cndmask_b32_e32 v0, v0, v1, vcc
.LBB29_11:
	v_cmp_ne_u32_e32 vcc, v8, v0
	s_cbranch_vccz .LBB29_14
; %bb.12:
	s_add_i32 s0, s8, s9
	s_lshl_b32 s0, s0, 3
	v_mul_hi_u32 v1, v0, s16
	s_add_i32 s0, s0, s21
	s_mov_b32 s1, s10
	v_add_u32_e32 v1, v1, v0
	s_lshl_b64 s[0:1], s[0:1], 3
	v_lshrrev_b32_e32 v1, s17, v1
	s_add_u32 s4, s2, s0
	v_mul_lo_u32 v13, v1, s18
	s_addc_u32 s5, s3, s1
	v_cmp_eq_u32_e32 vcc, v13, v0
	v_cmp_gt_u32_e64 s[0:1], s19, v1
	s_or_b64 s[0:1], s[0:1], vcc
	s_and_b64 vcc, exec, s[0:1]
	s_cbranch_vccnz .LBB29_16
; %bb.13:
	s_add_i32 s11, s8, -1
	s_mov_b64 s[0:1], 0
	s_branch .LBB29_17
.LBB29_14:
                                        ; implicit-def: $sgpr0_sgpr1
                                        ; implicit-def: $vgpr14
                                        ; implicit-def: $vgpr1
                                        ; implicit-def: $vgpr13
                                        ; implicit-def: $sgpr11
                                        ; implicit-def: $vgpr0
	s_branch .LBB29_18
.LBB29_15:
                                        ; implicit-def: $vgpr0_vgpr1
	s_branch .LBB29_10
.LBB29_16:
	s_mov_b64 s[0:1], -1
	s_mov_b32 s11, s8
	v_mov_b32_e32 v0, v8
.LBB29_17:
	v_lshl_add_u32 v14, s8, 9, v4
	v_ashrrev_i32_e32 v15, 31, v14
	v_lshlrev_b64 v[14:15], 2, v[14:15]
	v_mov_b32_e32 v1, s23
	v_add_co_u32_e32 v14, vcc, s22, v14
	v_addc_co_u32_e32 v15, vcc, v1, v15, vcc
	global_load_dword v14, v[14:15], off
	s_load_dwordx2 s[4:5], s[4:5], 0x0
	v_max_f32_e32 v1, v7, v7
	s_waitcnt lgkmcnt(0)
	v_max_f32_e64 v13, s4, s4
	v_max_f32_e32 v1, v1, v13
	v_sub_f32_e32 v13, v7, v1
	v_sub_f32_e32 v15, s4, v1
	v_mul_f32_e32 v16, 0x3fb8aa3b, v13
	v_mul_f32_e32 v17, 0x3fb8aa3b, v15
	v_fma_f32 v18, v13, s6, -v16
	v_rndne_f32_e32 v19, v16
	v_fma_f32 v20, v15, s6, -v17
	v_rndne_f32_e32 v21, v17
	v_fmac_f32_e32 v18, 0x32a5705f, v13
	v_sub_f32_e32 v16, v16, v19
	v_fmac_f32_e32 v20, 0x32a5705f, v15
	v_sub_f32_e32 v17, v17, v21
	v_add_f32_e32 v16, v16, v18
	v_cvt_i32_f32_e32 v19, v19
	v_add_f32_e32 v17, v17, v20
	v_exp_f32_e32 v16, v16
	v_cvt_i32_f32_e32 v21, v21
	v_exp_f32_e32 v17, v17
	v_cmp_ngt_f32_e32 vcc, s7, v13
	v_ldexp_f32 v16, v16, v19
	v_cndmask_b32_e32 v16, 0, v16, vcc
	v_ldexp_f32 v17, v17, v21
	v_cmp_ngt_f32_e32 vcc, s7, v15
	v_cndmask_b32_e32 v17, 0, v17, vcc
	v_cmp_nlt_f32_e32 vcc, s12, v13
	v_cndmask_b32_e32 v16, v12, v16, vcc
	v_cmp_nlt_f32_e32 vcc, s12, v15
	v_cndmask_b32_e32 v17, v12, v17, vcc
	v_cmp_le_f32_e32 vcc, s13, v13
	v_cndmask_b32_e32 v16, 0, v16, vcc
	v_cmp_le_f32_e32 vcc, s13, v15
	v_cndmask_b32_e32 v15, 0, v17, vcc
	v_mul_f32_e32 v13, s5, v15
	v_fmac_f32_e32 v13, v6, v16
	s_waitcnt vmcnt(0)
	v_mul_f32_e32 v14, v14, v15
	v_fmac_f32_e32 v14, v5, v16
	s_cbranch_execnz .LBB29_19
.LBB29_18:
	s_add_i32 s11, s8, -1
	s_mov_b64 s[0:1], 0
	v_mov_b32_e32 v0, v8
	v_mov_b32_e32 v13, v6
	;; [unrolled: 1-line block ×3, first 2 shown]
	s_waitcnt vmcnt(0)
	v_mov_b32_e32 v14, v5
.LBB29_19:
	s_andn2_b64 vcc, exec, s[0:1]
	s_cbranch_vccz .LBB29_23
; %bb.20:
	v_mov_b32_e32 v8, v0
	s_mov_b32 s8, s11
	v_mov_b32_e32 v6, v13
	v_mov_b32_e32 v7, v1
	s_waitcnt vmcnt(0)
	v_mov_b32_e32 v5, v14
	s_mul_hi_i32 s11, s8, s15
	s_cmp_lg_u64 s[10:11], 0
	s_mul_i32 s4, s8, s15
	s_cbranch_scc1 .LBB29_9
	s_branch .LBB29_15
.LBB29_21:
                                        ; implicit-def: $sgpr20_sgpr21
	s_load_dwordx4 s[16:19], s[4:5], 0x44
	s_branch .LBB29_2
.LBB29_22:
                                        ; implicit-def: $vgpr2_vgpr3
	s_branch .LBB29_5
.LBB29_23:
	v_div_scale_f32 v0, s[0:1], v13, v13, v14
	v_rcp_f32_e32 v1, v0
	v_div_scale_f32 v4, vcc, v14, v13, v14
	s_waitcnt vmcnt(0)
	v_fma_f32 v5, -v0, v1, 1.0
	v_fmac_f32_e32 v1, v5, v1
	v_mul_f32_e32 v5, v4, v1
	v_fma_f32 v6, -v0, v5, v4
	v_fmac_f32_e32 v5, v6, v1
	v_fma_f32 v0, -v0, v5, v4
	v_div_fmas_f32 v0, v0, v1, v5
	v_div_fixup_f32 v0, v0, v13, v14
	global_store_dword v[2:3], v0, off
.LBB29_24:
	s_endpgm
	.section	.rodata,"a",@progbits
	.p2align	6, 0x0
	.amdhsa_kernel _ZL33flash_attn_stream_k_fixup_generalILi64ELi2ELi4EEvPfPK15HIP_vector_typeIfLj2EEiiiiS1_IjLj3EES5_S5_S5_
		.amdhsa_group_segment_fixed_size 0
		.amdhsa_private_segment_fixed_size 0
		.amdhsa_kernarg_size 336
		.amdhsa_user_sgpr_count 6
		.amdhsa_user_sgpr_private_segment_buffer 1
		.amdhsa_user_sgpr_dispatch_ptr 0
		.amdhsa_user_sgpr_queue_ptr 0
		.amdhsa_user_sgpr_kernarg_segment_ptr 1
		.amdhsa_user_sgpr_dispatch_id 0
		.amdhsa_user_sgpr_flat_scratch_init 0
		.amdhsa_user_sgpr_kernarg_preload_length 0
		.amdhsa_user_sgpr_kernarg_preload_offset 0
		.amdhsa_user_sgpr_private_segment_size 0
		.amdhsa_uses_dynamic_stack 0
		.amdhsa_system_sgpr_private_segment_wavefront_offset 0
		.amdhsa_system_sgpr_workgroup_id_x 1
		.amdhsa_system_sgpr_workgroup_id_y 1
		.amdhsa_system_sgpr_workgroup_id_z 1
		.amdhsa_system_sgpr_workgroup_info 0
		.amdhsa_system_vgpr_workitem_id 0
		.amdhsa_next_free_vgpr 22
		.amdhsa_next_free_sgpr 32
		.amdhsa_accum_offset 24
		.amdhsa_reserve_vcc 1
		.amdhsa_reserve_flat_scratch 0
		.amdhsa_float_round_mode_32 0
		.amdhsa_float_round_mode_16_64 0
		.amdhsa_float_denorm_mode_32 3
		.amdhsa_float_denorm_mode_16_64 3
		.amdhsa_dx10_clamp 1
		.amdhsa_ieee_mode 1
		.amdhsa_fp16_overflow 0
		.amdhsa_tg_split 0
		.amdhsa_exception_fp_ieee_invalid_op 0
		.amdhsa_exception_fp_denorm_src 0
		.amdhsa_exception_fp_ieee_div_zero 0
		.amdhsa_exception_fp_ieee_overflow 0
		.amdhsa_exception_fp_ieee_underflow 0
		.amdhsa_exception_fp_ieee_inexact 0
		.amdhsa_exception_int_div_zero 0
	.end_amdhsa_kernel
	.section	.text._ZL33flash_attn_stream_k_fixup_generalILi64ELi2ELi4EEvPfPK15HIP_vector_typeIfLj2EEiiiiS1_IjLj3EES5_S5_S5_,"axG",@progbits,_ZL33flash_attn_stream_k_fixup_generalILi64ELi2ELi4EEvPfPK15HIP_vector_typeIfLj2EEiiiiS1_IjLj3EES5_S5_S5_,comdat
.Lfunc_end29:
	.size	_ZL33flash_attn_stream_k_fixup_generalILi64ELi2ELi4EEvPfPK15HIP_vector_typeIfLj2EEiiiiS1_IjLj3EES5_S5_S5_, .Lfunc_end29-_ZL33flash_attn_stream_k_fixup_generalILi64ELi2ELi4EEvPfPK15HIP_vector_typeIfLj2EEiiiiS1_IjLj3EES5_S5_S5_
                                        ; -- End function
	.section	.AMDGPU.csdata,"",@progbits
; Kernel info:
; codeLenInByte = 2824
; NumSgprs: 36
; NumVgprs: 22
; NumAgprs: 0
; TotalNumVgprs: 22
; ScratchSize: 0
; MemoryBound: 0
; FloatMode: 240
; IeeeMode: 1
; LDSByteSize: 0 bytes/workgroup (compile time only)
; SGPRBlocks: 4
; VGPRBlocks: 2
; NumSGPRsForWavesPerEU: 36
; NumVGPRsForWavesPerEU: 22
; AccumOffset: 24
; Occupancy: 8
; WaveLimiterHint : 0
; COMPUTE_PGM_RSRC2:SCRATCH_EN: 0
; COMPUTE_PGM_RSRC2:USER_SGPR: 6
; COMPUTE_PGM_RSRC2:TRAP_HANDLER: 0
; COMPUTE_PGM_RSRC2:TGID_X_EN: 1
; COMPUTE_PGM_RSRC2:TGID_Y_EN: 1
; COMPUTE_PGM_RSRC2:TGID_Z_EN: 1
; COMPUTE_PGM_RSRC2:TIDIG_COMP_CNT: 0
; COMPUTE_PGM_RSRC3_GFX90A:ACCUM_OFFSET: 5
; COMPUTE_PGM_RSRC3_GFX90A:TG_SPLIT: 0
	.section	.text._ZL15flash_attn_tileILi64ELi64ELi1ELi4ELb0EEvPKcS1_S1_S1_S1_PKiPfP15HIP_vector_typeIfLj2EEffffjfiS5_IjLj3EEiiiiiiiiiiiliiliiiiil,"axG",@progbits,_ZL15flash_attn_tileILi64ELi64ELi1ELi4ELb0EEvPKcS1_S1_S1_S1_PKiPfP15HIP_vector_typeIfLj2EEffffjfiS5_IjLj3EEiiiiiiiiiiiliiliiiiil,comdat
	.globl	_ZL15flash_attn_tileILi64ELi64ELi1ELi4ELb0EEvPKcS1_S1_S1_S1_PKiPfP15HIP_vector_typeIfLj2EEffffjfiS5_IjLj3EEiiiiiiiiiiiliiliiiiil ; -- Begin function _ZL15flash_attn_tileILi64ELi64ELi1ELi4ELb0EEvPKcS1_S1_S1_S1_PKiPfP15HIP_vector_typeIfLj2EEffffjfiS5_IjLj3EEiiiiiiiiiiiliiliiiiil
	.p2align	8
	.type	_ZL15flash_attn_tileILi64ELi64ELi1ELi4ELb0EEvPKcS1_S1_S1_S1_PKiPfP15HIP_vector_typeIfLj2EEffffjfiS5_IjLj3EEiiiiiiiiiiiliiliiiiil,@function
_ZL15flash_attn_tileILi64ELi64ELi1ELi4ELb0EEvPKcS1_S1_S1_S1_PKiPfP15HIP_vector_typeIfLj2EEffffjfiS5_IjLj3EEiiiiiiiiiiiliiliiiiil: ; @_ZL15flash_attn_tileILi64ELi64ELi1ELi4ELb0EEvPKcS1_S1_S1_S1_PKiPfP15HIP_vector_typeIfLj2EEffffjfiS5_IjLj3EEiiiiiiiiiiiliiliiiiil
; %bb.0:
	s_load_dwordx4 s[24:27], s[4:5], 0x5c
	s_load_dwordx2 s[28:29], s[4:5], 0x80
	s_mov_b64 s[30:31], 0
	s_waitcnt lgkmcnt(0)
	s_ashr_i32 s0, s27, 31
	s_lshr_b32 s0, s0, 30
	s_add_i32 s0, s27, s0
	s_ashr_i32 s0, s0, 2
	v_cvt_f32_u32_e32 v1, s0
	s_sub_i32 s1, 0, s0
	v_rcp_iflag_f32_e32 v1, v1
	v_mul_f32_e32 v1, 0x4f7ffffe, v1
	v_cvt_u32_f32_e32 v1, v1
	v_readfirstlane_b32 s2, v1
	s_mul_i32 s1, s1, s2
	s_mul_hi_u32 s1, s2, s1
	s_add_i32 s2, s2, s1
	s_mul_hi_u32 s1, s8, s2
	s_mul_i32 s2, s1, s0
	s_sub_i32 s2, s8, s2
	s_add_i32 s3, s1, 1
	s_sub_i32 s9, s2, s0
	s_cmp_ge_u32 s2, s0
	s_cselect_b32 s1, s3, s1
	s_cselect_b32 s2, s9, s2
	s_add_i32 s3, s1, 1
	s_cmp_ge_u32 s2, s0
	s_cselect_b32 s33, s3, s1
	s_abs_i32 s0, s29
	v_cvt_f32_u32_e32 v1, s0
	s_lshl_b32 s1, s8, 2
	s_mul_i32 s8, s33, s27
	s_xor_b32 s2, s27, s29
	v_rcp_iflag_f32_e32 v1, v1
	s_sub_i32 s9, 0, s0
	s_sub_i32 s29, s1, s8
	s_abs_i32 s3, s27
	v_mul_f32_e32 v1, 0x4f7ffffe, v1
	v_cvt_u32_f32_e32 v1, v1
	s_ashr_i32 s2, s2, 31
	v_readfirstlane_b32 s1, v1
	s_mul_i32 s9, s9, s1
	s_mul_hi_u32 s8, s1, s9
	s_add_i32 s1, s1, s8
	s_mul_hi_u32 s1, s3, s1
	s_mul_i32 s8, s1, s0
	s_sub_i32 s3, s3, s8
	s_add_i32 s9, s1, 1
	s_sub_i32 s8, s3, s0
	s_cmp_ge_u32 s3, s0
	s_cselect_b32 s1, s9, s1
	s_cselect_b32 s3, s8, s3
	s_add_i32 s8, s1, 1
	s_cmp_ge_u32 s3, s0
	s_cselect_b32 s0, s8, s1
	s_xor_b32 s0, s0, s2
	s_sub_i32 s35, s0, s2
	s_abs_i32 s34, s35
	v_cvt_f32_u32_e32 v1, s34
	s_load_dwordx16 s[8:23], s[4:5], 0x0
	s_load_dwordx2 s[0:1], s[4:5], 0xb8
	v_rcp_iflag_f32_e32 v1, v1
	s_waitcnt lgkmcnt(0)
	s_cmp_eq_u64 s[14:15], 0
	v_mul_f32_e32 v1, 0x4f7ffffe, v1
	v_cvt_u32_f32_e32 v1, v1
	v_readfirstlane_b32 s36, v1
	s_cbranch_scc1 .LBB30_2
; %bb.1:
	s_abs_i32 s0, s0
	v_cvt_f32_u32_e32 v1, s0
	s_sub_i32 s37, 0, s0
	s_abs_i32 s31, s33
	s_ashr_i32 s30, s33, 31
	v_rcp_iflag_f32_e32 v1, v1
	s_load_dwordx2 s[2:3], s[4:5], 0xc8
	v_mul_f32_e32 v1, 0x4f7ffffe, v1
	v_cvt_u32_f32_e32 v1, v1
	v_readfirstlane_b32 s38, v1
	s_mul_i32 s37, s37, s38
	s_mul_hi_u32 s37, s38, s37
	s_add_i32 s38, s38, s37
	s_mul_hi_u32 s37, s31, s38
	s_mul_i32 s37, s37, s0
	s_sub_i32 s31, s31, s37
	s_sub_i32 s37, s31, s0
	s_cmp_ge_u32 s31, s0
	s_cselect_b32 s31, s37, s31
	s_sub_i32 s37, s31, s0
	s_cmp_ge_u32 s31, s0
	s_cselect_b32 s0, s37, s31
	s_xor_b32 s0, s0, s30
	s_sub_i32 s0, s0, s30
	s_ashr_i32 s30, s0, 31
	s_waitcnt lgkmcnt(0)
	s_mul_i32 s3, s0, s3
	s_mul_hi_u32 s31, s0, s2
	s_add_i32 s3, s31, s3
	s_mul_i32 s30, s30, s2
	s_add_i32 s3, s3, s30
	s_mul_i32 s0, s0, s2
	s_add_u32 s30, s14, s0
	s_addc_u32 s31, s15, s3
.LBB30_2:
	s_load_dwordx4 s[40:43], s[4:5], 0x70
	v_bfe_u32 v2, v0, 10, 10
	v_lshrrev_b32_e32 v1, 2, v2
	v_and_b32_e32 v24, 3, v2
	v_add_u32_e32 v1, s6, v1
	s_waitcnt lgkmcnt(0)
	s_mul_i32 s0, s33, s42
	s_ashr_i32 s3, s0, 31
	s_mul_i32 s2, s29, s41
	s_add_u32 s0, s8, s0
	s_addc_u32 s3, s9, s3
	s_ashr_i32 s8, s2, 31
	s_add_u32 s0, s0, s2
	s_addc_u32 s8, s3, s8
	s_ashr_i32 s9, s41, 31
	v_mov_b32_e32 v3, s41
	v_alignbit_b32 v3, s9, v3, 2
	v_mad_u64_u32 v[6:7], s[2:3], v3, v24, 0
	v_mul_hi_u32 v3, s24, v1
	v_add_u32_e32 v3, v1, v3
	v_mov_b32_e32 v4, v7
	s_lshr_b32 s2, s9, 2
	v_lshrrev_b32_e32 v3, s25, v3
	v_mad_u64_u32 v[4:5], s[2:3], s2, v24, v[4:5]
	v_mul_lo_u32 v3, v3, s26
	v_mov_b32_e32 v7, v4
	v_sub_u32_e32 v4, v1, v3
	s_ashr_i32 s9, s40, 31
	v_mov_b32_e32 v3, s40
	v_alignbit_b32 v3, s9, v3, 2
	v_mad_u64_u32 v[8:9], s[2:3], v3, v4, 0
	v_mov_b32_e32 v10, v9
	s_lshr_b32 s2, s9, 2
	v_mad_u64_u32 v[10:11], s[2:3], s2, v4, v[10:11]
	v_lshlrev_b64 v[6:7], 2, v[6:7]
	v_mov_b32_e32 v9, v10
	v_mov_b32_e32 v3, s8
	v_add_co_u32_e32 v5, vcc, s0, v6
	v_addc_co_u32_e32 v3, vcc, v3, v7, vcc
	v_lshlrev_b64 v[6:7], 2, v[8:9]
	v_and_b32_e32 v0, 0x3ff, v0
	v_add_co_u32_e32 v5, vcc, v5, v6
	v_addc_co_u32_e32 v3, vcc, v3, v7, vcc
	v_lshlrev_b32_e32 v6, 3, v0
	v_add_co_u32_e32 v6, vcc, v5, v6
	v_addc_co_u32_e32 v7, vcc, 0, v3, vcc
	global_load_dwordx2 v[6:7], v[6:7], off
	s_load_dword s0, s[4:5], 0x40
	v_lshlrev_b32_e32 v3, 5, v2
	v_add_lshl_u32 v3, v3, v0, 2
	s_cmp_eq_u64 s[18:19], 0
	s_waitcnt vmcnt(0) lgkmcnt(0)
	v_fma_mixlo_f16 v5, v6, s0, 0
	v_fma_mixhi_f16 v5, v7, s0, 0
	ds_write_b32 v3, v5 offset:9728
	s_waitcnt lgkmcnt(0)
	s_barrier
	s_cbranch_scc1 .LBB30_4
; %bb.3:
	s_load_dword s0, s[4:5], 0xd0
	s_mov_b32 s3, 0
	s_waitcnt lgkmcnt(0)
	s_mul_i32 s0, s0, s33
	s_add_i32 s2, s0, s6
	s_lshl_b64 s[2:3], s[2:3], 2
	s_add_u32 s2, s18, s2
	s_addc_u32 s3, s19, s3
	s_load_dword s28, s[2:3], 0x0
.LBB30_4:
	s_lshl_b32 s6, s7, 6
	s_waitcnt lgkmcnt(0)
	s_cmp_lt_i32 s6, s28
	v_mbcnt_lo_u32_b32 v12, -1, 0
	s_cbranch_scc1 .LBB30_6
; %bb.5:
	v_mbcnt_hi_u32_b32 v3, -1, v12
	v_and_b32_e32 v5, 0x60, v3
	s_mov_b32 s0, 0
	v_add_u32_e32 v27, 32, v5
	v_xor_b32_e32 v32, 16, v3
	v_xor_b32_e32 v31, 8, v3
	;; [unrolled: 1-line block ×5, first 2 shown]
	s_mov_b64 s[2:3], 0
	s_mov_b32 s8, 0xfeffffff
	s_branch .LBB30_7
.LBB30_6:
	s_mov_b64 s[2:3], -1
                                        ; implicit-def: $sgpr0
                                        ; implicit-def: $sgpr8
                                        ; implicit-def: $vgpr3
                                        ; implicit-def: $vgpr27
                                        ; implicit-def: $vgpr32
                                        ; implicit-def: $vgpr31
                                        ; implicit-def: $vgpr30
                                        ; implicit-def: $vgpr29
                                        ; implicit-def: $vgpr28
.LBB30_7:
	s_andn2_b64 vcc, exec, s[2:3]
	v_mov_b32_e32 v26, s0
	v_mov_b32_e32 v20, s8
	;; [unrolled: 1-line block ×3, first 2 shown]
	v_lshlrev_b32_e32 v25, 1, v0
	s_cbranch_vccnz .LBB30_10
; %bb.8:
	s_sub_i32 s0, 0, s34
	s_mul_i32 s0, s0, s36
	s_mul_hi_u32 s0, s36, s0
	s_add_i32 s0, s36, s0
	s_load_dwordx2 s[2:3], s[4:5], 0x8c
	s_load_dwordx4 s[36:39], s[4:5], 0x98
	s_ashr_i32 s24, s35, 31
	s_abs_i32 s18, s29
	s_ashr_i32 s19, s29, 31
	s_waitcnt lgkmcnt(0)
	s_ashr_i32 s15, s2, 2
	s_ashr_i32 s2, s33, 31
	s_mul_i32 s25, s33, s37
	s_mul_hi_u32 s35, s33, s36
	s_add_i32 s25, s35, s25
	s_mul_i32 s35, s2, s36
	s_ashr_i32 s14, s38, 2
	s_ashr_i32 s1, s1, 1
	s_add_i32 s25, s25, s35
	s_mul_i32 s35, s33, s36
	s_mul_hi_u32 s0, s18, s0
	s_add_u32 s10, s10, s35
	s_addc_u32 s11, s11, s25
	s_xor_b32 s19, s19, s24
	s_mul_i32 s24, s0, s34
	s_sub_i32 s18, s18, s24
	s_add_i32 s24, s0, 1
	s_sub_i32 s25, s18, s34
	s_cmp_ge_u32 s18, s34
	s_cselect_b32 s0, s24, s0
	s_cselect_b32 s18, s25, s18
	s_add_i32 s24, s0, 1
	s_cmp_ge_u32 s18, s34
	s_load_dwordx2 s[8:9], s[4:5], 0xa8
	s_cselect_b32 s0, s24, s0
	s_xor_b32 s0, s0, s19
	s_sub_i32 s0, s0, s19
	s_mul_i32 s3, s0, s3
	s_ashr_i32 s19, s3, 31
	s_add_u32 s18, s10, s3
	s_waitcnt lgkmcnt(0)
	s_mul_i32 s3, s33, s9
	s_mul_hi_u32 s9, s33, s8
	s_addc_u32 s19, s11, s19
	s_add_i32 s3, s9, s3
	s_mul_i32 s2, s2, s8
	s_add_i32 s3, s3, s2
	s_mul_i32 s2, s33, s8
	s_add_u32 s2, s12, s2
	s_mul_i32 s0, s0, s39
	v_lshlrev_b32_e32 v33, 2, v0
	s_addc_u32 s3, s13, s3
	s_ashr_i32 s8, s0, 31
	v_lshrrev_b32_e32 v3, 3, v0
	v_and_b32_e32 v6, 28, v33
	s_add_u32 s12, s2, s0
	v_lshl_add_u32 v5, v2, 2, v3
	v_lshlrev_b32_e32 v7, 2, v6
	s_movk_i32 s0, 0x90
	s_addc_u32 s13, s3, s8
	v_mad_u32_u24 v34, v5, s0, v7
	v_mul_lo_u32 v8, s15, v5
	s_lshl_b32 s0, s15, 4
	v_add_u32_e32 v10, s0, v8
	v_add_u32_e32 v14, s0, v10
	;; [unrolled: 1-line block ×3, first 2 shown]
	v_lshlrev_b32_e32 v38, 7, v2
	v_mad_u64_u32 v[2:3], s[0:1], v4, s1, v[0:1]
	s_movk_i32 s0, 0x2400
	v_add3_u32 v40, v38, v25, s0
	v_mul_lo_u32 v18, s14, v5
	s_lshl_b32 s0, s14, 4
	v_add_u32_e32 v22, s0, v18
	v_add_u32_e32 v48, s0, v22
	;; [unrolled: 1-line block ×3, first 2 shown]
	v_mbcnt_hi_u32_b32 v3, -1, v12
	v_ashrrev_i32_e32 v9, 31, v8
	v_ashrrev_i32_e32 v11, 31, v10
	;; [unrolled: 1-line block ×4, first 2 shown]
	v_lshl_or_b32 v41, v5, 7, v7
	v_ashrrev_i32_e32 v19, 31, v18
	v_ashrrev_i32_e32 v23, 31, v22
	;; [unrolled: 1-line block ×4, first 2 shown]
	s_add_u32 s10, s4, 0xd0
	v_and_b32_e32 v12, 0x60, v3
	v_mov_b32_e32 v26, 0
	v_add_u32_e32 v35, 0x900, v34
	v_add_u32_e32 v36, 0x1200, v34
	;; [unrolled: 1-line block ×3, first 2 shown]
	v_mul_u32_u24_e32 v39, 0x90, v0
	v_add_u32_e32 v42, 0x800, v41
	v_add_u32_e32 v43, 0x1000, v41
	;; [unrolled: 1-line block ×3, first 2 shown]
	s_addc_u32 s11, s5, 0
	v_mov_b32_e32 v20, 0xfeffffff
	v_lshlrev_b64 v[4:5], 2, v[8:9]
	v_lshlrev_b32_e32 v45, 2, v6
	v_lshlrev_b64 v[6:7], 2, v[10:11]
	v_lshlrev_b64 v[8:9], 2, v[14:15]
	;; [unrolled: 1-line block ×3, first 2 shown]
	v_mov_b32_e32 v46, s31
	v_add_u32_e32 v27, 32, v12
	v_xor_b32_e32 v32, 16, v3
	v_xor_b32_e32 v31, 8, v3
	;; [unrolled: 1-line block ×5, first 2 shown]
	s_mov_b32 s24, 0x3fb8aa3b
	s_mov_b32 s25, 0xc2ce8ed0
	;; [unrolled: 1-line block ×3, first 2 shown]
	v_mov_b32_e32 v47, 0x7f800000
	v_lshlrev_b64 v[12:13], 2, v[18:19]
	v_lshlrev_b64 v[14:15], 2, v[22:23]
	;; [unrolled: 1-line block ×4, first 2 shown]
	v_add_u32_e32 v48, 0x400, v33
	v_add_u32_e32 v49, 0x800, v33
	;; [unrolled: 1-line block ×7, first 2 shown]
	v_mov_b32_e32 v22, 0
.LBB30_9:                               ; =>This Inner Loop Header: Depth=1
	v_cmp_lt_i32_e32 vcc, v32, v27
	v_cndmask_b32_e32 v23, v3, v32, vcc
	v_cmp_lt_i32_e32 vcc, v31, v27
	v_add_u32_e32 v56, s6, v2
	v_cndmask_b32_e32 v58, v3, v31, vcc
	v_cmp_lt_i32_e32 vcc, v30, v27
	s_mul_hi_i32 s1, s6, s15
	s_mul_i32 s0, s6, s15
	v_cndmask_b32_e32 v59, v3, v30, vcc
	v_cmp_lt_i32_e32 vcc, v29, v27
	v_ashrrev_i32_e32 v57, 31, v56
	v_cndmask_b32_e32 v60, v3, v29, vcc
	v_cmp_lt_i32_e32 vcc, v28, v27
	v_mov_b32_e32 v80, v22
	s_lshl_b64 s[0:1], s[0:1], 2
	v_lshlrev_b32_e32 v81, 2, v23
	v_lshlrev_b64 v[22:23], 1, v[56:57]
	v_cndmask_b32_e32 v61, v3, v28, vcc
	s_add_u32 s8, s18, s0
	v_add_co_u32_e32 v22, vcc, s30, v22
	s_addc_u32 s9, s19, s1
	v_addc_co_u32_e32 v23, vcc, v46, v23, vcc
	s_mul_hi_i32 s3, s6, s14
	s_mul_i32 s2, s6, s14
	v_lshlrev_b32_e32 v82, 2, v58
	v_mov_b32_e32 v57, s9
	v_add_co_u32_e32 v58, vcc, s8, v6
	v_lshlrev_b32_e32 v83, 2, v59
	v_lshlrev_b32_e32 v85, 2, v61
	s_lshl_b64 s[34:35], s[2:3], 2
	v_mov_b32_e32 v56, s9
	v_mov_b32_e32 v59, s9
	v_add_co_u32_e64 v61, s[0:1], s8, v8
	v_mov_b32_e32 v62, s9
	v_add_co_u32_e64 v63, s[2:3], s8, v10
	v_add_co_u32_e64 v65, s[8:9], s8, v4
	v_addc_co_u32_e32 v67, vcc, v57, v7, vcc
	v_lshlrev_b32_e32 v84, 2, v60
	v_addc_co_u32_e64 v66, s[8:9], v56, v5, s[8:9]
	v_add_co_u32_e32 v60, vcc, v58, v45
	v_addc_co_u32_e64 v58, s[0:1], v59, v9, s[0:1]
	v_addc_co_u32_e64 v59, s[2:3], v62, v11, s[2:3]
	v_add_co_u32_e64 v64, s[0:1], v61, v45
	v_add_co_u32_e64 v68, s[2:3], v63, v45
	;; [unrolled: 1-line block ×3, first 2 shown]
	v_addc_co_u32_e64 v57, s[8:9], 0, v66, s[8:9]
	v_addc_co_u32_e32 v61, vcc, 0, v67, vcc
	v_addc_co_u32_e64 v65, vcc, 0, v58, s[0:1]
	v_addc_co_u32_e64 v69, vcc, 0, v59, s[2:3]
	global_load_dwordx4 v[56:59], v[56:57], off
	s_nop 0
	global_load_dwordx4 v[60:63], v[60:61], off
	s_nop 0
	;; [unrolled: 2-line block ×3, first 2 shown]
	global_load_dwordx4 v[68:71], v[68:69], off
	v_mov_b32_e32 v55, v20
	v_mov_b32_e32 v20, 0
	;; [unrolled: 1-line block ×3, first 2 shown]
	s_add_u32 s34, s12, s34
	s_addc_u32 s35, s13, s35
	v_mov_b32_e32 v72, s35
	v_add_co_u32_e32 v73, vcc, s34, v12
	v_mov_b32_e32 v74, s35
	v_add_co_u32_e64 v75, s[0:1], s34, v14
	v_mov_b32_e32 v76, s35
	v_add_co_u32_e64 v77, s[2:3], s34, v16
	v_addc_co_u32_e32 v86, vcc, v72, v13, vcc
	v_addc_co_u32_e64 v87, vcc, v74, v15, s[0:1]
	v_mov_b32_e32 v78, s35
	v_add_co_u32_e64 v79, s[8:9], s34, v18
	v_add_co_u32_e32 v72, vcc, v75, v45
	v_addc_co_u32_e64 v75, s[0:1], v76, v17, s[2:3]
	s_waitcnt vmcnt(3)
	ds_write_b128 v34, v[56:59]
	s_waitcnt vmcnt(2)
	ds_write_b128 v35, v[60:63]
	;; [unrolled: 2-line block ×4, first 2 shown]
	s_waitcnt lgkmcnt(0)
	s_barrier
	ds_read_b128 v[56:59], v39
	ds_read_b128 v[60:63], v38 offset:9728
	ds_read_b128 v[64:67], v39 offset:4608
	s_waitcnt lgkmcnt(1)
	;;#ASMSTART
	v_dot2_f32_f16 v20, v56, v60, v20
	;;#ASMEND
	;;#ASMSTART
	v_dot2_f32_f16 v20, v57, v61, v20
	;;#ASMEND
	;;#ASMSTART
	v_dot2_f32_f16 v20, v58, v62, v20
	;;#ASMEND
	;;#ASMSTART
	v_dot2_f32_f16 v20, v59, v63, v20
	;;#ASMEND
	s_waitcnt lgkmcnt(0)
	;;#ASMSTART
	v_dot2_f32_f16 v21, v64, v60, v21
	;;#ASMEND
	;;#ASMSTART
	v_dot2_f32_f16 v21, v65, v61, v21
	;;#ASMEND
	;;#ASMSTART
	v_dot2_f32_f16 v21, v66, v62, v21
	;;#ASMEND
	;;#ASMSTART
	v_dot2_f32_f16 v21, v67, v63, v21
	;;#ASMEND
	ds_read_b128 v[56:59], v39 offset:16
	ds_read_b128 v[60:63], v38 offset:9744
	ds_read_b128 v[64:67], v39 offset:4624
	s_waitcnt lgkmcnt(1)
	;;#ASMSTART
	v_dot2_f32_f16 v20, v56, v60, v20
	;;#ASMEND
	;;#ASMSTART
	v_dot2_f32_f16 v20, v57, v61, v20
	;;#ASMEND
	;;#ASMSTART
	v_dot2_f32_f16 v20, v58, v62, v20
	;;#ASMEND
	;;#ASMSTART
	v_dot2_f32_f16 v20, v59, v63, v20
	;;#ASMEND
	s_waitcnt lgkmcnt(0)
	;;#ASMSTART
	v_dot2_f32_f16 v21, v64, v60, v21
	;;#ASMEND
	;;#ASMSTART
	v_dot2_f32_f16 v21, v65, v61, v21
	;;#ASMEND
	;;#ASMSTART
	v_dot2_f32_f16 v21, v66, v62, v21
	;;#ASMEND
	;;#ASMSTART
	v_dot2_f32_f16 v21, v67, v63, v21
	;;#ASMEND
	ds_read_b128 v[56:59], v39 offset:32
	;; [unrolled: 29-line block ×7, first 2 shown]
	ds_read_b128 v[60:63], v38 offset:9840
	ds_read_b128 v[64:67], v39 offset:4720
	s_waitcnt lgkmcnt(1)
	;;#ASMSTART
	v_dot2_f32_f16 v20, v56, v60, v20
	;;#ASMEND
	;;#ASMSTART
	v_dot2_f32_f16 v20, v57, v61, v20
	;;#ASMEND
	;; [unrolled: 3-line block ×4, first 2 shown]
	s_waitcnt lgkmcnt(0)
	;;#ASMSTART
	v_dot2_f32_f16 v21, v64, v60, v21
	;;#ASMEND
	;;#ASMSTART
	v_dot2_f32_f16 v21, v65, v61, v21
	;;#ASMEND
	v_add_co_u32_e64 v74, s[0:1], v77, v45
	v_addc_co_u32_e64 v77, s[2:3], v78, v19, s[8:9]
	v_add_co_u32_e64 v78, s[8:9], v73, v45
	;;#ASMSTART
	v_dot2_f32_f16 v21, v66, v62, v21
	;;#ASMEND
	v_add_co_u32_e64 v76, s[2:3], v79, v45
	v_addc_co_u32_e64 v79, s[8:9], 0, v86, s[8:9]
	;;#ASMSTART
	v_dot2_f32_f16 v21, v67, v63, v21
	;;#ASMEND
	flat_load_ushort v86, v[22:23] offset:64
	s_nop 0
	flat_load_ushort v22, v[22:23]
	v_addc_co_u32_e32 v73, vcc, 0, v87, vcc
	v_addc_co_u32_e64 v75, vcc, 0, v75, s[0:1]
	v_addc_co_u32_e64 v77, vcc, 0, v77, s[2:3]
	s_waitcnt lgkmcnt(0)
	s_barrier
	global_load_dwordx4 v[56:59], v[78:79], off
	global_load_dwordx4 v[60:63], v[72:73], off
	;; [unrolled: 1-line block ×3, first 2 shown]
                                        ; kill: killed $vgpr74 killed $vgpr75
                                        ; kill: killed $vgpr72 killed $vgpr73
                                        ; kill: killed $vgpr78 killed $vgpr79
	global_load_dwordx4 v[68:71], v[76:77], off
	s_waitcnt vmcnt(0)
	v_cvt_f32_f16_e32 v23, v86
	v_cvt_f32_f16_e32 v22, v22
	v_pk_add_f32 v[22:23], v[20:21], v[22:23]
	v_add_f32_e32 v20, 0x40051340, v22
	v_add_f32_e32 v21, 0x40051340, v23
	v_max3_f32 v20, v55, v20, v21
	ds_bpermute_b32 v21, v81, v20
	s_waitcnt lgkmcnt(0)
	v_max_f32_e32 v21, v21, v21
	v_max_f32_e32 v20, v20, v21
	ds_bpermute_b32 v21, v82, v20
	s_waitcnt lgkmcnt(0)
	v_max_f32_e32 v21, v21, v21
	v_max_f32_e32 v20, v20, v21
	;; [unrolled: 4-line block ×5, first 2 shown]
	v_sub_f32_e32 v21, v55, v20
	v_pk_add_f32 v[22:23], v[22:23], v[20:21] op_sel_hi:[1,0] neg_lo:[0,1] neg_hi:[0,1]
	v_mul_f32_e32 v72, 0x3fb8aa3b, v22
	v_mul_f32_e32 v55, 0x3fb8aa3b, v23
	;; [unrolled: 1-line block ×3, first 2 shown]
	v_fma_f32 v76, v22, s24, -v72
	v_rndne_f32_e32 v77, v72
	v_fma_f32 v74, v23, s24, -v55
	v_rndne_f32_e32 v75, v55
	;; [unrolled: 2-line block ×3, first 2 shown]
	v_fmac_f32_e32 v76, 0x32a5705f, v22
	v_sub_f32_e32 v72, v72, v77
	v_fmac_f32_e32 v74, 0x32a5705f, v23
	v_sub_f32_e32 v55, v55, v75
	;; [unrolled: 2-line block ×3, first 2 shown]
	v_add_f32_e32 v72, v72, v76
	v_cvt_i32_f32_e32 v77, v77
	v_add_f32_e32 v55, v55, v74
	v_add_f32_e32 v73, v73, v78
	v_exp_f32_e32 v72, v72
	v_cvt_i32_f32_e32 v75, v75
	v_cvt_i32_f32_e32 v79, v79
	v_exp_f32_e32 v55, v55
	v_exp_f32_e32 v73, v73
	v_ldexp_f32 v72, v72, v77
	v_cmp_ngt_f32_e32 vcc, s25, v22
	v_ldexp_f32 v55, v55, v75
	v_ldexp_f32 v73, v73, v79
	v_cmp_ngt_f32_e64 s[0:1], s25, v21
	v_cmp_ngt_f32_e64 s[2:3], s25, v23
	v_cndmask_b32_e32 v72, 0, v72, vcc
	v_cmp_nlt_f32_e32 vcc, s31, v22
	v_cndmask_b32_e64 v55, 0, v55, s[2:3]
	v_cndmask_b32_e64 v22, 0, v73, s[0:1]
	v_cmp_nlt_f32_e64 s[0:1], s31, v21
	v_cmp_nlt_f32_e64 s[2:3], s31, v23
	v_cndmask_b32_e32 v23, v47, v72, vcc
	v_cndmask_b32_e64 v21, v47, v55, s[2:3]
	v_cndmask_b32_e64 v55, v47, v22, s[0:1]
	v_cvt_f16_f32_e32 v72, v23
	v_add_f32_e32 v22, v23, v21
	v_cvt_f16_f32_e32 v21, v21
	v_cvt_f16_f32_e32 v23, v55
	v_fmac_f32_e32 v22, v80, v55
	ds_write_b16 v40, v72
	ds_write_b16 v40, v21 offset:64
	ds_write_b128 v41, v[56:59]
	ds_write_b128 v42, v[60:63]
	ds_write_b128 v43, v[64:67]
	ds_write_b128 v44, v[68:71]
	s_waitcnt lgkmcnt(0)
	s_barrier
	ds_read2_b32 v[88:89], v33 offset1:32
	ds_read_b128 v[56:59], v38 offset:9216
	ds_read_b128 v[60:63], v38 offset:9232
	;; [unrolled: 1-line block ×4, first 2 shown]
	ds_read2_b32 v[90:91], v33 offset0:64 offset1:96
	ds_read2_b32 v[92:93], v33 offset0:128 offset1:160
	ds_read2_b32 v[94:95], v33 offset0:192 offset1:224
	ds_read2_b32 v[96:97], v48 offset1:32
	ds_read2_b32 v[98:99], v48 offset0:64 offset1:96
	ds_read2_b32 v[100:101], v48 offset0:128 offset1:160
	ds_read2_b32 v[102:103], v48 offset0:192 offset1:224
	ds_read2_b32 v[104:105], v49 offset1:32
	;; [unrolled: 4-line block ×5, first 2 shown]
	ds_read_b128 v[72:75], v38 offset:9280
	ds_read_b128 v[76:79], v38 offset:9296
	ds_read2_b32 v[130:131], v52 offset0:64 offset1:96
	ds_read2_b32 v[132:133], v52 offset0:128 offset1:160
	;; [unrolled: 1-line block ×3, first 2 shown]
	ds_read2_b32 v[136:137], v53 offset1:32
	ds_read2_b32 v[138:139], v53 offset0:64 offset1:96
	ds_read2_b32 v[140:141], v53 offset0:128 offset1:160
	;; [unrolled: 1-line block ×3, first 2 shown]
	ds_read2_b32 v[144:145], v54 offset1:32
	ds_read_b128 v[80:83], v38 offset:9312
	ds_read_b128 v[84:87], v38 offset:9328
	ds_read2_b32 v[146:147], v54 offset0:64 offset1:96
	ds_read2_b32 v[148:149], v54 offset0:128 offset1:160
	ds_read2_b32 v[150:151], v54 offset0:192 offset1:224
	s_waitcnt lgkmcnt(14)
	v_pk_mul_f16 v21, v88, v56 op_sel_hi:[1,0]
	v_pk_fma_f16 v21, v26, v23, v21 op_sel_hi:[1,0,1]
	v_pk_fma_f16 v21, v89, v56, v21 op_sel:[0,1,0]
	v_pk_fma_f16 v21, v90, v57, v21 op_sel_hi:[1,0,1]
	v_pk_fma_f16 v21, v91, v57, v21 op_sel:[0,1,0]
	;; [unrolled: 2-line block ×20, first 2 shown]
	s_waitcnt lgkmcnt(13)
	v_pk_fma_f16 v21, v128, v76, v21 op_sel_hi:[1,0,1]
	v_pk_fma_f16 v21, v129, v76, v21 op_sel:[0,1,0]
	s_waitcnt lgkmcnt(12)
	v_pk_fma_f16 v21, v130, v77, v21 op_sel_hi:[1,0,1]
	v_pk_fma_f16 v21, v131, v77, v21 op_sel:[0,1,0]
	;; [unrolled: 3-line block ×5, first 2 shown]
	v_pk_fma_f16 v21, v138, v81, v21 op_sel_hi:[1,0,1]
	v_pk_fma_f16 v21, v139, v81, v21 op_sel:[0,1,0]
	v_pk_fma_f16 v21, v140, v82, v21 op_sel_hi:[1,0,1]
	v_pk_fma_f16 v21, v141, v82, v21 op_sel:[0,1,0]
	;; [unrolled: 2-line block ×3, first 2 shown]
	s_waitcnt lgkmcnt(0)
	s_barrier
	s_load_dword s0, s[10:11], 0x4
	v_pk_fma_f16 v21, v144, v84, v21 op_sel_hi:[1,0,1]
	v_pk_fma_f16 v21, v145, v84, v21 op_sel:[0,1,0]
	v_pk_fma_f16 v21, v146, v85, v21 op_sel_hi:[1,0,1]
	v_pk_fma_f16 v21, v147, v85, v21 op_sel:[0,1,0]
	v_pk_fma_f16 v21, v148, v86, v21 op_sel_hi:[1,0,1]
	s_waitcnt lgkmcnt(0)
	s_lshl_b32 s0, s0, 6
	v_pk_fma_f16 v21, v149, v86, v21 op_sel:[0,1,0]
	s_add_i32 s6, s0, s6
	v_pk_fma_f16 v21, v150, v87, v21 op_sel_hi:[1,0,1]
	s_cmp_lt_i32 s6, s28
	v_pk_fma_f16 v26, v151, v87, v21 op_sel:[0,1,0]
	s_cbranch_scc1 .LBB30_9
.LBB30_10:
	v_cmp_lt_i32_e32 vcc, v32, v27
	v_cndmask_b32_e32 v2, v3, v32, vcc
	v_lshlrev_b32_e32 v2, 2, v2
	ds_bpermute_b32 v2, v2, v22
	v_cmp_lt_i32_e32 vcc, v31, v27
	v_cndmask_b32_e32 v4, v3, v31, vcc
	v_lshlrev_b32_e32 v4, 2, v4
	v_cmp_lt_i32_e32 vcc, v30, v27
	s_waitcnt lgkmcnt(0)
	v_add_f32_e32 v2, v22, v2
	ds_bpermute_b32 v4, v4, v2
	v_cndmask_b32_e32 v5, v3, v30, vcc
	v_lshlrev_b32_e32 v5, 2, v5
	v_cmp_lt_i32_e32 vcc, v29, v27
	s_cmp_eq_u64 s[16:17], 0
	s_waitcnt lgkmcnt(0)
	v_add_f32_e32 v2, v2, v4
	ds_bpermute_b32 v4, v5, v2
	v_cndmask_b32_e32 v5, v3, v29, vcc
	v_lshlrev_b32_e32 v5, 2, v5
	v_cmp_lt_i32_e32 vcc, v28, v27
	v_cndmask_b32_e32 v3, v3, v28, vcc
	s_waitcnt lgkmcnt(0)
	v_add_f32_e32 v4, v2, v4
	ds_bpermute_b32 v5, v5, v4
	v_lshlrev_b32_e32 v3, 2, v3
	s_cselect_b64 s[0:1], -1, 0
	s_cmp_lg_u32 s7, 0
	s_cselect_b64 s[2:3], -1, 0
	s_waitcnt lgkmcnt(0)
	v_add_f32_e32 v4, v4, v5
	ds_bpermute_b32 v3, v3, v4
	s_or_b64 s[0:1], s[2:3], s[0:1]
	v_add_u32_e32 v2, s29, v24
	s_and_b64 vcc, exec, s[0:1]
	s_waitcnt lgkmcnt(0)
	v_add_f32_e32 v21, v4, v3
	s_cbranch_vccnz .LBB30_12
; %bb.11:
	v_ashrrev_i32_e32 v3, 31, v2
	v_lshlrev_b64 v[4:5], 2, v[2:3]
	v_mov_b32_e32 v3, s17
	v_add_co_u32_e32 v4, vcc, s16, v4
	v_addc_co_u32_e32 v5, vcc, v3, v5, vcc
	global_load_dword v3, v[4:5], off
	v_max_f32_e32 v4, v20, v20
	s_mov_b32 s0, 0x3fb8aa3b
	s_mov_b32 s1, 0xc2ce8ed0
	s_waitcnt vmcnt(0)
	v_max_f32_e32 v5, v3, v3
	v_max_f32_e32 v4, v4, v5
	v_sub_f32_e32 v5, v20, v4
	v_sub_f32_e32 v3, v3, v4
	v_mul_f32_e32 v6, 0x3fb8aa3b, v5
	v_mul_f32_e32 v7, 0x3fb8aa3b, v3
	v_fma_f32 v8, v5, s0, -v6
	v_rndne_f32_e32 v9, v6
	v_fma_f32 v10, v3, s0, -v7
	v_rndne_f32_e32 v11, v7
	v_fmac_f32_e32 v8, 0x32a5705f, v5
	v_sub_f32_e32 v6, v6, v9
	v_fmac_f32_e32 v10, 0x32a5705f, v3
	v_sub_f32_e32 v7, v7, v11
	v_add_f32_e32 v6, v6, v8
	v_cvt_i32_f32_e32 v9, v9
	v_add_f32_e32 v7, v7, v10
	v_exp_f32_e32 v6, v6
	v_cvt_i32_f32_e32 v11, v11
	v_exp_f32_e32 v7, v7
	v_cmp_ngt_f32_e32 vcc, s1, v5
	v_ldexp_f32 v6, v6, v9
	s_mov_b32 s0, 0x42b17218
	v_ldexp_f32 v7, v7, v11
	v_cndmask_b32_e32 v6, 0, v6, vcc
	v_cmp_ngt_f32_e32 vcc, s1, v3
	v_mov_b32_e32 v8, 0x7f800000
	v_cndmask_b32_e32 v7, 0, v7, vcc
	v_cmp_nlt_f32_e32 vcc, s0, v5
	v_cndmask_b32_e32 v6, v8, v6, vcc
	v_cvt_f16_f32_e32 v9, v6
	v_cmp_nlt_f32_e32 vcc, s0, v3
	v_cndmask_b32_e32 v5, v8, v7, vcc
	v_fmac_f32_e32 v5, v21, v6
	v_pk_mul_f16 v26, v26, v9 op_sel_hi:[1,0]
	v_pk_mov_b32 v[20:21], v[4:5], v[4:5] op_sel:[0,1]
	s_branch .LBB30_13
.LBB30_12:
	v_mov_b32_e32 v5, v21
.LBB30_13:
	v_div_scale_f32 v3, s[0:1], v5, v5, 1.0
	v_rcp_f32_e32 v4, v3
	s_load_dword s4, s[4:5], 0xd4
	s_mul_i32 s33, s33, s26
	v_add_u32_e32 v1, s33, v1
	v_fma_f32 v6, -v3, v4, 1.0
	v_fmac_f32_e32 v4, v6, v4
	v_div_scale_f32 v6, vcc, 1.0, v5, 1.0
	v_mul_f32_e32 v7, v6, v4
	v_fma_f32 v8, -v3, v7, v6
	v_fmac_f32_e32 v7, v8, v4
	v_fma_f32 v3, -v3, v7, v6
	s_waitcnt lgkmcnt(0)
	s_cmp_lg_u32 s4, 1
	v_div_fmas_f32 v3, v3, v4, v7
	v_div_fixup_f32 v3, v3, v5, 1.0
	s_cselect_b64 s[0:1], -1, 0
	v_cndmask_b32_e64 v4, v3, 1.0, s[0:1]
	v_mad_u64_u32 v[2:3], s[2:3], v1, s27, v[2:3]
	v_mul_lo_u32 v1, s4, v2
	v_add_u32_e32 v2, s7, v1
	v_lshl_add_u32 v6, v2, 6, v25
	v_mov_b32_e32 v7, 0
	v_lshlrev_b64 v[6:7], 2, v[6:7]
	v_cvt_f32_f16_sdwa v9, v26 dst_sel:DWORD dst_unused:UNUSED_PAD src0_sel:WORD_1
	v_cvt_f32_f16_e32 v8, v26
	v_mov_b32_e32 v1, s21
	v_add_co_u32_e32 v6, vcc, s20, v6
	v_addc_co_u32_e32 v7, vcc, v1, v7, vcc
	v_cmp_eq_u32_e32 vcc, 0, v0
	v_pk_mul_f32 v[4:5], v[4:5], v[8:9] op_sel_hi:[0,1]
	s_and_b64 s[0:1], vcc, s[0:1]
	global_store_dwordx2 v[6:7], v[4:5], off
	s_and_saveexec_b64 s[2:3], s[0:1]
	s_cbranch_execz .LBB30_15
; %bb.14:
	v_ashrrev_i32_e32 v3, 31, v2
	v_lshlrev_b64 v[0:1], 3, v[2:3]
	v_mov_b32_e32 v2, s23
	v_add_co_u32_e32 v0, vcc, s22, v0
	v_addc_co_u32_e32 v1, vcc, v2, v1, vcc
	global_store_dwordx2 v[0:1], v[20:21], off
.LBB30_15:
	s_endpgm
	.section	.rodata,"a",@progbits
	.p2align	6, 0x0
	.amdhsa_kernel _ZL15flash_attn_tileILi64ELi64ELi1ELi4ELb0EEvPKcS1_S1_S1_S1_PKiPfP15HIP_vector_typeIfLj2EEffffjfiS5_IjLj3EEiiiiiiiiiiiliiliiiiil
		.amdhsa_group_segment_fixed_size 10240
		.amdhsa_private_segment_fixed_size 0
		.amdhsa_kernarg_size 464
		.amdhsa_user_sgpr_count 6
		.amdhsa_user_sgpr_private_segment_buffer 1
		.amdhsa_user_sgpr_dispatch_ptr 0
		.amdhsa_user_sgpr_queue_ptr 0
		.amdhsa_user_sgpr_kernarg_segment_ptr 1
		.amdhsa_user_sgpr_dispatch_id 0
		.amdhsa_user_sgpr_flat_scratch_init 0
		.amdhsa_user_sgpr_kernarg_preload_length 0
		.amdhsa_user_sgpr_kernarg_preload_offset 0
		.amdhsa_user_sgpr_private_segment_size 0
		.amdhsa_uses_dynamic_stack 0
		.amdhsa_system_sgpr_private_segment_wavefront_offset 0
		.amdhsa_system_sgpr_workgroup_id_x 1
		.amdhsa_system_sgpr_workgroup_id_y 1
		.amdhsa_system_sgpr_workgroup_id_z 1
		.amdhsa_system_sgpr_workgroup_info 0
		.amdhsa_system_vgpr_workitem_id 1
		.amdhsa_next_free_vgpr 152
		.amdhsa_next_free_sgpr 44
		.amdhsa_accum_offset 152
		.amdhsa_reserve_vcc 1
		.amdhsa_reserve_flat_scratch 0
		.amdhsa_float_round_mode_32 0
		.amdhsa_float_round_mode_16_64 0
		.amdhsa_float_denorm_mode_32 3
		.amdhsa_float_denorm_mode_16_64 3
		.amdhsa_dx10_clamp 1
		.amdhsa_ieee_mode 1
		.amdhsa_fp16_overflow 0
		.amdhsa_tg_split 0
		.amdhsa_exception_fp_ieee_invalid_op 0
		.amdhsa_exception_fp_denorm_src 0
		.amdhsa_exception_fp_ieee_div_zero 0
		.amdhsa_exception_fp_ieee_overflow 0
		.amdhsa_exception_fp_ieee_underflow 0
		.amdhsa_exception_fp_ieee_inexact 0
		.amdhsa_exception_int_div_zero 0
	.end_amdhsa_kernel
	.section	.text._ZL15flash_attn_tileILi64ELi64ELi1ELi4ELb0EEvPKcS1_S1_S1_S1_PKiPfP15HIP_vector_typeIfLj2EEffffjfiS5_IjLj3EEiiiiiiiiiiiliiliiiiil,"axG",@progbits,_ZL15flash_attn_tileILi64ELi64ELi1ELi4ELb0EEvPKcS1_S1_S1_S1_PKiPfP15HIP_vector_typeIfLj2EEffffjfiS5_IjLj3EEiiiiiiiiiiiliiliiiiil,comdat
.Lfunc_end30:
	.size	_ZL15flash_attn_tileILi64ELi64ELi1ELi4ELb0EEvPKcS1_S1_S1_S1_PKiPfP15HIP_vector_typeIfLj2EEffffjfiS5_IjLj3EEiiiiiiiiiiiliiliiiiil, .Lfunc_end30-_ZL15flash_attn_tileILi64ELi64ELi1ELi4ELb0EEvPKcS1_S1_S1_S1_PKiPfP15HIP_vector_typeIfLj2EEffffjfiS5_IjLj3EEiiiiiiiiiiiliiliiiiil
                                        ; -- End function
	.section	.AMDGPU.csdata,"",@progbits
; Kernel info:
; codeLenInByte = 4928
; NumSgprs: 48
; NumVgprs: 152
; NumAgprs: 0
; TotalNumVgprs: 152
; ScratchSize: 0
; MemoryBound: 0
; FloatMode: 240
; IeeeMode: 1
; LDSByteSize: 10240 bytes/workgroup (compile time only)
; SGPRBlocks: 5
; VGPRBlocks: 18
; NumSGPRsForWavesPerEU: 48
; NumVGPRsForWavesPerEU: 152
; AccumOffset: 152
; Occupancy: 3
; WaveLimiterHint : 1
; COMPUTE_PGM_RSRC2:SCRATCH_EN: 0
; COMPUTE_PGM_RSRC2:USER_SGPR: 6
; COMPUTE_PGM_RSRC2:TRAP_HANDLER: 0
; COMPUTE_PGM_RSRC2:TGID_X_EN: 1
; COMPUTE_PGM_RSRC2:TGID_Y_EN: 1
; COMPUTE_PGM_RSRC2:TGID_Z_EN: 1
; COMPUTE_PGM_RSRC2:TIDIG_COMP_CNT: 1
; COMPUTE_PGM_RSRC3_GFX90A:ACCUM_OFFSET: 37
; COMPUTE_PGM_RSRC3_GFX90A:TG_SPLIT: 0
	.section	.text._ZL33flash_attn_stream_k_fixup_uniformILi64ELi1ELi4EEvPfPK15HIP_vector_typeIfLj2EEiiiiiiS1_IjLj3EES5_S5_,"axG",@progbits,_ZL33flash_attn_stream_k_fixup_uniformILi64ELi1ELi4EEvPfPK15HIP_vector_typeIfLj2EEiiiiiiS1_IjLj3EES5_S5_,comdat
	.globl	_ZL33flash_attn_stream_k_fixup_uniformILi64ELi1ELi4EEvPfPK15HIP_vector_typeIfLj2EEiiiiiiS1_IjLj3EES5_S5_ ; -- Begin function _ZL33flash_attn_stream_k_fixup_uniformILi64ELi1ELi4EEvPfPK15HIP_vector_typeIfLj2EEiiiiiiS1_IjLj3EES5_S5_
	.p2align	8
	.type	_ZL33flash_attn_stream_k_fixup_uniformILi64ELi1ELi4EEvPfPK15HIP_vector_typeIfLj2EEiiiiiiS1_IjLj3EES5_S5_,@function
_ZL33flash_attn_stream_k_fixup_uniformILi64ELi1ELi4EEvPfPK15HIP_vector_typeIfLj2EEiiiiiiS1_IjLj3EES5_S5_: ; @_ZL33flash_attn_stream_k_fixup_uniformILi64ELi1ELi4EEvPfPK15HIP_vector_typeIfLj2EEiiiiiiS1_IjLj3EES5_S5_
; %bb.0:
	s_load_dwordx8 s[12:19], s[4:5], 0x1c
	s_load_dwordx2 s[10:11], s[4:5], 0x10
	s_load_dwordx4 s[0:3], s[4:5], 0x3c
	s_waitcnt lgkmcnt(0)
	s_mul_hi_u32 s9, s15, s6
	s_add_i32 s9, s6, s9
	s_lshr_b32 s9, s9, s16
	s_mul_i32 s15, s9, s17
	s_sub_i32 s16, s6, s15
	s_mul_hi_u32 s15, s16, s18
	s_add_i32 s15, s16, s15
	s_lshr_b32 s15, s15, s19
	s_mul_i32 s0, s15, s0
	s_sub_i32 s0, s16, s0
	;; [unrolled: 5-line block ×3, first 2 shown]
	s_lshl_b32 s17, s1, 2
	s_add_i32 s16, s16, s7
	s_cmp_lt_i32 s16, s10
	s_cselect_b64 s[0:1], -1, 0
	s_add_i32 s17, s17, s8
	s_cmp_lt_i32 s17, s13
	s_cselect_b64 s[2:3], -1, 0
	s_and_b64 s[0:1], s[0:1], s[2:3]
	s_andn2_b64 vcc, exec, s[0:1]
	s_cbranch_vccnz .LBB31_6
; %bb.1:
	s_mul_i32 s9, s9, s10
	s_load_dwordx4 s[0:3], s[4:5], 0x0
	s_mul_i32 s15, s15, s13
	s_add_i32 s4, s16, s9
	s_mul_i32 s4, s4, s11
	s_add_i32 s5, s17, s15
	s_add_i32 s5, s5, s4
	v_lshl_or_b32 v2, s5, 6, v0
	v_ashrrev_i32_e32 v3, 31, v2
	v_lshlrev_b64 v[2:3], 2, v[2:3]
	s_waitcnt lgkmcnt(0)
	v_mov_b32_e32 v1, s1
	v_add_co_u32_e32 v2, vcc, s0, v2
	v_addc_co_u32_e32 v3, vcc, v1, v3, vcc
	global_load_dword v8, v[2:3], off
	s_mul_i32 s9, s6, s14
	s_add_i32 s4, s9, s14
	s_add_i32 s0, s7, s4
	s_lshl_b32 s0, s0, 2
	s_add_i32 s0, s0, s8
	s_add_i32 s0, s0, -4
	s_ashr_i32 s1, s0, 31
	s_lshl_b64 s[0:1], s[0:1], 3
	s_add_u32 s0, s2, s0
	s_addc_u32 s1, s3, s1
	s_load_dword s5, s[0:1], 0x4
	s_add_i32 s10, s4, -2
	s_cmp_lt_i32 s10, s9
	s_cbranch_scc1 .LBB31_4
; %bb.2:
	s_lshl_b32 s10, s12, 4
	s_ashr_i32 s11, s10, 31
	s_lshl_b64 s[10:11], s[10:11], 2
	s_add_u32 s10, s2, s10
	s_addc_u32 s13, s3, s11
	s_load_dword s0, s[0:1], 0x0
	s_add_i32 s6, s6, 1
	s_lshl_b32 s1, s8, 6
	s_add_i32 s12, s7, s12
	s_mul_i32 s6, s14, s6
	s_lshl_b32 s7, s7, 8
	s_add_i32 s12, s12, s4
	s_lshl_b32 s6, s6, 8
	s_add_i32 s1, s1, s7
	s_add_i32 s11, s4, -1
	s_lshl_b32 s4, s12, 2
	s_add_i32 s1, s1, s6
	s_add_i32 s4, s8, s4
	v_or_b32_e32 v0, s1, v0
	s_add_i32 s4, s4, -8
	v_add_u32_e32 v0, 0xfffffe00, v0
	s_waitcnt lgkmcnt(0)
	v_mov_b32_e32 v7, s5
	v_mov_b32_e32 v6, s0
	;; [unrolled: 1-line block ×3, first 2 shown]
	s_mov_b32 s6, 0x3fb8aa3b
	s_mov_b32 s7, 0xc2ce8ed0
	s_mov_b32 s8, 0x42b17218
	v_mov_b32_e32 v5, 0x7f800000
	s_mov_b32 s12, 0xc1a00000
.LBB31_3:                               ; =>This Inner Loop Header: Depth=1
	v_ashrrev_i32_e32 v1, 31, v0
	v_lshlrev_b64 v[10:11], 2, v[0:1]
	v_add_co_u32_e32 v10, vcc, s10, v10
	v_addc_co_u32_e32 v11, vcc, v4, v11, vcc
	global_load_dword v1, v[10:11], off
	s_ashr_i32 s5, s4, 31
	s_lshl_b64 s[0:1], s[4:5], 3
	s_add_u32 s0, s2, s0
	s_addc_u32 s1, s3, s1
	s_load_dwordx2 s[14:15], s[0:1], 0x0
	s_waitcnt vmcnt(1)
	v_mov_b32_e32 v9, v8
	v_max_f32_e32 v8, v6, v6
	v_mov_b32_e32 v10, v7
	s_add_i32 s11, s11, -1
	s_waitcnt lgkmcnt(0)
	v_max_f32_e64 v7, s14, s14
	v_max_f32_e32 v7, v8, v7
	v_sub_f32_e32 v11, s14, v7
	v_sub_f32_e32 v8, v6, v7
	v_mul_f32_e32 v12, 0x3fb8aa3b, v11
	v_mov_b32_e32 v6, v7
	v_mul_f32_e32 v7, 0x3fb8aa3b, v8
	v_fma_f32 v15, v11, s6, -v12
	v_rndne_f32_e32 v16, v12
	v_fma_f32 v13, v8, s6, -v7
	v_rndne_f32_e32 v14, v7
	v_fmac_f32_e32 v15, 0x32a5705f, v11
	v_sub_f32_e32 v12, v12, v16
	v_fmac_f32_e32 v13, 0x32a5705f, v8
	v_sub_f32_e32 v7, v7, v14
	v_add_f32_e32 v12, v12, v15
	v_cvt_i32_f32_e32 v16, v16
	v_add_f32_e32 v7, v7, v13
	v_exp_f32_e32 v12, v12
	v_cvt_i32_f32_e32 v14, v14
	v_exp_f32_e32 v7, v7
	v_cmp_ngt_f32_e32 vcc, s7, v11
	v_ldexp_f32 v12, v12, v16
	v_cmp_ngt_f32_e64 s[0:1], s7, v8
	v_ldexp_f32 v7, v7, v14
	v_cndmask_b32_e32 v12, 0, v12, vcc
	v_cmp_nlt_f32_e32 vcc, s8, v11
	v_cndmask_b32_e64 v7, 0, v7, s[0:1]
	v_cmp_nlt_f32_e64 s[0:1], s8, v8
	v_cndmask_b32_e32 v12, v5, v12, vcc
	v_cmp_le_f32_e32 vcc, s12, v11
	v_cndmask_b32_e64 v7, v5, v7, s[0:1]
	v_cmp_le_f32_e64 s[0:1], s12, v8
	v_cndmask_b32_e32 v8, 0, v12, vcc
	s_add_i32 s4, s4, -4
	v_cndmask_b32_e64 v11, 0, v7, s[0:1]
	v_mul_f32_e32 v7, s15, v8
	v_add_u32_e32 v0, 0xffffff00, v0
	s_cmp_le_i32 s11, s9
	v_fmac_f32_e32 v7, v10, v11
	s_waitcnt vmcnt(0)
	v_mul_f32_e32 v8, v1, v8
	v_fmac_f32_e32 v8, v9, v11
	s_cbranch_scc0 .LBB31_3
	s_branch .LBB31_5
.LBB31_4:
	s_waitcnt lgkmcnt(0)
	v_mov_b32_e32 v7, s5
.LBB31_5:
	s_waitcnt vmcnt(0)
	v_div_scale_f32 v0, s[0:1], v7, v7, v8
	v_rcp_f32_e32 v1, v0
	v_div_scale_f32 v4, vcc, v8, v7, v8
	v_fma_f32 v5, -v0, v1, 1.0
	v_fmac_f32_e32 v1, v5, v1
	v_mul_f32_e32 v5, v4, v1
	v_fma_f32 v6, -v0, v5, v4
	v_fmac_f32_e32 v5, v6, v1
	v_fma_f32 v0, -v0, v5, v4
	v_div_fmas_f32 v0, v0, v1, v5
	v_div_fixup_f32 v0, v0, v7, v8
	global_store_dword v[2:3], v0, off
.LBB31_6:
	s_endpgm
	.section	.rodata,"a",@progbits
	.p2align	6, 0x0
	.amdhsa_kernel _ZL33flash_attn_stream_k_fixup_uniformILi64ELi1ELi4EEvPfPK15HIP_vector_typeIfLj2EEiiiiiiS1_IjLj3EES5_S5_
		.amdhsa_group_segment_fixed_size 0
		.amdhsa_private_segment_fixed_size 0
		.amdhsa_kernarg_size 76
		.amdhsa_user_sgpr_count 6
		.amdhsa_user_sgpr_private_segment_buffer 1
		.amdhsa_user_sgpr_dispatch_ptr 0
		.amdhsa_user_sgpr_queue_ptr 0
		.amdhsa_user_sgpr_kernarg_segment_ptr 1
		.amdhsa_user_sgpr_dispatch_id 0
		.amdhsa_user_sgpr_flat_scratch_init 0
		.amdhsa_user_sgpr_kernarg_preload_length 0
		.amdhsa_user_sgpr_kernarg_preload_offset 0
		.amdhsa_user_sgpr_private_segment_size 0
		.amdhsa_uses_dynamic_stack 0
		.amdhsa_system_sgpr_private_segment_wavefront_offset 0
		.amdhsa_system_sgpr_workgroup_id_x 1
		.amdhsa_system_sgpr_workgroup_id_y 1
		.amdhsa_system_sgpr_workgroup_id_z 1
		.amdhsa_system_sgpr_workgroup_info 0
		.amdhsa_system_vgpr_workitem_id 0
		.amdhsa_next_free_vgpr 17
		.amdhsa_next_free_sgpr 20
		.amdhsa_accum_offset 20
		.amdhsa_reserve_vcc 1
		.amdhsa_reserve_flat_scratch 0
		.amdhsa_float_round_mode_32 0
		.amdhsa_float_round_mode_16_64 0
		.amdhsa_float_denorm_mode_32 3
		.amdhsa_float_denorm_mode_16_64 3
		.amdhsa_dx10_clamp 1
		.amdhsa_ieee_mode 1
		.amdhsa_fp16_overflow 0
		.amdhsa_tg_split 0
		.amdhsa_exception_fp_ieee_invalid_op 0
		.amdhsa_exception_fp_denorm_src 0
		.amdhsa_exception_fp_ieee_div_zero 0
		.amdhsa_exception_fp_ieee_overflow 0
		.amdhsa_exception_fp_ieee_underflow 0
		.amdhsa_exception_fp_ieee_inexact 0
		.amdhsa_exception_int_div_zero 0
	.end_amdhsa_kernel
	.section	.text._ZL33flash_attn_stream_k_fixup_uniformILi64ELi1ELi4EEvPfPK15HIP_vector_typeIfLj2EEiiiiiiS1_IjLj3EES5_S5_,"axG",@progbits,_ZL33flash_attn_stream_k_fixup_uniformILi64ELi1ELi4EEvPfPK15HIP_vector_typeIfLj2EEiiiiiiS1_IjLj3EES5_S5_,comdat
.Lfunc_end31:
	.size	_ZL33flash_attn_stream_k_fixup_uniformILi64ELi1ELi4EEvPfPK15HIP_vector_typeIfLj2EEiiiiiiS1_IjLj3EES5_S5_, .Lfunc_end31-_ZL33flash_attn_stream_k_fixup_uniformILi64ELi1ELi4EEvPfPK15HIP_vector_typeIfLj2EEiiiiiiS1_IjLj3EES5_S5_
                                        ; -- End function
	.section	.AMDGPU.csdata,"",@progbits
; Kernel info:
; codeLenInByte = 828
; NumSgprs: 24
; NumVgprs: 17
; NumAgprs: 0
; TotalNumVgprs: 17
; ScratchSize: 0
; MemoryBound: 0
; FloatMode: 240
; IeeeMode: 1
; LDSByteSize: 0 bytes/workgroup (compile time only)
; SGPRBlocks: 2
; VGPRBlocks: 2
; NumSGPRsForWavesPerEU: 24
; NumVGPRsForWavesPerEU: 17
; AccumOffset: 20
; Occupancy: 8
; WaveLimiterHint : 0
; COMPUTE_PGM_RSRC2:SCRATCH_EN: 0
; COMPUTE_PGM_RSRC2:USER_SGPR: 6
; COMPUTE_PGM_RSRC2:TRAP_HANDLER: 0
; COMPUTE_PGM_RSRC2:TGID_X_EN: 1
; COMPUTE_PGM_RSRC2:TGID_Y_EN: 1
; COMPUTE_PGM_RSRC2:TGID_Z_EN: 1
; COMPUTE_PGM_RSRC2:TIDIG_COMP_CNT: 0
; COMPUTE_PGM_RSRC3_GFX90A:ACCUM_OFFSET: 4
; COMPUTE_PGM_RSRC3_GFX90A:TG_SPLIT: 0
	.section	.text._ZL33flash_attn_stream_k_fixup_generalILi64ELi1ELi4EEvPfPK15HIP_vector_typeIfLj2EEiiiiS1_IjLj3EES5_S5_S5_,"axG",@progbits,_ZL33flash_attn_stream_k_fixup_generalILi64ELi1ELi4EEvPfPK15HIP_vector_typeIfLj2EEiiiiS1_IjLj3EES5_S5_S5_,comdat
	.globl	_ZL33flash_attn_stream_k_fixup_generalILi64ELi1ELi4EEvPfPK15HIP_vector_typeIfLj2EEiiiiS1_IjLj3EES5_S5_S5_ ; -- Begin function _ZL33flash_attn_stream_k_fixup_generalILi64ELi1ELi4EEvPfPK15HIP_vector_typeIfLj2EEiiiiS1_IjLj3EES5_S5_S5_
	.p2align	8
	.type	_ZL33flash_attn_stream_k_fixup_generalILi64ELi1ELi4EEvPfPK15HIP_vector_typeIfLj2EEiiiiS1_IjLj3EES5_S5_S5_,@function
_ZL33flash_attn_stream_k_fixup_generalILi64ELi1ELi4EEvPfPK15HIP_vector_typeIfLj2EEiiiiS1_IjLj3EES5_S5_S5_: ; @_ZL33flash_attn_stream_k_fixup_generalILi64ELi1ELi4EEvPfPK15HIP_vector_typeIfLj2EEiiiiS1_IjLj3EES5_S5_S5_
; %bb.0:
	s_load_dwordx4 s[12:15], s[4:5], 0x10
	s_load_dword s9, s[4:5], 0x50
	s_mov_b32 s2, 0
	s_waitcnt lgkmcnt(0)
	s_mul_hi_i32 s3, s15, s6
	s_cmp_lg_u64 s[2:3], 0
	s_mul_i32 s2, s15, s6
	s_cbranch_scc0 .LBB32_21
; %bb.1:
	v_cvt_f32_u32_e32 v1, s9
	v_cvt_f32_ubyte0_e32 v2, 0
	s_sub_u32 s10, 0, s9
	s_subb_u32 s11, 0, 0
	v_madmk_f32 v1, v2, 0x4f800000, v1
	v_rcp_f32_e32 v1, v1
	v_mul_f32_e32 v1, 0x5f7ffffc, v1
	v_mul_f32_e32 v2, 0x2f800000, v1
	v_trunc_f32_e32 v2, v2
	v_madmk_f32 v1, v2, 0xcf800000, v1
	v_cvt_u32_f32_e32 v2, v2
	v_cvt_u32_f32_e32 v1, v1
	v_readfirstlane_b32 s16, v2
	v_readfirstlane_b32 s17, v1
	s_mul_i32 s18, s10, s16
	s_mul_hi_u32 s20, s10, s17
	s_mul_i32 s19, s11, s17
	s_add_i32 s18, s20, s18
	s_add_i32 s18, s18, s19
	s_mul_i32 s21, s10, s17
	s_mul_hi_u32 s19, s17, s18
	s_mul_i32 s20, s17, s18
	s_mul_hi_u32 s17, s17, s21
	s_add_u32 s17, s17, s20
	s_addc_u32 s19, 0, s19
	s_mul_hi_u32 s22, s16, s21
	s_mul_i32 s21, s16, s21
	s_add_u32 s17, s17, s21
	s_mul_hi_u32 s20, s16, s18
	s_addc_u32 s17, s19, s22
	s_addc_u32 s19, s20, 0
	s_mul_i32 s18, s16, s18
	s_add_u32 s17, s17, s18
	s_addc_u32 s18, 0, s19
	v_add_co_u32_e32 v1, vcc, s17, v1
	s_cmp_lg_u64 vcc, 0
	s_addc_u32 s16, s16, s18
	v_readfirstlane_b32 s18, v1
	s_mul_i32 s17, s10, s16
	s_mul_hi_u32 s19, s10, s18
	s_add_i32 s17, s19, s17
	s_mul_i32 s11, s11, s18
	s_add_i32 s17, s17, s11
	s_mul_i32 s10, s10, s18
	s_mul_hi_u32 s19, s16, s10
	s_mul_i32 s20, s16, s10
	s_mul_i32 s22, s18, s17
	s_mul_hi_u32 s10, s18, s10
	s_mul_hi_u32 s21, s18, s17
	s_add_u32 s10, s10, s22
	s_addc_u32 s18, 0, s21
	s_add_u32 s10, s10, s20
	s_mul_hi_u32 s11, s16, s17
	s_addc_u32 s10, s18, s19
	s_addc_u32 s11, s11, 0
	s_mul_i32 s17, s16, s17
	s_add_u32 s10, s10, s17
	s_addc_u32 s11, 0, s11
	v_add_co_u32_e32 v1, vcc, s10, v1
	s_cmp_lg_u64 vcc, 0
	s_addc_u32 s18, s16, s11
	s_ashr_i32 s10, s3, 31
	s_add_u32 s16, s2, s10
	s_mov_b32 s11, s10
	s_addc_u32 s17, s3, s10
	s_xor_b64 s[16:17], s[16:17], s[10:11]
	v_readfirstlane_b32 s20, v1
	s_mul_i32 s19, s16, s18
	s_mul_hi_u32 s21, s16, s20
	s_mul_hi_u32 s3, s16, s18
	s_add_u32 s19, s21, s19
	s_addc_u32 s3, 0, s3
	s_mul_hi_u32 s22, s17, s20
	s_mul_i32 s20, s17, s20
	s_add_u32 s19, s19, s20
	s_mul_hi_u32 s21, s17, s18
	s_addc_u32 s3, s3, s22
	s_addc_u32 s19, s21, 0
	s_mul_i32 s18, s17, s18
	s_add_u32 s3, s3, s18
	s_addc_u32 s18, 0, s19
	s_add_u32 s19, s3, 1
	s_addc_u32 s20, s18, 0
	s_add_u32 s21, s3, 2
	s_mul_i32 s23, s9, s18
	s_mul_hi_u32 s24, s9, s3
	s_addc_u32 s22, s18, 0
	s_add_i32 s24, s24, s23
	s_mul_i32 s23, s9, s3
	v_mov_b32_e32 v1, s23
	v_sub_co_u32_e32 v1, vcc, s16, v1
	s_cmp_lg_u64 vcc, 0
	s_subb_u32 s16, s17, s24
	v_subrev_co_u32_e32 v2, vcc, s9, v1
	s_cmp_lg_u64 vcc, 0
	s_subb_u32 s17, s16, 0
	v_readfirstlane_b32 s23, v2
	s_cmp_ge_u32 s23, s9
	s_cselect_b32 s23, -1, 0
	s_cmp_eq_u32 s17, 0
	s_cselect_b32 s17, s23, -1
	s_cmp_lg_u32 s17, 0
	s_cselect_b32 s17, s22, s20
	v_readfirstlane_b32 s20, v1
	s_cselect_b32 s19, s21, s19
	s_cmp_ge_u32 s20, s9
	s_cselect_b32 s20, -1, 0
	s_cmp_eq_u32 s16, 0
	s_cselect_b32 s16, s20, -1
	s_cmp_lg_u32 s16, 0
	s_cselect_b32 s17, s17, s18
	s_cselect_b32 s16, s19, s3
	s_xor_b64 s[16:17], s[16:17], s[10:11]
	s_sub_u32 s20, s16, s10
	s_load_dwordx4 s[16:19], s[4:5], 0x44
	s_cbranch_execnz .LBB32_3
.LBB32_2:
	v_cvt_f32_u32_e32 v1, s9
	s_sub_i32 s0, 0, s9
	v_rcp_iflag_f32_e32 v1, v1
	v_mul_f32_e32 v1, 0x4f7ffffe, v1
	v_cvt_u32_f32_e32 v1, v1
	v_readfirstlane_b32 s1, v1
	s_mul_i32 s0, s0, s1
	s_mul_hi_u32 s0, s1, s0
	s_add_i32 s1, s1, s0
	s_mul_hi_u32 s0, s2, s1
	s_mul_i32 s3, s0, s9
	s_sub_i32 s2, s2, s3
	s_add_i32 s1, s0, 1
	s_sub_i32 s3, s2, s9
	s_cmp_ge_u32 s2, s9
	s_cselect_b32 s0, s1, s0
	s_cselect_b32 s2, s3, s2
	s_add_i32 s1, s0, 1
	s_cmp_ge_u32 s2, s9
	s_cselect_b32 s20, s1, s0
.LBB32_3:
	s_add_i32 s0, s6, 1
	s_mul_hi_i32 s3, s15, s0
	s_mov_b32 s2, 0
	s_cmp_lg_u64 s[2:3], 0
	s_mul_i32 s2, s15, s0
	s_cbranch_scc0 .LBB32_22
; %bb.4:
	v_cvt_f32_u32_e32 v1, s9
	v_cvt_f32_ubyte0_e32 v2, 0
	s_sub_u32 s10, 0, s9
	s_subb_u32 s11, 0, 0
	v_madmk_f32 v1, v2, 0x4f800000, v1
	v_rcp_f32_e32 v1, v1
	v_mul_f32_e32 v1, 0x5f7ffffc, v1
	v_mul_f32_e32 v2, 0x2f800000, v1
	v_trunc_f32_e32 v2, v2
	v_madmk_f32 v1, v2, 0xcf800000, v1
	v_cvt_u32_f32_e32 v2, v2
	v_cvt_u32_f32_e32 v1, v1
	s_waitcnt lgkmcnt(0)
	v_readfirstlane_b32 s19, v2
	v_readfirstlane_b32 s21, v1
	s_mul_i32 s22, s10, s19
	s_mul_hi_u32 s24, s10, s21
	s_mul_i32 s23, s11, s21
	s_add_i32 s22, s24, s22
	s_add_i32 s22, s22, s23
	s_mul_i32 s25, s10, s21
	s_mul_hi_u32 s23, s21, s22
	s_mul_i32 s24, s21, s22
	s_mul_hi_u32 s21, s21, s25
	s_add_u32 s21, s21, s24
	s_addc_u32 s23, 0, s23
	s_mul_hi_u32 s26, s19, s25
	s_mul_i32 s25, s19, s25
	s_add_u32 s21, s21, s25
	s_mul_hi_u32 s24, s19, s22
	s_addc_u32 s21, s23, s26
	s_addc_u32 s23, s24, 0
	s_mul_i32 s22, s19, s22
	s_add_u32 s21, s21, s22
	s_addc_u32 s22, 0, s23
	v_add_co_u32_e32 v1, vcc, s21, v1
	s_cmp_lg_u64 vcc, 0
	s_addc_u32 s19, s19, s22
	v_readfirstlane_b32 s22, v1
	s_mul_i32 s21, s10, s19
	s_mul_hi_u32 s23, s10, s22
	s_add_i32 s21, s23, s21
	s_mul_i32 s11, s11, s22
	s_add_i32 s21, s21, s11
	s_mul_i32 s10, s10, s22
	s_mul_hi_u32 s23, s19, s10
	s_mul_i32 s24, s19, s10
	s_mul_i32 s26, s22, s21
	s_mul_hi_u32 s10, s22, s10
	s_mul_hi_u32 s25, s22, s21
	s_add_u32 s10, s10, s26
	s_addc_u32 s22, 0, s25
	s_add_u32 s10, s10, s24
	s_mul_hi_u32 s11, s19, s21
	s_addc_u32 s10, s22, s23
	s_addc_u32 s11, s11, 0
	s_mul_i32 s21, s19, s21
	s_add_u32 s10, s10, s21
	s_addc_u32 s11, 0, s11
	v_add_co_u32_e32 v1, vcc, s10, v1
	s_cmp_lg_u64 vcc, 0
	s_addc_u32 s19, s19, s11
	s_ashr_i32 s10, s3, 31
	s_add_u32 s22, s2, s10
	s_mov_b32 s11, s10
	s_addc_u32 s23, s3, s10
	s_xor_b64 s[22:23], s[22:23], s[10:11]
	v_readfirstlane_b32 s21, v1
	s_mul_i32 s11, s22, s19
	s_mul_hi_u32 s24, s22, s21
	s_mul_hi_u32 s3, s22, s19
	s_add_u32 s11, s24, s11
	s_addc_u32 s3, 0, s3
	s_mul_hi_u32 s25, s23, s21
	s_mul_i32 s21, s23, s21
	s_add_u32 s11, s11, s21
	s_mul_hi_u32 s24, s23, s19
	s_addc_u32 s3, s3, s25
	s_addc_u32 s11, s24, 0
	s_mul_i32 s19, s23, s19
	s_add_u32 s3, s3, s19
	s_addc_u32 s11, 0, s11
	s_mul_i32 s11, s9, s11
	s_mul_hi_u32 s24, s9, s3
	s_add_i32 s24, s24, s11
	s_mul_i32 s11, s9, s3
	v_mov_b32_e32 v1, s11
	s_add_u32 s19, s3, 1
	s_add_u32 s21, s3, 2
	v_sub_co_u32_e32 v1, vcc, s22, v1
	s_cmp_lg_u64 vcc, 0
	s_subb_u32 s11, s23, s24
	v_subrev_co_u32_e32 v2, vcc, s9, v1
	s_cmp_lg_u64 vcc, 0
	s_subb_u32 s22, s11, 0
	v_cmp_le_u32_e32 vcc, s9, v2
	s_cmp_eq_u32 s22, 0
	v_cndmask_b32_e64 v2, 0, -1, vcc
	s_cselect_b64 vcc, -1, 0
	v_cndmask_b32_e32 v2, -1, v2, vcc
	v_mov_b32_e32 v3, s19
	v_mov_b32_e32 v4, s21
	v_cmp_ne_u32_e32 vcc, 0, v2
	v_cndmask_b32_e32 v2, v3, v4, vcc
	v_cmp_le_u32_e32 vcc, s9, v1
	s_cmp_eq_u32 s11, 0
	v_cndmask_b32_e64 v1, 0, -1, vcc
	s_cselect_b64 vcc, -1, 0
	v_cndmask_b32_e32 v1, -1, v1, vcc
	v_mov_b32_e32 v3, s3
	v_cmp_ne_u32_e32 vcc, 0, v1
	v_cndmask_b32_e32 v1, v3, v2, vcc
	v_xor_b32_e32 v1, s10, v1
	v_subrev_co_u32_e32 v2, vcc, s10, v1
	s_cbranch_execnz .LBB32_6
.LBB32_5:
	v_cvt_f32_u32_e32 v1, s9
	s_sub_i32 s0, 0, s9
	s_mov_b32 s1, 0
	v_rcp_iflag_f32_e32 v1, v1
	v_mul_f32_e32 v1, 0x4f7ffffe, v1
	v_cvt_u32_f32_e32 v1, v1
	v_readfirstlane_b32 s3, v1
	s_mul_i32 s0, s0, s3
	s_mul_hi_u32 s0, s3, s0
	s_add_i32 s3, s3, s0
	s_mul_hi_u32 s0, s2, s3
	s_mul_i32 s10, s0, s9
	s_sub_i32 s2, s2, s10
	s_add_i32 s3, s0, 1
	s_sub_i32 s10, s2, s9
	s_cmp_ge_u32 s2, s9
	s_cselect_b32 s0, s3, s0
	s_cselect_b32 s2, s10, s2
	s_add_i32 s3, s0, 1
	s_cmp_ge_u32 s2, s9
	s_cselect_b32 s0, s3, s0
	v_pk_mov_b32 v[2:3], s[0:1], s[0:1] op_sel:[0,1]
.LBB32_6:
	s_waitcnt lgkmcnt(0)
	s_mul_hi_u32 s0, s20, s16
	s_add_i32 s0, s0, s20
	v_mul_hi_u32 v1, v2, s16
	s_lshr_b32 s19, s0, s17
	v_add_u32_e32 v1, v1, v2
	s_mul_i32 s0, s19, s18
	v_lshrrev_b32_e32 v1, s17, v1
	s_cmp_eq_u32 s0, s20
	v_cmp_eq_u32_e64 s[0:1], s19, v1
	v_mul_lo_u32 v1, v1, s18
	v_cmp_eq_u32_e32 vcc, s20, v2
	s_cselect_b64 s[10:11], -1, 0
	v_cmp_ne_u32_e64 s[2:3], v1, v2
	s_and_b64 s[0:1], s[0:1], s[2:3]
	s_or_b64 s[2:3], vcc, s[10:11]
	s_or_b64 s[0:1], s[2:3], s[0:1]
	s_and_b64 vcc, exec, s[0:1]
	s_cbranch_vccnz .LBB32_24
; %bb.7:
	s_load_dwordx8 s[24:31], s[4:5], 0x20
	s_load_dword s0, s[4:5], 0x40
	s_mov_b32 s10, 0
	s_waitcnt lgkmcnt(0)
	s_mul_hi_u32 s1, s20, s24
	s_add_i32 s1, s1, s20
	s_lshr_b32 s11, s1, s25
	s_mul_i32 s1, s11, s26
	s_sub_i32 s1, s20, s1
	s_mul_hi_u32 s2, s1, s27
	s_add_i32 s2, s1, s2
	s_lshr_b32 s21, s2, s28
	s_mul_i32 s2, s21, s29
	s_sub_i32 s1, s1, s2
	;; [unrolled: 5-line block ×3, first 2 shown]
	s_mul_hi_u32 s1, s0, s16
	s_add_i32 s0, s0, s1
	s_lshr_b32 s22, s0, s17
	s_lshl_b32 s23, s2, 2
	s_add_i32 s22, s22, s7
	s_cmp_lt_i32 s22, s12
	s_cselect_b64 s[0:1], -1, 0
	s_add_i32 s23, s23, s8
	s_cmp_lt_i32 s23, s14
	s_cselect_b64 s[2:3], -1, 0
	s_and_b64 s[0:1], s[0:1], s[2:3]
	s_andn2_b64 vcc, exec, s[0:1]
	s_cbranch_vccnz .LBB32_24
; %bb.8:
	s_load_dwordx4 s[0:3], s[4:5], 0x0
	s_lshl_b32 s4, s9, 4
	s_mov_b32 s5, s10
	s_lshl_b64 s[4:5], s[4:5], 2
	s_mul_i32 s24, s21, s14
	s_waitcnt lgkmcnt(0)
	s_add_u32 s14, s2, s4
	s_mul_i32 s11, s11, s12
	s_addc_u32 s21, s3, s5
	s_add_i32 s4, s22, s11
	s_mul_i32 s4, s4, s13
	s_add_i32 s5, s23, s24
	s_add_i32 s5, s5, s4
	v_lshl_or_b32 v2, s5, 6, v0
	v_ashrrev_i32_e32 v3, 31, v2
	v_lshlrev_b64 v[2:3], 2, v[2:3]
	v_mov_b32_e32 v1, s1
	v_add_co_u32_e32 v2, vcc, s0, v2
	v_addc_co_u32_e32 v3, vcc, v1, v3, vcc
	global_load_dword v5, v[2:3], off
	v_lshl_or_b32 v4, s8, 6, v0
	v_cvt_f32_u32_e32 v0, s9
	v_cvt_f32_ubyte0_e32 v1, 0
	s_add_i32 s0, s7, s6
	s_lshl_b32 s0, s0, 2
	v_mac_f32_e32 v0, 0x4f800000, v1
	v_rcp_f32_e32 v0, v0
	v_cvt_f32_u32_e32 v1, s9
	s_add_i32 s0, s0, s8
	s_ashr_i32 s1, s0, 31
	s_lshl_b64 s[0:1], s[0:1], 3
	v_mul_f32_e32 v0, 0x5f7ffffc, v0
	v_rcp_iflag_f32_e32 v1, v1
	s_add_u32 s0, s2, s0
	v_mul_f32_e32 v9, 0x2f800000, v0
	s_addc_u32 s1, s3, s1
	v_trunc_f32_e32 v10, v9
	s_load_dwordx2 s[0:1], s[0:1], 0x0
	v_mac_f32_e32 v0, 0xcf800000, v10
	v_cvt_u32_f32_e32 v9, v0
	v_mul_f32_e32 v0, 0x4f7ffffe, v1
	v_cvt_u32_f32_e32 v10, v10
	v_cvt_u32_f32_e32 v11, v0
	s_add_i32 s13, s6, -1
	s_waitcnt lgkmcnt(0)
	v_mov_b32_e32 v6, s1
	v_mov_b32_e32 v7, s0
	;; [unrolled: 1-line block ×3, first 2 shown]
	s_mov_b32 s6, 0x3fb8aa3b
	s_mov_b32 s12, 0xc2ce8ed0
	;; [unrolled: 1-line block ×4, first 2 shown]
	v_mov_b32_e32 v12, 0x7f800000
	s_mul_hi_i32 s11, s13, s15
	s_cmp_lg_u64 s[10:11], 0
	s_mul_i32 s4, s13, s15
	s_cbranch_scc0 .LBB32_15
.LBB32_9:
	s_sub_u32 s0, 0, s9
	v_readfirstlane_b32 s5, v9
	v_readfirstlane_b32 s25, v10
	s_subb_u32 s1, 0, 0
	s_mul_hi_u32 s24, s0, s5
	s_mul_i32 s26, s0, s25
	s_mul_i32 s23, s1, s5
	s_add_i32 s24, s24, s26
	s_add_i32 s24, s24, s23
	s_mul_i32 s27, s0, s5
	s_mul_hi_u32 s23, s5, s24
	s_mul_i32 s26, s5, s24
	s_mul_hi_u32 s5, s5, s27
	s_add_u32 s5, s5, s26
	s_addc_u32 s23, 0, s23
	s_mul_hi_u32 s28, s25, s27
	s_mul_i32 s27, s25, s27
	s_add_u32 s5, s5, s27
	s_mul_hi_u32 s26, s25, s24
	s_addc_u32 s5, s23, s28
	s_addc_u32 s23, s26, 0
	s_mul_i32 s24, s25, s24
	s_add_u32 s5, s5, s24
	s_addc_u32 s23, 0, s23
	v_add_co_u32_e32 v0, vcc, s5, v9
	s_cmp_lg_u64 vcc, 0
	s_addc_u32 s5, s25, s23
	v_readfirstlane_b32 s24, v0
	s_mul_i32 s23, s0, s5
	s_mul_hi_u32 s25, s0, s24
	s_add_i32 s23, s25, s23
	s_mul_i32 s1, s1, s24
	s_add_i32 s23, s23, s1
	s_mul_i32 s0, s0, s24
	s_mul_hi_u32 s25, s5, s0
	s_mul_i32 s26, s5, s0
	s_mul_i32 s28, s24, s23
	s_mul_hi_u32 s0, s24, s0
	s_mul_hi_u32 s27, s24, s23
	s_add_u32 s0, s0, s28
	s_addc_u32 s24, 0, s27
	s_add_u32 s0, s0, s26
	s_mul_hi_u32 s1, s5, s23
	s_addc_u32 s0, s24, s25
	s_addc_u32 s1, s1, 0
	s_mul_i32 s23, s5, s23
	s_add_u32 s0, s0, s23
	s_addc_u32 s1, 0, s1
	v_add_co_u32_e32 v0, vcc, s0, v0
	s_cmp_lg_u64 vcc, 0
	s_addc_u32 s5, s5, s1
	s_ashr_i32 s0, s11, 31
	s_add_u32 s24, s4, s0
	s_mov_b32 s1, s0
	s_addc_u32 s25, s11, s0
	s_xor_b64 s[24:25], s[24:25], s[0:1]
	v_readfirstlane_b32 s23, v0
	s_mul_i32 s11, s24, s5
	s_mul_hi_u32 s26, s24, s23
	s_mul_hi_u32 s1, s24, s5
	s_add_u32 s11, s26, s11
	s_addc_u32 s1, 0, s1
	s_mul_hi_u32 s27, s25, s23
	s_mul_i32 s23, s25, s23
	s_add_u32 s11, s11, s23
	s_mul_hi_u32 s26, s25, s5
	s_addc_u32 s1, s1, s27
	s_addc_u32 s11, s26, 0
	s_mul_i32 s5, s25, s5
	s_add_u32 s1, s1, s5
	s_addc_u32 s5, 0, s11
	s_mul_i32 s5, s9, s5
	s_mul_hi_u32 s26, s9, s1
	s_add_i32 s26, s26, s5
	s_mul_i32 s5, s9, s1
	v_mov_b32_e32 v0, s5
	s_add_u32 s11, s1, 1
	s_add_u32 s23, s1, 2
	v_sub_co_u32_e32 v0, vcc, s24, v0
	s_cmp_lg_u64 vcc, 0
	s_subb_u32 s5, s25, s26
	v_subrev_co_u32_e32 v1, vcc, s9, v0
	s_cmp_lg_u64 vcc, 0
	s_subb_u32 s24, s5, 0
	v_cmp_le_u32_e32 vcc, s9, v1
	s_cmp_eq_u32 s24, 0
	v_cndmask_b32_e64 v1, 0, -1, vcc
	s_cselect_b64 vcc, -1, 0
	v_cndmask_b32_e32 v1, -1, v1, vcc
	v_mov_b32_e32 v13, s11
	v_mov_b32_e32 v14, s23
	v_cmp_ne_u32_e32 vcc, 0, v1
	v_cndmask_b32_e32 v1, v13, v14, vcc
	v_cmp_le_u32_e32 vcc, s9, v0
	s_cmp_eq_u32 s5, 0
	v_cndmask_b32_e64 v0, 0, -1, vcc
	s_cselect_b64 vcc, -1, 0
	v_cndmask_b32_e32 v0, -1, v0, vcc
	v_mov_b32_e32 v13, s1
	v_cmp_ne_u32_e32 vcc, 0, v0
	v_cndmask_b32_e32 v0, v13, v1, vcc
	v_xor_b32_e32 v0, s0, v0
	v_subrev_co_u32_e32 v0, vcc, s0, v0
	s_cbranch_execnz .LBB32_11
.LBB32_10:
	s_sub_i32 s0, 0, s9
	v_mul_lo_u32 v0, s0, v11
	v_mul_hi_u32 v0, v11, v0
	v_add_u32_e32 v0, v11, v0
	v_mul_hi_u32 v0, s4, v0
	v_mul_lo_u32 v13, v0, s9
	v_sub_u32_e32 v13, s4, v13
	v_add_u32_e32 v1, 1, v0
	v_subrev_u32_e32 v14, s9, v13
	v_cmp_le_u32_e32 vcc, s9, v13
	v_cndmask_b32_e32 v13, v13, v14, vcc
	v_cndmask_b32_e32 v0, v0, v1, vcc
	v_add_u32_e32 v1, 1, v0
	v_cmp_le_u32_e32 vcc, s9, v13
	v_cndmask_b32_e32 v0, v0, v1, vcc
.LBB32_11:
	v_cmp_ne_u32_e32 vcc, v8, v0
	s_cbranch_vccz .LBB32_14
; %bb.12:
	s_add_i32 s23, s13, s7
	s_add_i32 s0, s23, s9
	s_lshl_b32 s0, s0, 2
	v_mul_hi_u32 v1, v0, s16
	s_add_i32 s0, s0, s8
	s_mov_b32 s1, s10
	v_add_u32_e32 v1, v1, v0
	s_lshl_b64 s[0:1], s[0:1], 3
	v_lshrrev_b32_e32 v1, s17, v1
	s_add_u32 s4, s2, s0
	v_mul_lo_u32 v13, v1, s18
	s_addc_u32 s5, s3, s1
	v_cmp_eq_u32_e32 vcc, v13, v0
	v_cmp_gt_u32_e64 s[0:1], s19, v1
	s_or_b64 s[0:1], s[0:1], vcc
	s_and_b64 vcc, exec, s[0:1]
	s_cbranch_vccnz .LBB32_16
; %bb.13:
	s_add_i32 s11, s13, -1
	s_mov_b64 s[0:1], 0
	s_branch .LBB32_17
.LBB32_14:
                                        ; implicit-def: $sgpr0_sgpr1
                                        ; implicit-def: $vgpr14
                                        ; implicit-def: $vgpr1
                                        ; implicit-def: $vgpr13
                                        ; implicit-def: $sgpr11
                                        ; implicit-def: $vgpr0
	s_branch .LBB32_18
.LBB32_15:
                                        ; implicit-def: $vgpr0_vgpr1
	s_branch .LBB32_10
.LBB32_16:
	s_mov_b64 s[0:1], -1
	s_mov_b32 s11, s13
	v_mov_b32_e32 v0, v8
.LBB32_17:
	v_lshl_add_u32 v14, s23, 8, v4
	v_ashrrev_i32_e32 v15, 31, v14
	v_lshlrev_b64 v[14:15], 2, v[14:15]
	v_mov_b32_e32 v1, s21
	v_add_co_u32_e32 v14, vcc, s14, v14
	v_addc_co_u32_e32 v15, vcc, v1, v15, vcc
	global_load_dword v14, v[14:15], off
	s_load_dwordx2 s[4:5], s[4:5], 0x0
	v_max_f32_e32 v1, v7, v7
	s_waitcnt lgkmcnt(0)
	v_max_f32_e64 v13, s4, s4
	v_max_f32_e32 v1, v1, v13
	v_sub_f32_e32 v13, v7, v1
	v_sub_f32_e32 v15, s4, v1
	v_mul_f32_e32 v16, 0x3fb8aa3b, v13
	v_mul_f32_e32 v17, 0x3fb8aa3b, v15
	v_fma_f32 v18, v13, s6, -v16
	v_rndne_f32_e32 v19, v16
	v_fma_f32 v20, v15, s6, -v17
	v_rndne_f32_e32 v21, v17
	v_fmac_f32_e32 v18, 0x32a5705f, v13
	v_sub_f32_e32 v16, v16, v19
	v_fmac_f32_e32 v20, 0x32a5705f, v15
	v_sub_f32_e32 v17, v17, v21
	v_add_f32_e32 v16, v16, v18
	v_cvt_i32_f32_e32 v19, v19
	v_add_f32_e32 v17, v17, v20
	v_exp_f32_e32 v16, v16
	v_cvt_i32_f32_e32 v21, v21
	v_exp_f32_e32 v17, v17
	v_cmp_ngt_f32_e32 vcc, s12, v13
	v_ldexp_f32 v16, v16, v19
	v_cndmask_b32_e32 v16, 0, v16, vcc
	v_ldexp_f32 v17, v17, v21
	v_cmp_ngt_f32_e32 vcc, s12, v15
	v_cndmask_b32_e32 v17, 0, v17, vcc
	v_cmp_nlt_f32_e32 vcc, s20, v13
	v_cndmask_b32_e32 v16, v12, v16, vcc
	v_cmp_nlt_f32_e32 vcc, s20, v15
	v_cndmask_b32_e32 v17, v12, v17, vcc
	v_cmp_le_f32_e32 vcc, s22, v13
	v_cndmask_b32_e32 v16, 0, v16, vcc
	v_cmp_le_f32_e32 vcc, s22, v15
	v_cndmask_b32_e32 v15, 0, v17, vcc
	v_mul_f32_e32 v13, s5, v15
	v_fmac_f32_e32 v13, v6, v16
	s_waitcnt vmcnt(0)
	v_mul_f32_e32 v14, v14, v15
	v_fmac_f32_e32 v14, v5, v16
	s_cbranch_execnz .LBB32_19
.LBB32_18:
	s_add_i32 s11, s13, -1
	s_mov_b64 s[0:1], 0
	v_mov_b32_e32 v0, v8
	v_mov_b32_e32 v13, v6
	;; [unrolled: 1-line block ×3, first 2 shown]
	s_waitcnt vmcnt(0)
	v_mov_b32_e32 v14, v5
.LBB32_19:
	s_andn2_b64 vcc, exec, s[0:1]
	s_cbranch_vccz .LBB32_23
; %bb.20:
	v_mov_b32_e32 v8, v0
	s_mov_b32 s13, s11
	v_mov_b32_e32 v6, v13
	v_mov_b32_e32 v7, v1
	s_waitcnt vmcnt(0)
	v_mov_b32_e32 v5, v14
	s_mul_hi_i32 s11, s13, s15
	s_cmp_lg_u64 s[10:11], 0
	s_mul_i32 s4, s13, s15
	s_cbranch_scc1 .LBB32_9
	s_branch .LBB32_15
.LBB32_21:
                                        ; implicit-def: $sgpr20_sgpr21
	s_load_dwordx4 s[16:19], s[4:5], 0x44
	s_branch .LBB32_2
.LBB32_22:
                                        ; implicit-def: $vgpr2_vgpr3
	s_branch .LBB32_5
.LBB32_23:
	v_div_scale_f32 v0, s[0:1], v13, v13, v14
	v_rcp_f32_e32 v1, v0
	v_div_scale_f32 v4, vcc, v14, v13, v14
	s_waitcnt vmcnt(0)
	v_fma_f32 v5, -v0, v1, 1.0
	v_fmac_f32_e32 v1, v5, v1
	v_mul_f32_e32 v5, v4, v1
	v_fma_f32 v6, -v0, v5, v4
	v_fmac_f32_e32 v5, v6, v1
	v_fma_f32 v0, -v0, v5, v4
	v_div_fmas_f32 v0, v0, v1, v5
	v_div_fixup_f32 v0, v0, v13, v14
	global_store_dword v[2:3], v0, off
.LBB32_24:
	s_endpgm
	.section	.rodata,"a",@progbits
	.p2align	6, 0x0
	.amdhsa_kernel _ZL33flash_attn_stream_k_fixup_generalILi64ELi1ELi4EEvPfPK15HIP_vector_typeIfLj2EEiiiiS1_IjLj3EES5_S5_S5_
		.amdhsa_group_segment_fixed_size 0
		.amdhsa_private_segment_fixed_size 0
		.amdhsa_kernarg_size 336
		.amdhsa_user_sgpr_count 6
		.amdhsa_user_sgpr_private_segment_buffer 1
		.amdhsa_user_sgpr_dispatch_ptr 0
		.amdhsa_user_sgpr_queue_ptr 0
		.amdhsa_user_sgpr_kernarg_segment_ptr 1
		.amdhsa_user_sgpr_dispatch_id 0
		.amdhsa_user_sgpr_flat_scratch_init 0
		.amdhsa_user_sgpr_kernarg_preload_length 0
		.amdhsa_user_sgpr_kernarg_preload_offset 0
		.amdhsa_user_sgpr_private_segment_size 0
		.amdhsa_uses_dynamic_stack 0
		.amdhsa_system_sgpr_private_segment_wavefront_offset 0
		.amdhsa_system_sgpr_workgroup_id_x 1
		.amdhsa_system_sgpr_workgroup_id_y 1
		.amdhsa_system_sgpr_workgroup_id_z 1
		.amdhsa_system_sgpr_workgroup_info 0
		.amdhsa_system_vgpr_workitem_id 0
		.amdhsa_next_free_vgpr 22
		.amdhsa_next_free_sgpr 32
		.amdhsa_accum_offset 24
		.amdhsa_reserve_vcc 1
		.amdhsa_reserve_flat_scratch 0
		.amdhsa_float_round_mode_32 0
		.amdhsa_float_round_mode_16_64 0
		.amdhsa_float_denorm_mode_32 3
		.amdhsa_float_denorm_mode_16_64 3
		.amdhsa_dx10_clamp 1
		.amdhsa_ieee_mode 1
		.amdhsa_fp16_overflow 0
		.amdhsa_tg_split 0
		.amdhsa_exception_fp_ieee_invalid_op 0
		.amdhsa_exception_fp_denorm_src 0
		.amdhsa_exception_fp_ieee_div_zero 0
		.amdhsa_exception_fp_ieee_overflow 0
		.amdhsa_exception_fp_ieee_underflow 0
		.amdhsa_exception_fp_ieee_inexact 0
		.amdhsa_exception_int_div_zero 0
	.end_amdhsa_kernel
	.section	.text._ZL33flash_attn_stream_k_fixup_generalILi64ELi1ELi4EEvPfPK15HIP_vector_typeIfLj2EEiiiiS1_IjLj3EES5_S5_S5_,"axG",@progbits,_ZL33flash_attn_stream_k_fixup_generalILi64ELi1ELi4EEvPfPK15HIP_vector_typeIfLj2EEiiiiS1_IjLj3EES5_S5_S5_,comdat
.Lfunc_end32:
	.size	_ZL33flash_attn_stream_k_fixup_generalILi64ELi1ELi4EEvPfPK15HIP_vector_typeIfLj2EEiiiiS1_IjLj3EES5_S5_S5_, .Lfunc_end32-_ZL33flash_attn_stream_k_fixup_generalILi64ELi1ELi4EEvPfPK15HIP_vector_typeIfLj2EEiiiiS1_IjLj3EES5_S5_S5_
                                        ; -- End function
	.section	.AMDGPU.csdata,"",@progbits
; Kernel info:
; codeLenInByte = 2804
; NumSgprs: 36
; NumVgprs: 22
; NumAgprs: 0
; TotalNumVgprs: 22
; ScratchSize: 0
; MemoryBound: 0
; FloatMode: 240
; IeeeMode: 1
; LDSByteSize: 0 bytes/workgroup (compile time only)
; SGPRBlocks: 4
; VGPRBlocks: 2
; NumSGPRsForWavesPerEU: 36
; NumVGPRsForWavesPerEU: 22
; AccumOffset: 24
; Occupancy: 8
; WaveLimiterHint : 0
; COMPUTE_PGM_RSRC2:SCRATCH_EN: 0
; COMPUTE_PGM_RSRC2:USER_SGPR: 6
; COMPUTE_PGM_RSRC2:TRAP_HANDLER: 0
; COMPUTE_PGM_RSRC2:TGID_X_EN: 1
; COMPUTE_PGM_RSRC2:TGID_Y_EN: 1
; COMPUTE_PGM_RSRC2:TGID_Z_EN: 1
; COMPUTE_PGM_RSRC2:TIDIG_COMP_CNT: 0
; COMPUTE_PGM_RSRC3_GFX90A:ACCUM_OFFSET: 5
; COMPUTE_PGM_RSRC3_GFX90A:TG_SPLIT: 0
	.section	.text._ZL15flash_attn_tileILi64ELi64ELi32ELi2ELb0EEvPKcS1_S1_S1_S1_PKiPfP15HIP_vector_typeIfLj2EEffffjfiS5_IjLj3EEiiiiiiiiiiiliiliiiiil,"axG",@progbits,_ZL15flash_attn_tileILi64ELi64ELi32ELi2ELb0EEvPKcS1_S1_S1_S1_PKiPfP15HIP_vector_typeIfLj2EEffffjfiS5_IjLj3EEiiiiiiiiiiiliiliiiiil,comdat
	.globl	_ZL15flash_attn_tileILi64ELi64ELi32ELi2ELb0EEvPKcS1_S1_S1_S1_PKiPfP15HIP_vector_typeIfLj2EEffffjfiS5_IjLj3EEiiiiiiiiiiiliiliiiiil ; -- Begin function _ZL15flash_attn_tileILi64ELi64ELi32ELi2ELb0EEvPKcS1_S1_S1_S1_PKiPfP15HIP_vector_typeIfLj2EEffffjfiS5_IjLj3EEiiiiiiiiiiiliiliiiiil
	.p2align	8
	.type	_ZL15flash_attn_tileILi64ELi64ELi32ELi2ELb0EEvPKcS1_S1_S1_S1_PKiPfP15HIP_vector_typeIfLj2EEffffjfiS5_IjLj3EEiiiiiiiiiiiliiliiiiil,@function
_ZL15flash_attn_tileILi64ELi64ELi32ELi2ELb0EEvPKcS1_S1_S1_S1_PKiPfP15HIP_vector_typeIfLj2EEffffjfiS5_IjLj3EEiiiiiiiiiiiliiliiiiil: ; @_ZL15flash_attn_tileILi64ELi64ELi32ELi2ELb0EEvPKcS1_S1_S1_S1_PKiPfP15HIP_vector_typeIfLj2EEffffjfiS5_IjLj3EEiiiiiiiiiiiliiliiiiil
; %bb.0:
	s_load_dwordx4 s[0:3], s[4:5], 0x5c
	s_load_dwordx2 s[30:31], s[4:5], 0x80
	s_load_dwordx2 s[36:37], s[4:5], 0xb8
	s_mov_b64 s[34:35], 0
	s_waitcnt lgkmcnt(0)
	s_lshr_b32 s9, s3, 31
	s_add_i32 s9, s3, s9
	s_ashr_i32 s9, s9, 1
	v_cvt_f32_u32_e32 v1, s9
	s_sub_i32 s10, 0, s9
	v_rcp_iflag_f32_e32 v1, v1
	v_mul_f32_e32 v1, 0x4f7ffffe, v1
	v_cvt_u32_f32_e32 v1, v1
	v_readfirstlane_b32 s11, v1
	s_mul_i32 s10, s10, s11
	s_mul_hi_u32 s10, s11, s10
	s_add_i32 s11, s11, s10
	s_mul_hi_u32 s10, s8, s11
	s_mul_i32 s11, s10, s9
	s_sub_i32 s11, s8, s11
	s_add_i32 s12, s10, 1
	s_sub_i32 s13, s11, s9
	s_cmp_ge_u32 s11, s9
	s_cselect_b32 s10, s12, s10
	s_cselect_b32 s11, s13, s11
	s_add_i32 s12, s10, 1
	s_cmp_ge_u32 s11, s9
	s_cselect_b32 s33, s12, s10
	s_abs_i32 s9, s31
	v_cvt_f32_u32_e32 v1, s9
	s_lshl_b32 s8, s8, 1
	s_mul_i32 s12, s33, s3
	s_sub_i32 s13, 0, s9
	v_rcp_iflag_f32_e32 v1, v1
	s_sub_i32 s28, s8, s12
	s_abs_i32 s11, s3
	s_xor_b32 s10, s3, s31
	v_mul_f32_e32 v1, 0x4f7ffffe, v1
	v_cvt_u32_f32_e32 v1, v1
	s_ashr_i32 s10, s10, 31
	v_readfirstlane_b32 s8, v1
	s_mul_i32 s13, s13, s8
	s_mul_hi_u32 s12, s8, s13
	s_add_i32 s8, s8, s12
	s_mul_hi_u32 s8, s11, s8
	s_mul_i32 s12, s8, s9
	s_sub_i32 s11, s11, s12
	s_add_i32 s13, s8, 1
	s_sub_i32 s12, s11, s9
	s_cmp_ge_u32 s11, s9
	s_cselect_b32 s8, s13, s8
	s_cselect_b32 s11, s12, s11
	s_add_i32 s12, s8, 1
	s_cmp_ge_u32 s11, s9
	s_cselect_b32 s8, s12, s8
	s_xor_b32 s8, s8, s10
	s_sub_i32 s31, s8, s10
	s_abs_i32 s29, s31
	v_cvt_f32_u32_e32 v1, s29
	s_load_dwordx16 s[8:23], s[4:5], 0x0
	v_rcp_iflag_f32_e32 v1, v1
	s_waitcnt lgkmcnt(0)
	s_cmp_eq_u64 s[14:15], 0
	v_mul_f32_e32 v1, 0x4f7ffffe, v1
	v_cvt_u32_f32_e32 v1, v1
	v_readfirstlane_b32 s38, v1
	s_cbranch_scc1 .LBB33_2
; %bb.1:
	s_abs_i32 s26, s36
	v_cvt_f32_u32_e32 v1, s26
	s_sub_i32 s35, 0, s26
	s_abs_i32 s34, s33
	s_ashr_i32 s27, s33, 31
	v_rcp_iflag_f32_e32 v1, v1
	s_load_dwordx2 s[24:25], s[4:5], 0xc8
	v_mul_f32_e32 v1, 0x4f7ffffe, v1
	v_cvt_u32_f32_e32 v1, v1
	v_readfirstlane_b32 s36, v1
	s_mul_i32 s35, s35, s36
	s_mul_hi_u32 s35, s36, s35
	s_add_i32 s36, s36, s35
	s_mul_hi_u32 s35, s34, s36
	s_mul_i32 s35, s35, s26
	s_sub_i32 s34, s34, s35
	s_sub_i32 s35, s34, s26
	s_cmp_ge_u32 s34, s26
	s_cselect_b32 s34, s35, s34
	s_sub_i32 s35, s34, s26
	s_cmp_ge_u32 s34, s26
	s_cselect_b32 s26, s35, s34
	s_xor_b32 s26, s26, s27
	s_sub_i32 s26, s26, s27
	s_ashr_i32 s27, s26, 31
	s_waitcnt lgkmcnt(0)
	s_mul_i32 s25, s26, s25
	s_mul_hi_u32 s34, s26, s24
	s_add_i32 s25, s34, s25
	s_mul_i32 s27, s27, s24
	s_add_i32 s25, s25, s27
	s_mul_i32 s26, s26, s24
	s_add_u32 s34, s14, s26
	s_addc_u32 s35, s15, s25
.LBB33_2:
	s_load_dwordx4 s[24:27], s[4:5], 0x70
	v_bfe_u32 v8, v0, 10, 10
	s_lshl_b32 s14, s6, 5
	v_lshlrev_b32_e32 v84, 2, v8
	v_add_u32_e32 v86, s14, v84
	s_waitcnt lgkmcnt(0)
	s_mul_i32 s15, s33, s26
	s_ashr_i32 s27, s15, 31
	v_and_b32_e32 v85, 0x3ff, v0
	v_mul_hi_u32 v0, v86, s0
	s_mul_i32 s26, s28, s25
	s_add_u32 s8, s8, s15
	v_add_u32_e32 v0, v86, v0
	s_addc_u32 s9, s9, s27
	s_ashr_i32 s15, s26, 31
	v_lshrrev_b32_e32 v0, s1, v0
	s_add_u32 s36, s8, s26
	v_mul_lo_u32 v0, v0, s2
	s_addc_u32 s15, s9, s15
	s_ashr_i32 s26, s24, 31
	v_sub_u32_e32 v9, v86, v0
	v_mov_b32_e32 v0, s24
	v_alignbit_b32 v23, s26, v0, 2
	v_mad_u64_u32 v[0:1], s[8:9], v23, v9, 0
	v_mov_b32_e32 v2, v1
	s_lshr_b32 s8, s26, 2
	v_mad_u64_u32 v[2:3], s[26:27], s8, v9, v[2:3]
	v_mov_b32_e32 v1, v2
	v_lshlrev_b64 v[0:1], 2, v[0:1]
	v_mov_b32_e32 v2, s15
	v_add_co_u32_e32 v3, vcc, s36, v0
	v_lshlrev_b32_e32 v22, 3, v8
	s_ashr_i32 s39, s25, 31
	v_addc_co_u32_e32 v4, vcc, v2, v1, vcc
	v_lshlrev_b32_e32 v24, 3, v85
	s_and_b32 s9, s25, -4
	v_add_co_u32_e32 v2, vcc, v3, v24
	s_add_u32 s26, s36, s9
	v_or_b32_e32 v25, 2, v22
	v_addc_co_u32_e32 v3, vcc, 0, v4, vcc
	s_addc_u32 s27, s15, s39
	v_lshrrev_b32_e32 v82, 1, v25
	v_mov_b32_e32 v4, s27
	v_add_co_u32_e32 v0, vcc, s26, v0
	v_add_u32_e32 v83, s14, v82
	v_addc_co_u32_e32 v1, vcc, v4, v1, vcc
	v_mul_hi_u32 v4, v83, s0
	v_add_u32_e32 v4, v83, v4
	v_lshrrev_b32_e32 v4, s1, v4
	v_mul_lo_u32 v4, v4, s2
	v_sub_u32_e32 v7, v83, v4
	v_mad_u64_u32 v[4:5], s[24:25], v23, v7, 0
	v_mov_b32_e32 v6, v5
	v_mad_u64_u32 v[6:7], s[24:25], s8, v7, v[6:7]
	v_add_co_u32_e32 v0, vcc, v0, v24
	v_mov_b32_e32 v5, v6
	v_or_b32_e32 v26, 3, v22
	v_addc_co_u32_e32 v1, vcc, 0, v1, vcc
	v_lshlrev_b64 v[4:5], 2, v[4:5]
	v_lshrrev_b32_e32 v80, 1, v26
	v_mov_b32_e32 v6, s15
	v_add_co_u32_e32 v4, vcc, s36, v4
	v_add_u32_e32 v81, s14, v80
	v_addc_co_u32_e32 v5, vcc, v6, v5, vcc
	v_mul_hi_u32 v6, v81, s0
	v_add_u32_e32 v6, v81, v6
	v_lshrrev_b32_e32 v6, s1, v6
	v_mul_lo_u32 v6, v6, s2
	v_sub_u32_e32 v11, v81, v6
	v_mad_u64_u32 v[6:7], s[24:25], v23, v11, 0
	v_mov_b32_e32 v10, v7
	v_mad_u64_u32 v[10:11], s[24:25], s8, v11, v[10:11]
	v_add_co_u32_e32 v4, vcc, v4, v24
	v_mov_b32_e32 v7, v10
	v_addc_co_u32_e32 v5, vcc, 0, v5, vcc
	v_lshlrev_b64 v[6:7], 2, v[6:7]
	v_mov_b32_e32 v10, s27
	v_add_co_u32_e32 v6, vcc, s26, v6
	v_or_b32_e32 v27, 4, v22
	v_addc_co_u32_e32 v7, vcc, v10, v7, vcc
	v_lshrrev_b32_e32 v78, 1, v27
	v_add_co_u32_e32 v6, vcc, v6, v24
	v_add_u32_e32 v79, s14, v78
	v_addc_co_u32_e32 v7, vcc, 0, v7, vcc
	global_load_dwordx2 v[10:11], v[2:3], off
	global_load_dwordx2 v[12:13], v[0:1], off
	;; [unrolled: 1-line block ×4, first 2 shown]
	v_mul_hi_u32 v0, v79, s0
	v_add_u32_e32 v0, v79, v0
	v_lshrrev_b32_e32 v0, s1, v0
	v_mul_lo_u32 v0, v0, s2
	v_sub_u32_e32 v3, v79, v0
	v_mad_u64_u32 v[0:1], s[24:25], v23, v3, 0
	v_mov_b32_e32 v2, v1
	v_mad_u64_u32 v[2:3], s[24:25], s8, v3, v[2:3]
	v_mov_b32_e32 v1, v2
	v_or_b32_e32 v28, 5, v22
	v_lshlrev_b64 v[0:1], 2, v[0:1]
	v_lshrrev_b32_e32 v76, 1, v28
	v_mov_b32_e32 v2, s15
	v_add_co_u32_e32 v0, vcc, s36, v0
	v_add_u32_e32 v77, s14, v76
	v_addc_co_u32_e32 v1, vcc, v2, v1, vcc
	v_mul_hi_u32 v2, v77, s0
	v_add_u32_e32 v2, v77, v2
	v_lshrrev_b32_e32 v2, s1, v2
	v_mul_lo_u32 v2, v2, s2
	v_sub_u32_e32 v5, v77, v2
	v_mad_u64_u32 v[2:3], s[24:25], v23, v5, 0
	v_mov_b32_e32 v4, v3
	v_mad_u64_u32 v[4:5], s[24:25], s8, v5, v[4:5]
	v_add_co_u32_e32 v0, vcc, v0, v24
	v_mov_b32_e32 v3, v4
	v_or_b32_e32 v29, 6, v22
	v_addc_co_u32_e32 v1, vcc, 0, v1, vcc
	v_lshlrev_b64 v[2:3], 2, v[2:3]
	v_lshrrev_b32_e32 v74, 1, v29
	v_mov_b32_e32 v4, s27
	v_add_co_u32_e32 v2, vcc, s26, v2
	v_add_u32_e32 v75, s14, v74
	v_addc_co_u32_e32 v3, vcc, v4, v3, vcc
	v_mul_hi_u32 v4, v75, s0
	v_add_u32_e32 v4, v75, v4
	v_lshrrev_b32_e32 v4, s1, v4
	v_mul_lo_u32 v4, v4, s2
	v_sub_u32_e32 v7, v75, v4
	v_mad_u64_u32 v[4:5], s[24:25], v23, v7, 0
	v_mov_b32_e32 v6, v5
	v_mad_u64_u32 v[6:7], s[24:25], s8, v7, v[6:7]
	v_add_co_u32_e32 v2, vcc, v2, v24
	v_mov_b32_e32 v5, v6
	v_addc_co_u32_e32 v3, vcc, 0, v3, vcc
	v_lshlrev_b64 v[4:5], 2, v[4:5]
	v_mov_b32_e32 v6, s15
	v_add_co_u32_e32 v4, vcc, s36, v4
	v_addc_co_u32_e32 v5, vcc, v6, v5, vcc
	v_add_co_u32_e32 v4, vcc, v4, v24
	v_addc_co_u32_e32 v5, vcc, 0, v5, vcc
	global_load_dwordx2 v[6:7], v[0:1], off
	global_load_dwordx2 v[18:19], v[2:3], off
	;; [unrolled: 1-line block ×3, first 2 shown]
	v_or_b32_e32 v4, 7, v22
	v_lshrrev_b32_e32 v72, 1, v4
	v_add_u32_e32 v73, s14, v72
	v_mul_hi_u32 v0, v73, s0
	v_add_u32_e32 v0, v73, v0
	v_lshrrev_b32_e32 v0, s1, v0
	v_mul_lo_u32 v0, v0, s2
	v_sub_u32_e32 v3, v73, v0
	v_mad_u64_u32 v[0:1], s[24:25], v23, v3, 0
	v_mov_b32_e32 v2, v1
	v_mad_u64_u32 v[2:3], s[8:9], s8, v3, v[2:3]
	v_mov_b32_e32 v1, v2
	v_lshlrev_b64 v[0:1], 2, v[0:1]
	v_mov_b32_e32 v2, s27
	v_add_co_u32_e32 v0, vcc, s26, v0
	v_addc_co_u32_e32 v1, vcc, v2, v1, vcc
	v_add_co_u32_e32 v0, vcc, v0, v24
	v_addc_co_u32_e32 v1, vcc, 0, v1, vcc
	global_load_dwordx2 v[0:1], v[0:1], off
	s_load_dword s8, s[4:5], 0x40
	v_lshlrev_b32_e32 v87, 2, v85
	v_lshl_or_b32 v3, v8, 10, v87
	v_add_u32_e32 v3, 0x4400, v3
	s_cmp_eq_u64 s[18:19], 0
	s_waitcnt vmcnt(7) lgkmcnt(0)
	v_fma_mixlo_f16 v2, v10, s8, 0
	s_waitcnt vmcnt(6)
	v_fma_mixlo_f16 v5, v12, s8, 0
	v_fma_mixhi_f16 v2, v11, s8, 0
	v_fma_mixhi_f16 v5, v13, s8, 0
	ds_write2_b32 v3, v2, v5 offset1:32
	s_waitcnt vmcnt(5)
	v_fma_mixlo_f16 v2, v14, s8, 0
	v_lshlrev_b32_e32 v3, 5, v25
	v_fma_mixhi_f16 v2, v15, s8, 0
	v_add_lshl_u32 v3, v3, v85, 2
	ds_write_b32 v3, v2 offset:17408
	s_waitcnt vmcnt(4)
	v_fma_mixlo_f16 v2, v16, s8, 0
	v_lshlrev_b32_e32 v3, 5, v26
	v_fma_mixhi_f16 v2, v17, s8, 0
	v_add_lshl_u32 v3, v3, v85, 2
	ds_write_b32 v3, v2 offset:17408
	v_lshlrev_b32_e32 v3, 5, v27
	v_add_lshl_u32 v3, v3, v85, 2
	s_waitcnt vmcnt(3)
	v_fma_mixlo_f16 v2, v6, s8, 0
	v_fma_mixhi_f16 v2, v7, s8, 0
	ds_write_b32 v3, v2 offset:17408
	s_waitcnt vmcnt(2)
	v_fma_mixlo_f16 v2, v18, s8, 0
	v_lshlrev_b32_e32 v3, 5, v28
	v_fma_mixhi_f16 v2, v19, s8, 0
	v_add_lshl_u32 v3, v3, v85, 2
	ds_write_b32 v3, v2 offset:17408
	s_waitcnt vmcnt(1)
	v_fma_mixlo_f16 v2, v20, s8, 0
	v_lshlrev_b32_e32 v3, 5, v29
	v_fma_mixhi_f16 v2, v21, s8, 0
	v_add_lshl_u32 v3, v3, v85, 2
	ds_write_b32 v3, v2 offset:17408
	s_waitcnt vmcnt(0)
	v_fma_mixlo_f16 v0, v0, s8, 0
	v_fma_mixhi_f16 v0, v1, s8, 0
	v_lshlrev_b32_e32 v1, 5, v4
	v_add_lshl_u32 v1, v1, v85, 2
	ds_write_b32 v1, v0 offset:17408
	s_waitcnt lgkmcnt(0)
	s_barrier
	s_cbranch_scc1 .LBB33_4
; %bb.3:
	s_load_dword s8, s[4:5], 0xd0
	s_mov_b32 s9, 0
	s_waitcnt lgkmcnt(0)
	s_mul_i32 s8, s8, s33
	s_add_i32 s8, s8, s6
	s_lshl_b64 s[8:9], s[8:9], 2
	s_add_u32 s8, s18, s8
	s_addc_u32 s9, s19, s9
	s_load_dword s30, s[8:9], 0x0
.LBB33_4:
	s_lshl_b32 s15, s7, 6
	s_waitcnt lgkmcnt(0)
	s_cmp_lt_i32 s15, s30
	v_mbcnt_lo_u32_b32 v10, -1, 0
	s_cbranch_scc1 .LBB33_6
; %bb.5:
	v_mbcnt_hi_u32_b32 v88, -1, v10
	v_and_b32_e32 v0, 0x60, v88
	s_mov_b32 s6, 0
	v_add_u32_e32 v89, 32, v0
	v_xor_b32_e32 v93, 16, v88
	v_xor_b32_e32 v94, 8, v88
	;; [unrolled: 1-line block ×5, first 2 shown]
	s_mov_b64 s[8:9], 0
	s_mov_b32 s18, 0xfeffffff
	s_branch .LBB33_7
.LBB33_6:
	s_mov_b64 s[8:9], -1
                                        ; implicit-def: $sgpr18
                                        ; implicit-def: $sgpr6
                                        ; implicit-def: $vgpr88
                                        ; implicit-def: $vgpr89
                                        ; implicit-def: $vgpr93
                                        ; implicit-def: $vgpr94
                                        ; implicit-def: $vgpr92
                                        ; implicit-def: $vgpr91
                                        ; implicit-def: $vgpr90
.LBB33_7:
	s_andn2_b64 vcc, exec, s[8:9]
	v_mov_b32_e32 v7, s18
	v_mov_b32_e32 v45, s6
	;; [unrolled: 1-line block ×24, first 2 shown]
	s_cbranch_vccnz .LBB33_10
; %bb.8:
	s_load_dwordx2 s[18:19], s[4:5], 0x8c
	s_load_dwordx4 s[24:27], s[4:5], 0x98
	s_sub_i32 s6, 0, s29
	s_mul_i32 s6, s6, s38
	s_mul_hi_u32 s6, s38, s6
	s_waitcnt lgkmcnt(0)
	s_ashr_i32 s9, s18, 2
	s_ashr_i32 s8, s26, 2
	;; [unrolled: 1-line block ×4, first 2 shown]
	s_mul_i32 s25, s33, s25
	s_mul_hi_u32 s37, s33, s24
	s_add_i32 s25, s37, s25
	s_mul_i32 s37, s18, s24
	s_abs_i32 s36, s28
	s_add_i32 s38, s38, s6
	s_ashr_i32 s40, s28, 31
	s_ashr_i32 s31, s31, 31
	s_add_i32 s25, s25, s37
	s_mul_i32 s24, s33, s24
	s_mul_hi_u32 s6, s36, s38
	s_add_u32 s10, s10, s24
	s_addc_u32 s11, s11, s25
	s_mul_i32 s25, s6, s29
	v_lshlrev_b32_e32 v3, 10, v8
	v_add_u32_e32 v8, 1, v86
	s_sub_i32 s25, s36, s25
	v_mul_lo_u32 v99, v9, s26
	v_mul_hi_u32 v9, s0, v8
	s_xor_b32 s24, s40, s31
	s_add_i32 s31, s6, 1
	s_sub_i32 s36, s25, s29
	v_add_u32_e32 v9, v8, v9
	s_cmp_ge_u32 s25, s29
	v_lshrrev_b32_e32 v9, s1, v9
	s_cselect_b32 s6, s31, s6
	v_mul_lo_u32 v9, v9, s2
	s_cselect_b32 s25, s36, s25
	s_add_i32 s31, s6, 1
	v_sub_u32_e32 v8, v8, v9
	s_cmp_ge_u32 s25, s29
	v_mul_lo_u32 v100, v8, s26
	v_add_u32_e32 v8, 2, v86
	s_cselect_b32 s6, s31, s6
	v_mul_hi_u32 v9, s0, v8
	s_load_dwordx2 s[38:39], s[4:5], 0xa8
	s_xor_b32 s6, s6, s24
	v_add_u32_e32 v9, v8, v9
	s_sub_i32 s6, s6, s24
	v_lshrrev_b32_e32 v9, s1, v9
	s_mul_i32 s19, s6, s19
	v_mul_lo_u32 v9, v9, s2
	s_ashr_i32 s24, s19, 31
	v_sub_u32_e32 v8, v8, v9
	s_add_u32 s10, s10, s19
	v_mul_lo_u32 v101, v8, s26
	v_add_u32_e32 v8, 3, v86
	s_addc_u32 s11, s11, s24
	s_waitcnt lgkmcnt(0)
	s_mul_i32 s19, s33, s39
	s_mul_hi_u32 s24, s33, s38
	v_mul_hi_u32 v9, s0, v8
	s_add_i32 s19, s24, s19
	s_mul_i32 s18, s18, s38
	v_add_u32_e32 v9, v8, v9
	s_add_i32 s19, s19, s18
	s_mul_i32 s18, s33, s38
	v_lshrrev_b32_e32 v9, s1, v9
	s_add_u32 s12, s12, s18
	s_mul_i32 s6, s6, s27
	v_lshrrev_b32_e32 v0, 3, v85
	v_mul_lo_u32 v9, v9, s2
	s_addc_u32 s13, s13, s19
	s_ashr_i32 s18, s6, 31
	v_add_u32_e32 v0, v0, v84
	v_sub_u32_e32 v8, v8, v9
	s_add_u32 s12, s12, s6
	v_and_b32_e32 v2, 28, v87
	v_mul_lo_u32 v4, s9, v0
	v_mul_lo_u32 v102, v8, s26
	;; [unrolled: 1-line block ×3, first 2 shown]
	s_addc_u32 s13, s13, s18
	v_lshlrev_b32_e32 v1, 2, v2
	s_movk_i32 s6, 0x90
	v_lshl_add_u32 v6, s9, 5, v4
	v_lshl_add_u32 v12, s8, 5, v8
	v_mbcnt_hi_u32_b32 v88, -1, v10
	v_mov_b32_e32 v119, 0
	v_mad_u32_u24 v95, v0, s6, v1
	v_ashrrev_i32_e32 v5, 31, v4
	v_ashrrev_i32_e32 v7, 31, v6
	v_add_u32_e32 v98, 0x4400, v3
	v_add_u32_e32 v103, 0x2400, v3
	v_lshlrev_b32_e32 v3, 4, v85
	v_lshl_or_b32 v104, v0, 7, v1
	v_ashrrev_i32_e32 v9, 31, v8
	v_ashrrev_i32_e32 v13, 31, v12
	s_add_u32 s0, s4, 0xd0
	v_mov_b32_e32 v0, 0xfeffffff
	v_and_b32_e32 v1, 0x60, v88
	v_add_u32_e32 v96, 0x1200, v95
	v_mul_u32_u24_e32 v97, 0x90, v85
	v_add_u32_e32 v105, 0x1000, v104
	s_addc_u32 s1, s5, 0
	v_lshlrev_b64 v[52:53], 2, v[4:5]
	v_lshlrev_b32_e32 v106, 2, v2
	v_lshlrev_b64 v[54:55], 2, v[6:7]
	v_add_u32_e32 v89, 32, v1
	v_xor_b32_e32 v93, 16, v88
	v_xor_b32_e32 v94, 8, v88
	;; [unrolled: 1-line block ×5, first 2 shown]
	v_mov_b32_e32 v107, s35
	s_mov_b32 s6, 0x40051340
	s_mov_b32 s18, 0x3fb8aa3b
	s_mov_b32 s19, 0xc2ce8ed0
	s_mov_b32 s24, 0x42b17218
	v_mov_b32_e32 v108, 0x7f800000
	v_add_u32_e32 v109, v103, v3
	v_lshlrev_b64 v[56:57], 2, v[8:9]
	v_lshlrev_b64 v[58:59], 2, v[12:13]
	v_add_u32_e32 v110, 0x400, v87
	v_add_u32_e32 v111, 0x800, v87
	v_add_u32_e32 v112, 0xc00, v87
	v_add_u32_e32 v113, 0x1000, v87
	v_add_u32_e32 v114, 0x1400, v87
	v_add_u32_e32 v115, 0x1800, v87
	v_add_u32_e32 v116, 0x1c00, v87
	v_mov_b32_e32 v121, 0
	v_mov_b32_e32 v117, 0
	v_mov_b32_e32 v118, 0
	v_mov_b32_e32 v120, 0
	v_mov_b32_e32 v122, 0
	v_mov_b32_e32 v123, 0
	v_mov_b32_e32 v124, 0
	v_mov_b32_e32 v1, v0
	v_mov_b32_e32 v2, v0
	v_mov_b32_e32 v3, v0
	v_mov_b32_e32 v4, v0
	v_mov_b32_e32 v5, v0
	v_mov_b32_e32 v6, v0
	v_mov_b32_e32 v7, v0
	v_mov_b32_e32 v50, 0
	v_mov_b32_e32 v51, v119
	v_mov_b32_e32 v48, 0
	v_mov_b32_e32 v49, v119
	v_mov_b32_e32 v46, 0
	v_mov_b32_e32 v47, v119
	v_mov_b32_e32 v44, 0
	v_mov_b32_e32 v45, v119
.LBB33_9:                               ; =>This Inner Loop Header: Depth=1
	s_mul_hi_i32 s27, s15, s9
	s_mul_i32 s26, s15, s9
	s_lshl_b64 s[26:27], s[26:27], 2
	s_add_u32 s25, s10, s26
	s_addc_u32 s26, s11, s27
	v_mov_b32_e32 v63, v1
	v_mov_b32_e32 v62, v0
	v_add_co_u32_e32 v0, vcc, s25, v52
	v_mov_b32_e32 v1, s26
	v_addc_co_u32_e32 v1, vcc, v1, v53, vcc
	v_add_co_u32_e32 v0, vcc, v0, v106
	v_addc_co_u32_e32 v1, vcc, 0, v1, vcc
	v_mov_b32_e32 v61, v3
	v_mov_b32_e32 v60, v2
	global_load_dwordx4 v[0:3], v[0:1], off
	v_mov_b32_e32 v66, 0
	v_mov_b32_e32 v67, 0
	v_mov_b32_e32 v68, 0
	v_mov_b32_e32 v69, 0
	v_mov_b32_e32 v64, 0
	v_mov_b32_e32 v65, 0
	v_mov_b32_e32 v125, 0
	v_mov_b32_e32 v70, 0
	v_mov_b32_e32 v71, 0
	s_mul_hi_i32 s27, s15, s8
	s_waitcnt vmcnt(0)
	ds_write_b128 v95, v[0:3]
	v_add_co_u32_e32 v0, vcc, s25, v54
	v_mov_b32_e32 v1, s26
	v_addc_co_u32_e32 v1, vcc, v1, v55, vcc
	v_add_co_u32_e32 v0, vcc, v0, v106
	v_addc_co_u32_e32 v1, vcc, 0, v1, vcc
	global_load_dwordx4 v[0:3], v[0:1], off
	v_cmp_lt_i32_e32 vcc, v93, v89
	s_mul_i32 s26, s15, s8
	s_lshl_b64 s[26:27], s[26:27], 2
	s_add_u32 s25, s12, s26
	s_addc_u32 s26, s13, s27
	s_waitcnt vmcnt(0)
	ds_write_b128 v96, v[0:3]
	s_waitcnt lgkmcnt(0)
	s_barrier
	ds_read_b128 v[40:43], v97
	ds_read_b128 v[0:3], v97 offset:4608
	ds_read_b128 v[36:39], v98
	ds_read_b128 v[32:35], v98 offset:128
	ds_read_b128 v[28:31], v98 offset:256
	;; [unrolled: 1-line block ×7, first 2 shown]
	s_waitcnt lgkmcnt(7)
	;;#ASMSTART
	v_dot2_f32_f16 v66, v40, v36, v66
	;;#ASMEND
	;;#ASMSTART
	v_dot2_f32_f16 v66, v41, v37, v66
	;;#ASMEND
	;;#ASMSTART
	v_dot2_f32_f16 v66, v42, v38, v66
	;;#ASMEND
	;;#ASMSTART
	v_dot2_f32_f16 v66, v43, v39, v66
	;;#ASMEND
	s_waitcnt lgkmcnt(6)
	;;#ASMSTART
	v_dot2_f32_f16 v67, v40, v32, v67
	;;#ASMEND
	;;#ASMSTART
	v_dot2_f32_f16 v67, v41, v33, v67
	;;#ASMEND
	;;#ASMSTART
	v_dot2_f32_f16 v67, v42, v34, v67
	;;#ASMEND
	;;#ASMSTART
	v_dot2_f32_f16 v67, v43, v35, v67
	;;#ASMEND
	;; [unrolled: 13-line block ×7, first 2 shown]
	s_waitcnt lgkmcnt(0)
	;;#ASMSTART
	v_dot2_f32_f16 v70, v40, v8, v70
	;;#ASMEND
	;;#ASMSTART
	v_dot2_f32_f16 v70, v41, v9, v70
	;;#ASMEND
	;;#ASMSTART
	v_dot2_f32_f16 v70, v42, v10, v70
	;;#ASMEND
	v_mov_b32_e32 v40, 0
	;;#ASMSTART
	v_dot2_f32_f16 v70, v43, v11, v70
	;;#ASMEND
	;;#ASMSTART
	v_dot2_f32_f16 v40, v0, v36, v40
	;;#ASMEND
	;;#ASMSTART
	v_dot2_f32_f16 v40, v1, v37, v40
	;;#ASMEND
	;;#ASMSTART
	v_dot2_f32_f16 v40, v2, v38, v40
	;;#ASMEND
	v_mov_b32_e32 v41, 0
	;;#ASMSTART
	v_dot2_f32_f16 v40, v3, v39, v40
	;;#ASMEND
	;; [unrolled: 13-line block ×7, first 2 shown]
	;;#ASMSTART
	v_dot2_f32_f16 v16, v0, v12, v16
	;;#ASMEND
	;;#ASMSTART
	v_dot2_f32_f16 v16, v1, v13, v16
	;;#ASMEND
	;; [unrolled: 3-line block ×8, first 2 shown]
	ds_read_b128 v[0:3], v97 offset:16
	ds_read_b128 v[8:11], v97 offset:4624
	ds_read_b128 v[12:15], v98 offset:16
	ds_read_b128 v[18:21], v98 offset:144
	ds_read_b128 v[26:29], v98 offset:272
	ds_read_b128 v[34:37], v98 offset:400
	ds_read_b128 v[126:129], v98 offset:528
	ds_read_b128 v[130:133], v98 offset:656
	ds_read_b128 v[134:137], v98 offset:784
	ds_read_b128 v[138:141], v98 offset:912
	s_waitcnt lgkmcnt(7)
	;;#ASMSTART
	v_dot2_f32_f16 v66, v0, v12, v66
	;;#ASMEND
	;;#ASMSTART
	v_dot2_f32_f16 v66, v1, v13, v66
	;;#ASMEND
	;;#ASMSTART
	v_dot2_f32_f16 v66, v2, v14, v66
	;;#ASMEND
	;;#ASMSTART
	v_dot2_f32_f16 v66, v3, v15, v66
	;;#ASMEND
	s_waitcnt lgkmcnt(6)
	;;#ASMSTART
	v_dot2_f32_f16 v67, v0, v18, v67
	;;#ASMEND
	;;#ASMSTART
	v_dot2_f32_f16 v67, v1, v19, v67
	;;#ASMEND
	;;#ASMSTART
	v_dot2_f32_f16 v67, v2, v20, v67
	;;#ASMEND
	;;#ASMSTART
	v_dot2_f32_f16 v67, v3, v21, v67
	;;#ASMEND
	;; [unrolled: 13-line block ×8, first 2 shown]
	;;#ASMSTART
	v_dot2_f32_f16 v40, v8, v12, v40
	;;#ASMEND
	;;#ASMSTART
	v_dot2_f32_f16 v40, v9, v13, v40
	;;#ASMEND
	;; [unrolled: 3-line block ×32, first 2 shown]
	ds_read_b128 v[0:3], v97 offset:32
	ds_read_b128 v[8:11], v97 offset:4640
	;; [unrolled: 1-line block ×10, first 2 shown]
	s_waitcnt lgkmcnt(7)
	;;#ASMSTART
	v_dot2_f32_f16 v66, v0, v12, v66
	;;#ASMEND
	;;#ASMSTART
	v_dot2_f32_f16 v66, v1, v13, v66
	;;#ASMEND
	;;#ASMSTART
	v_dot2_f32_f16 v66, v2, v14, v66
	;;#ASMEND
	;;#ASMSTART
	v_dot2_f32_f16 v66, v3, v15, v66
	;;#ASMEND
	s_waitcnt lgkmcnt(6)
	;;#ASMSTART
	v_dot2_f32_f16 v67, v0, v18, v67
	;;#ASMEND
	;;#ASMSTART
	v_dot2_f32_f16 v67, v1, v19, v67
	;;#ASMEND
	;;#ASMSTART
	v_dot2_f32_f16 v67, v2, v20, v67
	;;#ASMEND
	;;#ASMSTART
	v_dot2_f32_f16 v67, v3, v21, v67
	;;#ASMEND
	;; [unrolled: 13-line block ×8, first 2 shown]
	;;#ASMSTART
	v_dot2_f32_f16 v40, v8, v12, v40
	;;#ASMEND
	;;#ASMSTART
	v_dot2_f32_f16 v40, v9, v13, v40
	;;#ASMEND
	;; [unrolled: 3-line block ×32, first 2 shown]
	ds_read_b128 v[0:3], v97 offset:48
	ds_read_b128 v[8:11], v97 offset:4656
	ds_read_b128 v[12:15], v98 offset:48
	ds_read_b128 v[18:21], v98 offset:176
	ds_read_b128 v[26:29], v98 offset:304
	ds_read_b128 v[34:37], v98 offset:432
	ds_read_b128 v[126:129], v98 offset:560
	ds_read_b128 v[130:133], v98 offset:688
	ds_read_b128 v[134:137], v98 offset:816
	ds_read_b128 v[138:141], v98 offset:944
	s_waitcnt lgkmcnt(7)
	;;#ASMSTART
	v_dot2_f32_f16 v66, v0, v12, v66
	;;#ASMEND
	;;#ASMSTART
	v_dot2_f32_f16 v66, v1, v13, v66
	;;#ASMEND
	;;#ASMSTART
	v_dot2_f32_f16 v66, v2, v14, v66
	;;#ASMEND
	;;#ASMSTART
	v_dot2_f32_f16 v66, v3, v15, v66
	;;#ASMEND
	s_waitcnt lgkmcnt(6)
	;;#ASMSTART
	v_dot2_f32_f16 v67, v0, v18, v67
	;;#ASMEND
	;;#ASMSTART
	v_dot2_f32_f16 v67, v1, v19, v67
	;;#ASMEND
	;;#ASMSTART
	v_dot2_f32_f16 v67, v2, v20, v67
	;;#ASMEND
	;;#ASMSTART
	v_dot2_f32_f16 v67, v3, v21, v67
	;;#ASMEND
	;; [unrolled: 13-line block ×8, first 2 shown]
	;;#ASMSTART
	v_dot2_f32_f16 v40, v8, v12, v40
	;;#ASMEND
	;;#ASMSTART
	v_dot2_f32_f16 v40, v9, v13, v40
	;;#ASMEND
	;; [unrolled: 3-line block ×32, first 2 shown]
	ds_read_b128 v[0:3], v97 offset:64
	ds_read_b128 v[8:11], v97 offset:4672
	;; [unrolled: 1-line block ×10, first 2 shown]
	s_waitcnt lgkmcnt(7)
	;;#ASMSTART
	v_dot2_f32_f16 v66, v0, v12, v66
	;;#ASMEND
	;;#ASMSTART
	v_dot2_f32_f16 v66, v1, v13, v66
	;;#ASMEND
	;;#ASMSTART
	v_dot2_f32_f16 v66, v2, v14, v66
	;;#ASMEND
	;;#ASMSTART
	v_dot2_f32_f16 v66, v3, v15, v66
	;;#ASMEND
	s_waitcnt lgkmcnt(6)
	;;#ASMSTART
	v_dot2_f32_f16 v67, v0, v18, v67
	;;#ASMEND
	;;#ASMSTART
	v_dot2_f32_f16 v67, v1, v19, v67
	;;#ASMEND
	;;#ASMSTART
	v_dot2_f32_f16 v67, v2, v20, v67
	;;#ASMEND
	;;#ASMSTART
	v_dot2_f32_f16 v67, v3, v21, v67
	;;#ASMEND
	;; [unrolled: 13-line block ×8, first 2 shown]
	;;#ASMSTART
	v_dot2_f32_f16 v40, v8, v12, v40
	;;#ASMEND
	;;#ASMSTART
	v_dot2_f32_f16 v40, v9, v13, v40
	;;#ASMEND
	;; [unrolled: 3-line block ×32, first 2 shown]
	ds_read_b128 v[0:3], v97 offset:80
	ds_read_b128 v[8:11], v97 offset:4688
	;; [unrolled: 1-line block ×10, first 2 shown]
	s_waitcnt lgkmcnt(7)
	;;#ASMSTART
	v_dot2_f32_f16 v66, v0, v12, v66
	;;#ASMEND
	;;#ASMSTART
	v_dot2_f32_f16 v66, v1, v13, v66
	;;#ASMEND
	;;#ASMSTART
	v_dot2_f32_f16 v66, v2, v14, v66
	;;#ASMEND
	;;#ASMSTART
	v_dot2_f32_f16 v66, v3, v15, v66
	;;#ASMEND
	s_waitcnt lgkmcnt(6)
	;;#ASMSTART
	v_dot2_f32_f16 v67, v0, v18, v67
	;;#ASMEND
	;;#ASMSTART
	v_dot2_f32_f16 v67, v1, v19, v67
	;;#ASMEND
	;;#ASMSTART
	v_dot2_f32_f16 v67, v2, v20, v67
	;;#ASMEND
	;;#ASMSTART
	v_dot2_f32_f16 v67, v3, v21, v67
	;;#ASMEND
	;; [unrolled: 13-line block ×8, first 2 shown]
	;;#ASMSTART
	v_dot2_f32_f16 v40, v8, v12, v40
	;;#ASMEND
	;;#ASMSTART
	v_dot2_f32_f16 v40, v9, v13, v40
	;;#ASMEND
	;; [unrolled: 3-line block ×32, first 2 shown]
	ds_read_b128 v[0:3], v97 offset:96
	ds_read_b128 v[8:11], v97 offset:4704
	;; [unrolled: 1-line block ×10, first 2 shown]
	s_waitcnt lgkmcnt(7)
	;;#ASMSTART
	v_dot2_f32_f16 v66, v0, v12, v66
	;;#ASMEND
	;;#ASMSTART
	v_dot2_f32_f16 v66, v1, v13, v66
	;;#ASMEND
	;;#ASMSTART
	v_dot2_f32_f16 v66, v2, v14, v66
	;;#ASMEND
	;;#ASMSTART
	v_dot2_f32_f16 v66, v3, v15, v66
	;;#ASMEND
	s_waitcnt lgkmcnt(6)
	;;#ASMSTART
	v_dot2_f32_f16 v67, v0, v18, v67
	;;#ASMEND
	;;#ASMSTART
	v_dot2_f32_f16 v67, v1, v19, v67
	;;#ASMEND
	;;#ASMSTART
	v_dot2_f32_f16 v67, v2, v20, v67
	;;#ASMEND
	;;#ASMSTART
	v_dot2_f32_f16 v67, v3, v21, v67
	;;#ASMEND
	;; [unrolled: 13-line block ×8, first 2 shown]
	;;#ASMSTART
	v_dot2_f32_f16 v40, v8, v12, v40
	;;#ASMEND
	;;#ASMSTART
	v_dot2_f32_f16 v40, v9, v13, v40
	;;#ASMEND
	;; [unrolled: 3-line block ×32, first 2 shown]
	ds_read_b128 v[0:3], v97 offset:112
	ds_read_b128 v[8:11], v97 offset:4720
	ds_read_b128 v[12:15], v98 offset:112
	ds_read_b128 v[18:21], v98 offset:240
	ds_read_b128 v[26:29], v98 offset:368
	ds_read_b128 v[34:37], v98 offset:496
	ds_read_b128 v[126:129], v98 offset:624
	ds_read_b128 v[130:133], v98 offset:752
	ds_read_b128 v[134:137], v98 offset:880
	ds_read_b128 v[138:141], v98 offset:1008
	s_waitcnt lgkmcnt(7)
	;;#ASMSTART
	v_dot2_f32_f16 v66, v0, v12, v66
	;;#ASMEND
	;;#ASMSTART
	v_dot2_f32_f16 v66, v1, v13, v66
	;;#ASMEND
	;;#ASMSTART
	v_dot2_f32_f16 v66, v2, v14, v66
	;;#ASMEND
	;;#ASMSTART
	v_dot2_f32_f16 v66, v3, v15, v66
	;;#ASMEND
	s_waitcnt lgkmcnt(6)
	;;#ASMSTART
	v_dot2_f32_f16 v67, v0, v18, v67
	;;#ASMEND
	;;#ASMSTART
	v_dot2_f32_f16 v67, v1, v19, v67
	;;#ASMEND
	;;#ASMSTART
	v_dot2_f32_f16 v67, v2, v20, v67
	;;#ASMEND
	;;#ASMSTART
	v_dot2_f32_f16 v67, v3, v21, v67
	;;#ASMEND
	;; [unrolled: 13-line block ×8, first 2 shown]
	;;#ASMSTART
	v_dot2_f32_f16 v40, v8, v12, v40
	;;#ASMEND
	;;#ASMSTART
	v_dot2_f32_f16 v40, v9, v13, v40
	;;#ASMEND
	;; [unrolled: 3-line block ×29, first 2 shown]
	v_cndmask_b32_e32 v0, v88, v93, vcc
	v_cmp_lt_i32_e32 vcc, v94, v89
	;;#ASMSTART
	v_dot2_f32_f16 v71, v9, v139, v71
	;;#ASMEND
	v_lshlrev_b32_e32 v9, 2, v0
	v_cndmask_b32_e32 v0, v88, v94, vcc
	v_cmp_lt_i32_e32 vcc, v92, v89
	v_lshlrev_b32_e32 v20, 2, v0
	v_cndmask_b32_e32 v0, v88, v92, vcc
	v_cmp_lt_i32_e32 vcc, v91, v89
	;; [unrolled: 3-line block ×3, first 2 shown]
	v_add_u32_e32 v14, s15, v85
	v_lshlrev_b32_e32 v22, 2, v0
	v_cndmask_b32_e32 v0, v88, v90, vcc
	v_lshlrev_b32_e32 v23, 2, v0
	v_add_u32_e32 v0, v14, v99
	v_ashrrev_i32_e32 v1, 31, v0
	v_lshlrev_b64 v[0:1], 1, v[0:1]
	v_add_u32_e32 v2, v14, v100
	v_add_co_u32_e32 v0, vcc, s34, v0
	v_ashrrev_i32_e32 v3, 31, v2
	;;#ASMSTART
	v_dot2_f32_f16 v71, v10, v140, v71
	;;#ASMEND
	v_addc_co_u32_e32 v1, vcc, v107, v1, vcc
	v_lshlrev_b64 v[2:3], 1, v[2:3]
	v_add_u32_e32 v10, v14, v101
	;;#ASMSTART
	v_dot2_f32_f16 v71, v11, v141, v71
	;;#ASMEND
	v_add_co_u32_e32 v2, vcc, s34, v2
	v_ashrrev_i32_e32 v11, 31, v10
	v_addc_co_u32_e32 v3, vcc, v107, v3, vcc
	v_lshlrev_b64 v[10:11], 1, v[10:11]
	v_add_co_u32_e32 v12, vcc, s34, v10
	v_addc_co_u32_e32 v13, vcc, v107, v11, vcc
	flat_load_ushort v34, v[0:1]
	s_nop 0
	flat_load_ushort v0, v[0:1] offset:64
	s_nop 0
	flat_load_ushort v1, v[2:3]
	flat_load_ushort v8, v[2:3] offset:64
	v_mov_b32_e32 v28, v6
	flat_load_ushort v3, v[12:13]
	v_mov_b32_e32 v29, v7
	s_waitcnt vmcnt(0) lgkmcnt(0)
	v_cvt_f32_f16_e32 v0, v0
	v_cvt_f32_f16_e32 v2, v8
	;; [unrolled: 1-line block ×3, first 2 shown]
	flat_load_ushort v3, v[12:13] offset:64
	v_add_u32_e32 v12, v14, v102
	v_ashrrev_i32_e32 v13, 31, v12
	v_lshlrev_b64 v[12:13], 1, v[12:13]
	v_add_co_u32_e32 v12, vcc, s34, v12
	v_addc_co_u32_e32 v13, vcc, v107, v13, vcc
	s_waitcnt vmcnt(0) lgkmcnt(0)
	v_cvt_f32_f16_e32 v8, v3
	flat_load_ushort v3, v[12:13]
	flat_load_ushort v11, v[12:13] offset:64
	s_waitcnt lgkmcnt(0)
	s_barrier
	v_pk_add_f32 v[24:25], v[24:25], v[8:9] op_sel_hi:[1,0]
	s_waitcnt vmcnt(0)
	v_cvt_f32_f16_e32 v12, v3
	v_cvt_f32_f16_e32 v13, v11
	v_add_f32_e32 v14, v125, v12
	v_add_f32_e32 v16, v16, v13
	v_pk_add_f32 v[12:13], v[70:71], v[12:13]
	v_mov_b32_e32 v15, v12
	v_mov_b32_e32 v17, v13
	v_pk_add_f32 v[18:19], v[14:15], s[6:7] op_sel_hi:[1,0]
	v_pk_add_f32 v[26:27], v[16:17], s[6:7] op_sel_hi:[1,0]
	v_max3_f32 v3, v7, v19, v27
	v_max3_f32 v6, v6, v18, v26
	ds_bpermute_b32 v11, v9, v3
	ds_bpermute_b32 v7, v9, v6
	s_waitcnt lgkmcnt(1)
	v_max_f32_e32 v11, v11, v11
	v_max_f32_e32 v3, v3, v11
	s_waitcnt lgkmcnt(0)
	v_max_f32_e32 v7, v7, v7
	v_max_f32_e32 v6, v6, v7
	ds_bpermute_b32 v11, v20, v3
	ds_bpermute_b32 v7, v20, v6
	s_waitcnt lgkmcnt(1)
	v_max_f32_e32 v11, v11, v11
	v_max_f32_e32 v3, v3, v11
	s_waitcnt lgkmcnt(0)
	v_max_f32_e32 v7, v7, v7
	v_max_f32_e32 v6, v6, v7
	;; [unrolled: 8-line block ×5, first 2 shown]
	v_sub_f32_e32 v3, v14, v6
	v_mul_f32_e32 v11, 0x3fb8aa3b, v3
	v_fma_f32 v14, v3, s18, -v11
	v_rndne_f32_e32 v15, v11
	v_fmac_f32_e32 v14, 0x32a5705f, v3
	v_sub_f32_e32 v11, v11, v15
	v_add_f32_e32 v11, v11, v14
	v_exp_f32_e32 v11, v11
	v_cvt_i32_f32_e32 v14, v15
	v_cmp_ngt_f32_e32 vcc, s19, v3
	v_ldexp_f32 v11, v11, v14
	v_cndmask_b32_e32 v11, 0, v11, vcc
	v_cmp_nlt_f32_e32 vcc, s24, v3
	v_sub_f32_e32 v3, v16, v6
	v_cndmask_b32_e32 v18, v108, v11, vcc
	v_mul_f32_e32 v11, 0x3fb8aa3b, v3
	v_fma_f32 v14, v3, s18, -v11
	v_rndne_f32_e32 v15, v11
	v_fmac_f32_e32 v14, 0x32a5705f, v3
	v_sub_f32_e32 v11, v11, v15
	v_add_f32_e32 v11, v11, v14
	v_exp_f32_e32 v11, v11
	v_cvt_i32_f32_e32 v14, v15
	v_cmp_ngt_f32_e32 vcc, s19, v3
	v_cvt_f16_f32_e32 v26, v18
	v_ldexp_f32 v11, v11, v14
	v_pk_add_f32 v[14:15], v[28:29], v[6:7] neg_lo:[0,1] neg_hi:[0,1]
	v_cndmask_b32_e32 v11, 0, v11, vcc
	v_cmp_nlt_f32_e32 vcc, s24, v3
	v_mul_f32_e32 v3, 0x3fb8aa3b, v15
	v_cndmask_b32_e32 v16, v108, v11, vcc
	v_fma_f32 v11, v15, s18, -v3
	v_rndne_f32_e32 v17, v3
	v_fmac_f32_e32 v11, 0x32a5705f, v15
	v_sub_f32_e32 v3, v3, v17
	v_add_f32_e32 v3, v3, v11
	v_exp_f32_e32 v3, v3
	v_cvt_i32_f32_e32 v11, v17
	v_cmp_ngt_f32_e32 vcc, s19, v15
	v_mov_b32_e32 v28, v7
	v_pk_add_f32 v[12:13], v[12:13], v[28:29] op_sel_hi:[1,0] neg_lo:[0,1] neg_hi:[0,1]
	v_ldexp_f32 v3, v3, v11
	v_cndmask_b32_e32 v3, 0, v3, vcc
	v_cmp_nlt_f32_e32 vcc, s24, v15
	v_cndmask_b32_e32 v31, v108, v3, vcc
	v_mul_f32_e32 v3, 0x3fb8aa3b, v14
	v_fma_f32 v11, v14, s18, -v3
	v_rndne_f32_e32 v15, v3
	v_fmac_f32_e32 v11, 0x32a5705f, v14
	v_sub_f32_e32 v3, v3, v15
	v_add_f32_e32 v3, v3, v11
	v_exp_f32_e32 v3, v3
	v_cvt_i32_f32_e32 v11, v15
	v_cmp_ngt_f32_e32 vcc, s19, v14
	v_cvt_f16_f32_e32 v27, v16
	v_ldexp_f32 v3, v3, v11
	v_cndmask_b32_e32 v3, 0, v3, vcc
	v_cmp_nlt_f32_e32 vcc, s24, v14
	v_cndmask_b32_e32 v30, v108, v3, vcc
	v_cvt_f16_f32_e32 v3, v30
	v_cmp_ngt_f32_e32 vcc, s19, v13
	v_pk_mul_f16 v14, v3, v121 op_sel_hi:[0,1]
	v_mul_f32_e32 v3, 0x3fb8aa3b, v13
	v_fma_f32 v11, v13, s18, -v3
	v_rndne_f32_e32 v15, v3
	v_fmac_f32_e32 v11, 0x32a5705f, v13
	v_sub_f32_e32 v3, v3, v15
	v_add_f32_e32 v3, v3, v11
	v_exp_f32_e32 v3, v3
	v_cvt_i32_f32_e32 v11, v15
	v_ldexp_f32 v3, v3, v11
	v_cndmask_b32_e32 v3, 0, v3, vcc
	v_cmp_nlt_f32_e32 vcc, s24, v13
	v_cndmask_b32_e32 v17, v108, v3, vcc
	v_mul_f32_e32 v3, 0x3fb8aa3b, v12
	v_fma_f32 v11, v12, s18, -v3
	v_rndne_f32_e32 v13, v3
	v_fmac_f32_e32 v11, 0x32a5705f, v12
	v_sub_f32_e32 v3, v3, v13
	v_add_f32_e32 v3, v3, v11
	v_exp_f32_e32 v3, v3
	v_cvt_i32_f32_e32 v11, v13
	v_cmp_ngt_f32_e32 vcc, s19, v12
	v_cvt_f16_f32_e32 v28, v17
	v_ldexp_f32 v3, v3, v11
	v_cndmask_b32_e32 v3, 0, v3, vcc
	v_cmp_nlt_f32_e32 vcc, s24, v12
	v_cndmask_b32_e32 v19, v108, v3, vcc
	v_pk_add_f32 v[12:13], v[18:19], v[16:17]
	v_pk_fma_f32 v[44:45], v[44:45], v[30:31], v[12:13]
	v_cvt_f16_f32_e32 v3, v31
	v_cvt_f32_f16_e32 v12, v1
	v_cvt_f32_f16_e32 v16, v34
	v_cvt_f16_f32_e32 v29, v19
	v_pk_add_f32 v[32:33], v[32:33], v[2:3] op_sel_hi:[1,0]
	v_pk_add_f32 v[12:13], v[68:69], v[12:13] op_sel_hi:[1,0]
	v_pk_mul_f16 v15, v3, v119 op_sel_hi:[0,1]
	v_pk_add_f32 v[16:17], v[66:67], v[16:17] op_sel_hi:[1,0]
	v_pk_add_f32 v[18:19], v[12:13], s[6:7] op_sel_hi:[1,0]
	;; [unrolled: 1-line block ×6, first 2 shown]
	v_max3_f32 v2, v60, v18, v2
	v_max3_f32 v3, v61, v19, v3
	v_max3_f32 v1, v63, v31, v1
	v_max3_f32 v0, v62, v30, v0
	ds_bpermute_b32 v19, v9, v2
	ds_bpermute_b32 v11, v9, v0
	;; [unrolled: 1-line block ×4, first 2 shown]
	v_pk_add_f32 v[40:41], v[24:25], s[6:7] op_sel_hi:[1,0]
	s_waitcnt lgkmcnt(3)
	v_max_f32_e32 v19, v19, v19
	v_max_f32_e32 v2, v2, v19
	s_waitcnt lgkmcnt(1)
	v_max_f32_e32 v18, v18, v18
	v_max_f32_e32 v11, v11, v11
	v_max_f32_e32 v1, v1, v18
	v_max_f32_e32 v0, v0, v11
	ds_bpermute_b32 v19, v20, v2
	s_waitcnt lgkmcnt(1)
	v_max_f32_e32 v30, v30, v30
	ds_bpermute_b32 v11, v20, v0
	ds_bpermute_b32 v18, v20, v1
	v_max_f32_e32 v3, v3, v30
	ds_bpermute_b32 v30, v20, v3
	s_waitcnt lgkmcnt(3)
	v_max_f32_e32 v19, v19, v19
	v_max_f32_e32 v2, v2, v19
	s_waitcnt lgkmcnt(1)
	v_max_f32_e32 v18, v18, v18
	v_max_f32_e32 v11, v11, v11
	v_max_f32_e32 v1, v1, v18
	v_max_f32_e32 v0, v0, v11
	ds_bpermute_b32 v19, v21, v2
	s_waitcnt lgkmcnt(1)
	v_max_f32_e32 v30, v30, v30
	ds_bpermute_b32 v11, v21, v0
	ds_bpermute_b32 v18, v21, v1
	v_max_f32_e32 v3, v3, v30
	ds_bpermute_b32 v30, v21, v3
	;; [unrolled: 15-line block ×4, first 2 shown]
	s_waitcnt lgkmcnt(3)
	v_max_f32_e32 v19, v19, v19
	v_max_f32_e32 v2, v2, v19
	s_waitcnt lgkmcnt(1)
	v_max_f32_e32 v18, v18, v18
	v_max_f32_e32 v11, v11, v11
	;; [unrolled: 1-line block ×4, first 2 shown]
	v_sub_f32_e32 v12, v12, v2
	s_waitcnt lgkmcnt(0)
	v_max_f32_e32 v19, v30, v30
	v_sub_f32_e32 v11, v16, v0
	v_sub_f32_e32 v16, v17, v1
	v_mul_f32_e32 v17, 0x3fb8aa3b, v12
	v_max_f32_e32 v3, v3, v19
	v_fma_f32 v18, v12, s18, -v17
	v_rndne_f32_e32 v19, v17
	v_fmac_f32_e32 v18, 0x32a5705f, v12
	v_sub_f32_e32 v17, v17, v19
	v_add_f32_e32 v17, v17, v18
	v_exp_f32_e32 v17, v17
	v_cvt_i32_f32_e32 v18, v19
	v_cmp_ngt_f32_e32 vcc, s19, v12
	v_sub_f32_e32 v13, v13, v3
	v_sub_f32_e32 v36, v33, v3
	v_ldexp_f32 v17, v17, v18
	v_cndmask_b32_e32 v17, 0, v17, vcc
	v_cmp_nlt_f32_e32 vcc, s24, v12
	v_cndmask_b32_e32 v12, v108, v17, vcc
	v_mul_f32_e32 v17, 0x3fb8aa3b, v13
	v_fma_f32 v18, v13, s18, -v17
	v_rndne_f32_e32 v19, v17
	v_fmac_f32_e32 v18, 0x32a5705f, v13
	v_sub_f32_e32 v17, v17, v19
	v_add_f32_e32 v17, v17, v18
	v_exp_f32_e32 v17, v17
	v_cvt_i32_f32_e32 v18, v19
	v_cmp_ngt_f32_e32 vcc, s19, v13
	v_pk_add_f32 v[38:39], v[60:61], v[2:3] neg_lo:[0,1] neg_hi:[0,1]
	v_ldexp_f32 v17, v17, v18
	v_cndmask_b32_e32 v17, 0, v17, vcc
	v_cmp_nlt_f32_e32 vcc, s24, v13
	v_cndmask_b32_e32 v13, v108, v17, vcc
	v_mul_f32_e32 v17, 0x3fb8aa3b, v16
	v_fma_f32 v18, v16, s18, -v17
	v_rndne_f32_e32 v19, v17
	v_fmac_f32_e32 v18, 0x32a5705f, v16
	v_sub_f32_e32 v17, v17, v19
	v_add_f32_e32 v17, v17, v18
	v_exp_f32_e32 v17, v17
	v_cvt_i32_f32_e32 v18, v19
	v_cmp_ngt_f32_e32 vcc, s19, v16
	v_ldexp_f32 v17, v17, v18
	v_cndmask_b32_e32 v17, 0, v17, vcc
	v_cmp_nlt_f32_e32 vcc, s24, v16
	v_mul_f32_e32 v16, 0x3fb8aa3b, v11
	v_cndmask_b32_e32 v19, v108, v17, vcc
	v_fma_f32 v17, v11, s18, -v16
	v_rndne_f32_e32 v18, v16
	v_fmac_f32_e32 v17, 0x32a5705f, v11
	v_sub_f32_e32 v16, v16, v18
	v_add_f32_e32 v16, v16, v17
	v_exp_f32_e32 v16, v16
	v_cvt_i32_f32_e32 v17, v18
	v_cmp_ngt_f32_e32 vcc, s19, v11
	v_ldexp_f32 v16, v16, v17
	v_sub_f32_e32 v17, v35, v1
	v_mul_f32_e32 v30, 0x3fb8aa3b, v17
	v_cndmask_b32_e32 v16, 0, v16, vcc
	v_cmp_nlt_f32_e32 vcc, s24, v11
	v_sub_f32_e32 v11, v32, v2
	v_fma_f32 v31, v17, s18, -v30
	v_rndne_f32_e32 v32, v30
	v_fmac_f32_e32 v31, 0x32a5705f, v17
	v_sub_f32_e32 v30, v30, v32
	v_add_f32_e32 v30, v30, v31
	v_exp_f32_e32 v30, v30
	v_cvt_i32_f32_e32 v31, v32
	v_cndmask_b32_e32 v18, v108, v16, vcc
	v_cmp_ngt_f32_e32 vcc, s19, v17
	v_sub_f32_e32 v16, v34, v0
	v_ldexp_f32 v30, v30, v31
	v_cndmask_b32_e32 v30, 0, v30, vcc
	v_cmp_nlt_f32_e32 vcc, s24, v17
	v_cndmask_b32_e32 v17, v108, v30, vcc
	v_mul_f32_e32 v30, 0x3fb8aa3b, v16
	v_fma_f32 v31, v16, s18, -v30
	v_rndne_f32_e32 v32, v30
	v_fmac_f32_e32 v31, 0x32a5705f, v16
	v_sub_f32_e32 v30, v30, v32
	v_add_f32_e32 v30, v30, v31
	v_exp_f32_e32 v30, v30
	v_cvt_i32_f32_e32 v31, v32
	v_cmp_ngt_f32_e32 vcc, s19, v16
	v_pk_add_f32 v[32:33], v[62:63], v[0:1] neg_lo:[0,1] neg_hi:[0,1]
	v_ldexp_f32 v30, v30, v31
	v_cndmask_b32_e32 v30, 0, v30, vcc
	v_cmp_nlt_f32_e32 vcc, s24, v16
	v_cndmask_b32_e32 v16, v108, v30, vcc
	v_cvt_f16_f32_e32 v30, v16
	v_pk_add_f32 v[34:35], v[18:19], v[16:17]
	v_mul_f32_e32 v16, 0x3fb8aa3b, v33
	v_fma_f32 v31, v33, s18, -v16
	v_rndne_f32_e32 v37, v16
	v_fmac_f32_e32 v31, 0x32a5705f, v33
	v_sub_f32_e32 v16, v16, v37
	v_add_f32_e32 v16, v16, v31
	v_exp_f32_e32 v16, v16
	v_cvt_i32_f32_e32 v31, v37
	v_cmp_ngt_f32_e32 vcc, s19, v33
	v_ldexp_f32 v16, v16, v31
	v_cndmask_b32_e32 v16, 0, v16, vcc
	v_cmp_nlt_f32_e32 vcc, s24, v33
	v_cndmask_b32_e32 v33, v108, v16, vcc
	v_mul_f32_e32 v16, 0x3fb8aa3b, v32
	v_fma_f32 v31, v32, s18, -v16
	v_rndne_f32_e32 v37, v16
	v_fmac_f32_e32 v31, 0x32a5705f, v32
	v_sub_f32_e32 v16, v16, v37
	v_add_f32_e32 v16, v16, v31
	v_exp_f32_e32 v16, v16
	v_cvt_i32_f32_e32 v31, v37
	v_cmp_ngt_f32_e32 vcc, s19, v32
	v_ldexp_f32 v16, v16, v31
	v_cndmask_b32_e32 v16, 0, v16, vcc
	v_cmp_nlt_f32_e32 vcc, s24, v32
	v_cndmask_b32_e32 v32, v108, v16, vcc
	v_pk_fma_f32 v[50:51], v[50:51], v[32:33], v[34:35]
	v_cvt_f16_f32_e32 v31, v17
	v_cvt_f16_f32_e32 v17, v33
	;; [unrolled: 1-line block ×3, first 2 shown]
	v_mul_f32_e32 v18, 0x3fb8aa3b, v36
	v_cvt_f16_f32_e32 v16, v32
	v_cvt_f16_f32_e32 v32, v19
	v_fma_f32 v19, v36, s18, -v18
	v_rndne_f32_e32 v37, v18
	v_fmac_f32_e32 v19, 0x32a5705f, v36
	v_sub_f32_e32 v18, v18, v37
	v_add_f32_e32 v18, v18, v19
	v_exp_f32_e32 v18, v18
	v_cvt_i32_f32_e32 v19, v37
	v_cmp_ngt_f32_e32 vcc, s19, v36
	v_cvt_f16_f32_e32 v34, v13
	v_cvt_f16_f32_e32 v35, v12
	v_ldexp_f32 v18, v18, v19
	v_cndmask_b32_e32 v18, 0, v18, vcc
	v_cmp_nlt_f32_e32 vcc, s24, v36
	v_cndmask_b32_e32 v19, v108, v18, vcc
	v_mul_f32_e32 v18, 0x3fb8aa3b, v11
	v_fma_f32 v36, v11, s18, -v18
	v_rndne_f32_e32 v37, v18
	v_fmac_f32_e32 v36, 0x32a5705f, v11
	v_sub_f32_e32 v18, v18, v37
	v_add_f32_e32 v18, v18, v36
	v_exp_f32_e32 v18, v18
	v_cvt_i32_f32_e32 v36, v37
	v_cmp_ngt_f32_e32 vcc, s19, v11
	v_pk_mul_f16 v16, v16, v124 op_sel_hi:[0,1]
	v_pk_mul_f16 v17, v17, v123 op_sel_hi:[0,1]
	v_ldexp_f32 v18, v18, v36
	v_cndmask_b32_e32 v18, 0, v18, vcc
	v_cmp_nlt_f32_e32 vcc, s24, v11
	v_cndmask_b32_e32 v18, v108, v18, vcc
	v_mul_f32_e32 v11, 0x3fb8aa3b, v39
	v_cvt_f16_f32_e32 v36, v18
	v_pk_add_f32 v[12:13], v[12:13], v[18:19]
	v_fma_f32 v18, v39, s18, -v11
	v_rndne_f32_e32 v37, v11
	v_fmac_f32_e32 v18, 0x32a5705f, v39
	v_sub_f32_e32 v11, v11, v37
	v_add_f32_e32 v11, v11, v18
	v_exp_f32_e32 v11, v11
	v_cvt_i32_f32_e32 v18, v37
	v_cmp_ngt_f32_e32 vcc, s19, v39
	v_ldexp_f32 v11, v11, v18
	v_cndmask_b32_e32 v11, 0, v11, vcc
	v_cmp_nlt_f32_e32 vcc, s24, v39
	v_cndmask_b32_e32 v39, v108, v11, vcc
	v_mul_f32_e32 v11, 0x3fb8aa3b, v38
	v_fma_f32 v18, v38, s18, -v11
	v_rndne_f32_e32 v37, v11
	v_fmac_f32_e32 v18, 0x32a5705f, v38
	v_sub_f32_e32 v11, v11, v37
	v_add_f32_e32 v11, v11, v18
	v_exp_f32_e32 v11, v11
	v_cvt_i32_f32_e32 v18, v37
	v_cmp_ngt_f32_e32 vcc, s19, v38
	v_cvt_f16_f32_e32 v37, v19
	v_ldexp_f32 v11, v11, v18
	v_cndmask_b32_e32 v11, 0, v11, vcc
	v_cmp_nlt_f32_e32 vcc, s24, v38
	v_cndmask_b32_e32 v38, v108, v11, vcc
	v_cvt_f16_f32_e32 v11, v38
	v_pk_fma_f32 v[48:49], v[48:49], v[38:39], v[12:13]
	v_mov_b32_e32 v38, v4
	v_pk_mul_f16 v18, v11, v122 op_sel_hi:[0,1]
	v_cvt_f16_f32_e32 v11, v39
	v_mov_b32_e32 v39, v5
	v_pk_mul_f16 v19, v11, v120 op_sel_hi:[0,1]
	v_pk_add_f32 v[10:11], v[64:65], v[10:11] op_sel_hi:[1,0]
	v_pk_add_f32 v[12:13], v[10:11], s[6:7] op_sel_hi:[1,0]
	v_max3_f32 v5, v5, v13, v41
	v_max3_f32 v4, v4, v12, v40
	ds_bpermute_b32 v8, v9, v4
	ds_bpermute_b32 v9, v9, v5
	s_waitcnt lgkmcnt(1)
	v_max_f32_e32 v8, v8, v8
	s_waitcnt lgkmcnt(0)
	v_max_f32_e32 v9, v9, v9
	v_max_f32_e32 v5, v5, v9
	v_max_f32_e32 v4, v4, v8
	ds_bpermute_b32 v8, v20, v4
	ds_bpermute_b32 v9, v20, v5
	s_waitcnt lgkmcnt(1)
	v_max_f32_e32 v8, v8, v8
	s_waitcnt lgkmcnt(0)
	v_max_f32_e32 v9, v9, v9
	v_max_f32_e32 v5, v5, v9
	v_max_f32_e32 v4, v4, v8
	;; [unrolled: 8-line block ×5, first 2 shown]
	v_pk_add_f32 v[8:9], v[10:11], v[4:5] neg_lo:[0,1] neg_hi:[0,1]
	v_mul_f32_e32 v10, 0x3fb8aa3b, v9
	v_fma_f32 v11, v9, s18, -v10
	v_rndne_f32_e32 v12, v10
	v_fmac_f32_e32 v11, 0x32a5705f, v9
	v_sub_f32_e32 v10, v10, v12
	v_add_f32_e32 v10, v10, v11
	v_exp_f32_e32 v10, v10
	v_cvt_i32_f32_e32 v11, v12
	v_cmp_ngt_f32_e32 vcc, s19, v9
	v_ldexp_f32 v10, v10, v11
	v_cndmask_b32_e32 v10, 0, v10, vcc
	v_cmp_nlt_f32_e32 vcc, s24, v9
	v_cndmask_b32_e32 v9, v108, v10, vcc
	v_mul_f32_e32 v10, 0x3fb8aa3b, v8
	v_fma_f32 v11, v8, s18, -v10
	v_rndne_f32_e32 v12, v10
	v_fmac_f32_e32 v11, 0x32a5705f, v8
	v_sub_f32_e32 v10, v10, v12
	v_add_f32_e32 v10, v10, v11
	v_exp_f32_e32 v10, v10
	v_cvt_i32_f32_e32 v11, v12
	v_cmp_ngt_f32_e32 vcc, s19, v8
	v_cvt_f16_f32_e32 v22, v9
	v_ldexp_f32 v10, v10, v11
	v_cndmask_b32_e32 v10, 0, v10, vcc
	v_cmp_nlt_f32_e32 vcc, s24, v8
	v_cndmask_b32_e32 v8, v108, v10, vcc
	v_pk_add_f32 v[10:11], v[24:25], v[4:5] neg_lo:[0,1] neg_hi:[0,1]
	v_mul_f32_e32 v12, 0x3fb8aa3b, v11
	v_fma_f32 v13, v11, s18, -v12
	v_rndne_f32_e32 v20, v12
	v_fmac_f32_e32 v13, 0x32a5705f, v11
	v_sub_f32_e32 v12, v12, v20
	v_add_f32_e32 v12, v12, v13
	v_exp_f32_e32 v12, v12
	v_cvt_i32_f32_e32 v13, v20
	v_cmp_ngt_f32_e32 vcc, s19, v11
	v_cvt_f16_f32_e32 v23, v8
	v_ldexp_f32 v12, v12, v13
	v_cndmask_b32_e32 v12, 0, v12, vcc
	v_cmp_nlt_f32_e32 vcc, s24, v11
	v_cndmask_b32_e32 v11, v108, v12, vcc
	v_mul_f32_e32 v12, 0x3fb8aa3b, v10
	v_fma_f32 v13, v10, s18, -v12
	v_rndne_f32_e32 v20, v12
	v_fmac_f32_e32 v13, 0x32a5705f, v10
	v_sub_f32_e32 v12, v12, v20
	v_add_f32_e32 v12, v12, v13
	v_exp_f32_e32 v12, v12
	v_cvt_i32_f32_e32 v13, v20
	v_cmp_ngt_f32_e32 vcc, s19, v10
	v_ldexp_f32 v12, v12, v13
	v_cndmask_b32_e32 v12, 0, v12, vcc
	v_cmp_nlt_f32_e32 vcc, s24, v10
	v_cndmask_b32_e32 v10, v108, v12, vcc
	v_pk_add_f32 v[12:13], v[38:39], v[4:5] neg_lo:[0,1] neg_hi:[0,1]
	v_mul_f32_e32 v20, 0x3fb8aa3b, v13
	v_fma_f32 v21, v13, s18, -v20
	v_rndne_f32_e32 v25, v20
	v_fmac_f32_e32 v21, 0x32a5705f, v13
	v_sub_f32_e32 v20, v20, v25
	v_add_f32_e32 v20, v20, v21
	v_exp_f32_e32 v20, v20
	v_cvt_i32_f32_e32 v21, v25
	v_cmp_ngt_f32_e32 vcc, s19, v13
	v_pk_add_f32 v[8:9], v[8:9], v[10:11]
	v_cvt_f16_f32_e32 v24, v10
	v_ldexp_f32 v20, v20, v21
	v_cndmask_b32_e32 v20, 0, v20, vcc
	v_cmp_nlt_f32_e32 vcc, s24, v13
	v_mul_f32_e32 v13, 0x3fb8aa3b, v12
	v_cndmask_b32_e32 v21, v108, v20, vcc
	v_fma_f32 v20, v12, s18, -v13
	v_rndne_f32_e32 v25, v13
	v_fmac_f32_e32 v20, 0x32a5705f, v12
	v_sub_f32_e32 v13, v13, v25
	v_add_f32_e32 v13, v13, v20
	v_exp_f32_e32 v13, v13
	v_cvt_i32_f32_e32 v20, v25
	v_cmp_ngt_f32_e32 vcc, s19, v12
	v_cvt_f16_f32_e32 v25, v11
	v_pack_b32_f16 v10, v23, v22
	v_ldexp_f32 v13, v13, v20
	v_cndmask_b32_e32 v13, 0, v13, vcc
	v_cmp_nlt_f32_e32 vcc, s24, v12
	v_cndmask_b32_e32 v20, v108, v13, vcc
	v_pk_fma_f32 v[46:47], v[46:47], v[20:21], v[8:9]
	v_cvt_f16_f32_e32 v8, v21
	v_pack_b32_f16 v11, v26, v29
	v_pack_b32_f16 v9, v35, v34
	v_cvt_f16_f32_e32 v12, v20
	v_pk_mul_f16 v13, v8, v117 op_sel_hi:[0,1]
	v_pack_b32_f16 v8, v33, v32
	ds_write_b128 v109, v[8:11]
	v_pack_b32_f16 v10, v24, v25
	v_pack_b32_f16 v11, v27, v28
	;; [unrolled: 1-line block ×4, first 2 shown]
	ds_write_b128 v109, v[8:11] offset:512
	v_add_co_u32_e32 v8, vcc, s25, v56
	v_mov_b32_e32 v9, s26
	v_addc_co_u32_e32 v9, vcc, v9, v57, vcc
	v_add_co_u32_e32 v8, vcc, v8, v106
	v_addc_co_u32_e32 v9, vcc, 0, v9, vcc
	global_load_dwordx4 v[8:11], v[8:9], off
	v_pk_mul_f16 v12, v12, v118 op_sel_hi:[0,1]
	s_waitcnt vmcnt(0)
	ds_write_b128 v104, v[8:11]
	v_add_co_u32_e32 v8, vcc, s25, v58
	v_mov_b32_e32 v9, s26
	v_addc_co_u32_e32 v9, vcc, v9, v59, vcc
	v_add_co_u32_e32 v8, vcc, v8, v106
	v_addc_co_u32_e32 v9, vcc, 0, v9, vcc
	global_load_dwordx4 v[8:11], v[8:9], off
	s_waitcnt vmcnt(0)
	ds_write_b128 v105, v[8:11]
	s_waitcnt lgkmcnt(0)
	s_barrier
	ds_read2_b32 v[32:33], v87 offset1:32
	ds_read_b128 v[8:11], v103
	ds_read_b128 v[20:23], v103 offset:16
	ds_read_b128 v[24:27], v103 offset:32
	;; [unrolled: 1-line block ×3, first 2 shown]
	s_waitcnt lgkmcnt(3)
	v_pk_fma_f16 v16, v32, v8, v16 op_sel_hi:[1,0,1]
	v_pk_fma_f16 v8, v32, v8, v17 op_sel:[0,1,0]
	v_pk_fma_f16 v17, v32, v9, v18 op_sel_hi:[1,0,1]
	v_pk_fma_f16 v9, v32, v9, v19 op_sel:[0,1,0]
	;; [unrolled: 2-line block ×4, first 2 shown]
	s_waitcnt lgkmcnt(2)
	v_pk_fma_f16 v14, v33, v20, v16 op_sel_hi:[1,0,1]
	v_pk_fma_f16 v15, v33, v20, v8 op_sel:[0,1,0]
	v_pk_fma_f16 v16, v33, v21, v17 op_sel_hi:[1,0,1]
	v_pk_fma_f16 v17, v33, v21, v9 op_sel:[0,1,0]
	ds_read2_b32 v[8:9], v87 offset0:64 offset1:96
	v_pk_fma_f16 v12, v33, v22, v12 op_sel_hi:[1,0,1]
	v_pk_fma_f16 v10, v33, v22, v10 op_sel:[0,1,0]
	v_pk_fma_f16 v13, v33, v23, v13 op_sel_hi:[1,0,1]
	v_pk_fma_f16 v11, v33, v23, v11 op_sel:[0,1,0]
	s_waitcnt lgkmcnt(0)
	v_pk_fma_f16 v14, v8, v24, v14 op_sel_hi:[1,0,1]
	v_pk_fma_f16 v15, v8, v24, v15 op_sel:[0,1,0]
	v_pk_fma_f16 v16, v8, v25, v16 op_sel_hi:[1,0,1]
	v_pk_fma_f16 v17, v8, v25, v17 op_sel:[0,1,0]
	;; [unrolled: 2-line block ×8, first 2 shown]
	ds_read2_b32 v[12:13], v87 offset0:128 offset1:160
	ds_read_b128 v[8:11], v103 offset:64
	s_waitcnt lgkmcnt(0)
	v_pk_fma_f16 v14, v12, v8, v14 op_sel_hi:[1,0,1]
	v_pk_fma_f16 v15, v12, v8, v15 op_sel:[0,1,0]
	v_pk_fma_f16 v16, v12, v9, v16 op_sel_hi:[1,0,1]
	v_pk_fma_f16 v17, v12, v9, v17 op_sel:[0,1,0]
	;; [unrolled: 2-line block ×4, first 2 shown]
	ds_read_b128 v[8:11], v103 offset:80
	s_waitcnt lgkmcnt(0)
	v_pk_fma_f16 v14, v13, v8, v14 op_sel_hi:[1,0,1]
	v_pk_fma_f16 v15, v13, v8, v15 op_sel:[0,1,0]
	v_pk_fma_f16 v16, v13, v9, v16 op_sel_hi:[1,0,1]
	v_pk_fma_f16 v17, v13, v9, v17 op_sel:[0,1,0]
	v_pk_fma_f16 v18, v13, v10, v18 op_sel_hi:[1,0,1]
	v_pk_fma_f16 v19, v13, v10, v19 op_sel:[0,1,0]
	v_pk_fma_f16 v20, v13, v11, v20 op_sel_hi:[1,0,1]
	v_pk_fma_f16 v21, v13, v11, v12 op_sel:[0,1,0]
	ds_read2_b32 v[12:13], v87 offset0:192 offset1:224
	ds_read_b128 v[8:11], v103 offset:96
	s_waitcnt lgkmcnt(0)
	v_pk_fma_f16 v14, v12, v8, v14 op_sel_hi:[1,0,1]
	v_pk_fma_f16 v15, v12, v8, v15 op_sel:[0,1,0]
	v_pk_fma_f16 v16, v12, v9, v16 op_sel_hi:[1,0,1]
	v_pk_fma_f16 v17, v12, v9, v17 op_sel:[0,1,0]
	;; [unrolled: 2-line block ×4, first 2 shown]
	ds_read_b128 v[8:11], v103 offset:112
	s_waitcnt lgkmcnt(0)
	v_pk_fma_f16 v14, v13, v8, v14 op_sel_hi:[1,0,1]
	v_pk_fma_f16 v15, v13, v8, v15 op_sel:[0,1,0]
	v_pk_fma_f16 v16, v13, v9, v16 op_sel_hi:[1,0,1]
	v_pk_fma_f16 v17, v13, v9, v17 op_sel:[0,1,0]
	;; [unrolled: 2-line block ×4, first 2 shown]
	ds_read2_b32 v[12:13], v110 offset1:32
	ds_read_b128 v[8:11], v103 offset:128
	s_waitcnt lgkmcnt(0)
	v_pk_fma_f16 v14, v12, v8, v14 op_sel_hi:[1,0,1]
	v_pk_fma_f16 v15, v12, v8, v15 op_sel:[0,1,0]
	v_pk_fma_f16 v16, v12, v9, v16 op_sel_hi:[1,0,1]
	v_pk_fma_f16 v17, v12, v9, v17 op_sel:[0,1,0]
	v_pk_fma_f16 v18, v12, v10, v18 op_sel_hi:[1,0,1]
	v_pk_fma_f16 v19, v12, v10, v19 op_sel:[0,1,0]
	v_pk_fma_f16 v20, v12, v11, v20 op_sel_hi:[1,0,1]
	v_pk_fma_f16 v12, v12, v11, v21 op_sel:[0,1,0]
	ds_read_b128 v[8:11], v103 offset:144
	s_waitcnt lgkmcnt(0)
	v_pk_fma_f16 v14, v13, v8, v14 op_sel_hi:[1,0,1]
	v_pk_fma_f16 v15, v13, v8, v15 op_sel:[0,1,0]
	v_pk_fma_f16 v16, v13, v9, v16 op_sel_hi:[1,0,1]
	v_pk_fma_f16 v17, v13, v9, v17 op_sel:[0,1,0]
	v_pk_fma_f16 v18, v13, v10, v18 op_sel_hi:[1,0,1]
	v_pk_fma_f16 v19, v13, v10, v19 op_sel:[0,1,0]
	v_pk_fma_f16 v20, v13, v11, v20 op_sel_hi:[1,0,1]
	v_pk_fma_f16 v21, v13, v11, v12 op_sel:[0,1,0]
	ds_read2_b32 v[12:13], v110 offset0:64 offset1:96
	ds_read_b128 v[8:11], v103 offset:160
	s_waitcnt lgkmcnt(0)
	v_pk_fma_f16 v14, v12, v8, v14 op_sel_hi:[1,0,1]
	v_pk_fma_f16 v15, v12, v8, v15 op_sel:[0,1,0]
	v_pk_fma_f16 v16, v12, v9, v16 op_sel_hi:[1,0,1]
	v_pk_fma_f16 v17, v12, v9, v17 op_sel:[0,1,0]
	v_pk_fma_f16 v18, v12, v10, v18 op_sel_hi:[1,0,1]
	v_pk_fma_f16 v19, v12, v10, v19 op_sel:[0,1,0]
	v_pk_fma_f16 v20, v12, v11, v20 op_sel_hi:[1,0,1]
	v_pk_fma_f16 v12, v12, v11, v21 op_sel:[0,1,0]
	ds_read_b128 v[8:11], v103 offset:176
	s_waitcnt lgkmcnt(0)
	v_pk_fma_f16 v14, v13, v8, v14 op_sel_hi:[1,0,1]
	v_pk_fma_f16 v15, v13, v8, v15 op_sel:[0,1,0]
	v_pk_fma_f16 v16, v13, v9, v16 op_sel_hi:[1,0,1]
	v_pk_fma_f16 v17, v13, v9, v17 op_sel:[0,1,0]
	v_pk_fma_f16 v18, v13, v10, v18 op_sel_hi:[1,0,1]
	v_pk_fma_f16 v19, v13, v10, v19 op_sel:[0,1,0]
	v_pk_fma_f16 v20, v13, v11, v20 op_sel_hi:[1,0,1]
	v_pk_fma_f16 v21, v13, v11, v12 op_sel:[0,1,0]
	ds_read2_b32 v[12:13], v110 offset0:128 offset1:160
	;; [unrolled: 21-line block ×3, first 2 shown]
	ds_read_b128 v[8:11], v103 offset:224
	s_waitcnt lgkmcnt(0)
	v_pk_fma_f16 v14, v12, v8, v14 op_sel_hi:[1,0,1]
	v_pk_fma_f16 v15, v12, v8, v15 op_sel:[0,1,0]
	v_pk_fma_f16 v16, v12, v9, v16 op_sel_hi:[1,0,1]
	v_pk_fma_f16 v17, v12, v9, v17 op_sel:[0,1,0]
	;; [unrolled: 2-line block ×4, first 2 shown]
	ds_read_b128 v[8:11], v103 offset:240
	s_waitcnt lgkmcnt(0)
	v_pk_fma_f16 v14, v13, v8, v14 op_sel_hi:[1,0,1]
	v_pk_fma_f16 v15, v13, v8, v15 op_sel:[0,1,0]
	v_pk_fma_f16 v16, v13, v9, v16 op_sel_hi:[1,0,1]
	v_pk_fma_f16 v17, v13, v9, v17 op_sel:[0,1,0]
	;; [unrolled: 2-line block ×4, first 2 shown]
	ds_read2_b32 v[12:13], v111 offset1:32
	ds_read_b128 v[8:11], v103 offset:256
	s_waitcnt lgkmcnt(0)
	v_pk_fma_f16 v14, v12, v8, v14 op_sel_hi:[1,0,1]
	v_pk_fma_f16 v15, v12, v8, v15 op_sel:[0,1,0]
	v_pk_fma_f16 v16, v12, v9, v16 op_sel_hi:[1,0,1]
	v_pk_fma_f16 v17, v12, v9, v17 op_sel:[0,1,0]
	v_pk_fma_f16 v18, v12, v10, v18 op_sel_hi:[1,0,1]
	v_pk_fma_f16 v19, v12, v10, v19 op_sel:[0,1,0]
	v_pk_fma_f16 v20, v12, v11, v20 op_sel_hi:[1,0,1]
	v_pk_fma_f16 v12, v12, v11, v21 op_sel:[0,1,0]
	ds_read_b128 v[8:11], v103 offset:272
	s_waitcnt lgkmcnt(0)
	v_pk_fma_f16 v14, v13, v8, v14 op_sel_hi:[1,0,1]
	v_pk_fma_f16 v15, v13, v8, v15 op_sel:[0,1,0]
	v_pk_fma_f16 v16, v13, v9, v16 op_sel_hi:[1,0,1]
	v_pk_fma_f16 v17, v13, v9, v17 op_sel:[0,1,0]
	v_pk_fma_f16 v18, v13, v10, v18 op_sel_hi:[1,0,1]
	v_pk_fma_f16 v19, v13, v10, v19 op_sel:[0,1,0]
	v_pk_fma_f16 v20, v13, v11, v20 op_sel_hi:[1,0,1]
	v_pk_fma_f16 v21, v13, v11, v12 op_sel:[0,1,0]
	ds_read2_b32 v[12:13], v111 offset0:64 offset1:96
	ds_read_b128 v[8:11], v103 offset:288
	s_waitcnt lgkmcnt(0)
	v_pk_fma_f16 v14, v12, v8, v14 op_sel_hi:[1,0,1]
	v_pk_fma_f16 v15, v12, v8, v15 op_sel:[0,1,0]
	v_pk_fma_f16 v16, v12, v9, v16 op_sel_hi:[1,0,1]
	v_pk_fma_f16 v17, v12, v9, v17 op_sel:[0,1,0]
	v_pk_fma_f16 v18, v12, v10, v18 op_sel_hi:[1,0,1]
	v_pk_fma_f16 v19, v12, v10, v19 op_sel:[0,1,0]
	v_pk_fma_f16 v20, v12, v11, v20 op_sel_hi:[1,0,1]
	v_pk_fma_f16 v12, v12, v11, v21 op_sel:[0,1,0]
	ds_read_b128 v[8:11], v103 offset:304
	s_waitcnt lgkmcnt(0)
	v_pk_fma_f16 v14, v13, v8, v14 op_sel_hi:[1,0,1]
	v_pk_fma_f16 v15, v13, v8, v15 op_sel:[0,1,0]
	v_pk_fma_f16 v16, v13, v9, v16 op_sel_hi:[1,0,1]
	v_pk_fma_f16 v17, v13, v9, v17 op_sel:[0,1,0]
	v_pk_fma_f16 v18, v13, v10, v18 op_sel_hi:[1,0,1]
	v_pk_fma_f16 v19, v13, v10, v19 op_sel:[0,1,0]
	v_pk_fma_f16 v20, v13, v11, v20 op_sel_hi:[1,0,1]
	v_pk_fma_f16 v21, v13, v11, v12 op_sel:[0,1,0]
	ds_read2_b32 v[12:13], v111 offset0:128 offset1:160
	;; [unrolled: 21-line block ×3, first 2 shown]
	ds_read_b128 v[8:11], v103 offset:352
	s_waitcnt lgkmcnt(0)
	v_pk_fma_f16 v14, v12, v8, v14 op_sel_hi:[1,0,1]
	v_pk_fma_f16 v15, v12, v8, v15 op_sel:[0,1,0]
	v_pk_fma_f16 v16, v12, v9, v16 op_sel_hi:[1,0,1]
	v_pk_fma_f16 v17, v12, v9, v17 op_sel:[0,1,0]
	;; [unrolled: 2-line block ×4, first 2 shown]
	ds_read_b128 v[8:11], v103 offset:368
	s_waitcnt lgkmcnt(0)
	v_pk_fma_f16 v14, v13, v8, v14 op_sel_hi:[1,0,1]
	v_pk_fma_f16 v15, v13, v8, v15 op_sel:[0,1,0]
	v_pk_fma_f16 v16, v13, v9, v16 op_sel_hi:[1,0,1]
	v_pk_fma_f16 v17, v13, v9, v17 op_sel:[0,1,0]
	v_pk_fma_f16 v18, v13, v10, v18 op_sel_hi:[1,0,1]
	v_pk_fma_f16 v19, v13, v10, v19 op_sel:[0,1,0]
	v_pk_fma_f16 v20, v13, v11, v20 op_sel_hi:[1,0,1]
	v_pk_fma_f16 v21, v13, v11, v12 op_sel:[0,1,0]
	ds_read2_b32 v[12:13], v112 offset1:32
	ds_read_b128 v[8:11], v103 offset:384
	s_waitcnt lgkmcnt(0)
	v_pk_fma_f16 v14, v12, v8, v14 op_sel_hi:[1,0,1]
	v_pk_fma_f16 v15, v12, v8, v15 op_sel:[0,1,0]
	v_pk_fma_f16 v16, v12, v9, v16 op_sel_hi:[1,0,1]
	v_pk_fma_f16 v17, v12, v9, v17 op_sel:[0,1,0]
	v_pk_fma_f16 v18, v12, v10, v18 op_sel_hi:[1,0,1]
	v_pk_fma_f16 v19, v12, v10, v19 op_sel:[0,1,0]
	v_pk_fma_f16 v20, v12, v11, v20 op_sel_hi:[1,0,1]
	v_pk_fma_f16 v12, v12, v11, v21 op_sel:[0,1,0]
	ds_read_b128 v[8:11], v103 offset:400
	s_waitcnt lgkmcnt(0)
	v_pk_fma_f16 v14, v13, v8, v14 op_sel_hi:[1,0,1]
	v_pk_fma_f16 v15, v13, v8, v15 op_sel:[0,1,0]
	v_pk_fma_f16 v16, v13, v9, v16 op_sel_hi:[1,0,1]
	v_pk_fma_f16 v17, v13, v9, v17 op_sel:[0,1,0]
	v_pk_fma_f16 v18, v13, v10, v18 op_sel_hi:[1,0,1]
	v_pk_fma_f16 v19, v13, v10, v19 op_sel:[0,1,0]
	v_pk_fma_f16 v20, v13, v11, v20 op_sel_hi:[1,0,1]
	v_pk_fma_f16 v21, v13, v11, v12 op_sel:[0,1,0]
	ds_read2_b32 v[12:13], v112 offset0:64 offset1:96
	ds_read_b128 v[8:11], v103 offset:416
	s_waitcnt lgkmcnt(0)
	v_pk_fma_f16 v14, v12, v8, v14 op_sel_hi:[1,0,1]
	v_pk_fma_f16 v15, v12, v8, v15 op_sel:[0,1,0]
	v_pk_fma_f16 v16, v12, v9, v16 op_sel_hi:[1,0,1]
	v_pk_fma_f16 v17, v12, v9, v17 op_sel:[0,1,0]
	v_pk_fma_f16 v18, v12, v10, v18 op_sel_hi:[1,0,1]
	v_pk_fma_f16 v19, v12, v10, v19 op_sel:[0,1,0]
	v_pk_fma_f16 v20, v12, v11, v20 op_sel_hi:[1,0,1]
	v_pk_fma_f16 v12, v12, v11, v21 op_sel:[0,1,0]
	ds_read_b128 v[8:11], v103 offset:432
	s_waitcnt lgkmcnt(0)
	v_pk_fma_f16 v14, v13, v8, v14 op_sel_hi:[1,0,1]
	v_pk_fma_f16 v15, v13, v8, v15 op_sel:[0,1,0]
	v_pk_fma_f16 v16, v13, v9, v16 op_sel_hi:[1,0,1]
	v_pk_fma_f16 v17, v13, v9, v17 op_sel:[0,1,0]
	v_pk_fma_f16 v18, v13, v10, v18 op_sel_hi:[1,0,1]
	v_pk_fma_f16 v19, v13, v10, v19 op_sel:[0,1,0]
	v_pk_fma_f16 v20, v13, v11, v20 op_sel_hi:[1,0,1]
	v_pk_fma_f16 v21, v13, v11, v12 op_sel:[0,1,0]
	ds_read2_b32 v[12:13], v112 offset0:128 offset1:160
	;; [unrolled: 21-line block ×3, first 2 shown]
	ds_read_b128 v[8:11], v103 offset:480
	s_waitcnt lgkmcnt(0)
	v_pk_fma_f16 v14, v12, v8, v14 op_sel_hi:[1,0,1]
	v_pk_fma_f16 v15, v12, v8, v15 op_sel:[0,1,0]
	v_pk_fma_f16 v16, v12, v9, v16 op_sel_hi:[1,0,1]
	v_pk_fma_f16 v17, v12, v9, v17 op_sel:[0,1,0]
	;; [unrolled: 2-line block ×4, first 2 shown]
	ds_read_b128 v[8:11], v103 offset:496
	s_waitcnt lgkmcnt(0)
	v_pk_fma_f16 v14, v13, v8, v14 op_sel_hi:[1,0,1]
	v_pk_fma_f16 v15, v13, v8, v15 op_sel:[0,1,0]
	v_pk_fma_f16 v16, v13, v9, v16 op_sel_hi:[1,0,1]
	v_pk_fma_f16 v17, v13, v9, v17 op_sel:[0,1,0]
	;; [unrolled: 2-line block ×4, first 2 shown]
	ds_read2_b32 v[12:13], v113 offset1:32
	ds_read_b128 v[8:11], v103 offset:512
	s_waitcnt lgkmcnt(0)
	v_pk_fma_f16 v14, v12, v8, v14 op_sel_hi:[1,0,1]
	v_pk_fma_f16 v15, v12, v8, v15 op_sel:[0,1,0]
	v_pk_fma_f16 v16, v12, v9, v16 op_sel_hi:[1,0,1]
	v_pk_fma_f16 v17, v12, v9, v17 op_sel:[0,1,0]
	v_pk_fma_f16 v18, v12, v10, v18 op_sel_hi:[1,0,1]
	v_pk_fma_f16 v19, v12, v10, v19 op_sel:[0,1,0]
	v_pk_fma_f16 v20, v12, v11, v20 op_sel_hi:[1,0,1]
	v_pk_fma_f16 v12, v12, v11, v21 op_sel:[0,1,0]
	ds_read_b128 v[8:11], v103 offset:528
	s_waitcnt lgkmcnt(0)
	v_pk_fma_f16 v14, v13, v8, v14 op_sel_hi:[1,0,1]
	v_pk_fma_f16 v15, v13, v8, v15 op_sel:[0,1,0]
	v_pk_fma_f16 v16, v13, v9, v16 op_sel_hi:[1,0,1]
	v_pk_fma_f16 v17, v13, v9, v17 op_sel:[0,1,0]
	v_pk_fma_f16 v18, v13, v10, v18 op_sel_hi:[1,0,1]
	v_pk_fma_f16 v19, v13, v10, v19 op_sel:[0,1,0]
	v_pk_fma_f16 v20, v13, v11, v20 op_sel_hi:[1,0,1]
	v_pk_fma_f16 v21, v13, v11, v12 op_sel:[0,1,0]
	ds_read2_b32 v[12:13], v113 offset0:64 offset1:96
	ds_read_b128 v[8:11], v103 offset:544
	s_waitcnt lgkmcnt(0)
	v_pk_fma_f16 v14, v12, v8, v14 op_sel_hi:[1,0,1]
	v_pk_fma_f16 v15, v12, v8, v15 op_sel:[0,1,0]
	v_pk_fma_f16 v16, v12, v9, v16 op_sel_hi:[1,0,1]
	v_pk_fma_f16 v17, v12, v9, v17 op_sel:[0,1,0]
	v_pk_fma_f16 v18, v12, v10, v18 op_sel_hi:[1,0,1]
	v_pk_fma_f16 v19, v12, v10, v19 op_sel:[0,1,0]
	v_pk_fma_f16 v20, v12, v11, v20 op_sel_hi:[1,0,1]
	v_pk_fma_f16 v12, v12, v11, v21 op_sel:[0,1,0]
	ds_read_b128 v[8:11], v103 offset:560
	s_waitcnt lgkmcnt(0)
	v_pk_fma_f16 v14, v13, v8, v14 op_sel_hi:[1,0,1]
	v_pk_fma_f16 v15, v13, v8, v15 op_sel:[0,1,0]
	v_pk_fma_f16 v16, v13, v9, v16 op_sel_hi:[1,0,1]
	v_pk_fma_f16 v17, v13, v9, v17 op_sel:[0,1,0]
	v_pk_fma_f16 v18, v13, v10, v18 op_sel_hi:[1,0,1]
	v_pk_fma_f16 v19, v13, v10, v19 op_sel:[0,1,0]
	v_pk_fma_f16 v20, v13, v11, v20 op_sel_hi:[1,0,1]
	v_pk_fma_f16 v21, v13, v11, v12 op_sel:[0,1,0]
	ds_read2_b32 v[12:13], v113 offset0:128 offset1:160
	;; [unrolled: 21-line block ×3, first 2 shown]
	ds_read_b128 v[8:11], v103 offset:608
	s_waitcnt lgkmcnt(0)
	v_pk_fma_f16 v14, v12, v8, v14 op_sel_hi:[1,0,1]
	v_pk_fma_f16 v15, v12, v8, v15 op_sel:[0,1,0]
	v_pk_fma_f16 v16, v12, v9, v16 op_sel_hi:[1,0,1]
	v_pk_fma_f16 v17, v12, v9, v17 op_sel:[0,1,0]
	;; [unrolled: 2-line block ×4, first 2 shown]
	ds_read_b128 v[8:11], v103 offset:624
	s_waitcnt lgkmcnt(0)
	v_pk_fma_f16 v14, v13, v8, v14 op_sel_hi:[1,0,1]
	v_pk_fma_f16 v15, v13, v8, v15 op_sel:[0,1,0]
	v_pk_fma_f16 v16, v13, v9, v16 op_sel_hi:[1,0,1]
	v_pk_fma_f16 v17, v13, v9, v17 op_sel:[0,1,0]
	;; [unrolled: 2-line block ×4, first 2 shown]
	ds_read2_b32 v[12:13], v114 offset1:32
	ds_read_b128 v[8:11], v103 offset:640
	s_waitcnt lgkmcnt(0)
	v_pk_fma_f16 v14, v12, v8, v14 op_sel_hi:[1,0,1]
	v_pk_fma_f16 v15, v12, v8, v15 op_sel:[0,1,0]
	v_pk_fma_f16 v16, v12, v9, v16 op_sel_hi:[1,0,1]
	v_pk_fma_f16 v17, v12, v9, v17 op_sel:[0,1,0]
	v_pk_fma_f16 v18, v12, v10, v18 op_sel_hi:[1,0,1]
	v_pk_fma_f16 v19, v12, v10, v19 op_sel:[0,1,0]
	v_pk_fma_f16 v20, v12, v11, v20 op_sel_hi:[1,0,1]
	v_pk_fma_f16 v12, v12, v11, v21 op_sel:[0,1,0]
	ds_read_b128 v[8:11], v103 offset:656
	s_waitcnt lgkmcnt(0)
	v_pk_fma_f16 v14, v13, v8, v14 op_sel_hi:[1,0,1]
	v_pk_fma_f16 v15, v13, v8, v15 op_sel:[0,1,0]
	v_pk_fma_f16 v16, v13, v9, v16 op_sel_hi:[1,0,1]
	v_pk_fma_f16 v17, v13, v9, v17 op_sel:[0,1,0]
	v_pk_fma_f16 v18, v13, v10, v18 op_sel_hi:[1,0,1]
	v_pk_fma_f16 v19, v13, v10, v19 op_sel:[0,1,0]
	v_pk_fma_f16 v20, v13, v11, v20 op_sel_hi:[1,0,1]
	v_pk_fma_f16 v21, v13, v11, v12 op_sel:[0,1,0]
	ds_read2_b32 v[12:13], v114 offset0:64 offset1:96
	ds_read_b128 v[8:11], v103 offset:672
	s_waitcnt lgkmcnt(0)
	v_pk_fma_f16 v14, v12, v8, v14 op_sel_hi:[1,0,1]
	v_pk_fma_f16 v15, v12, v8, v15 op_sel:[0,1,0]
	v_pk_fma_f16 v16, v12, v9, v16 op_sel_hi:[1,0,1]
	v_pk_fma_f16 v17, v12, v9, v17 op_sel:[0,1,0]
	v_pk_fma_f16 v18, v12, v10, v18 op_sel_hi:[1,0,1]
	v_pk_fma_f16 v19, v12, v10, v19 op_sel:[0,1,0]
	v_pk_fma_f16 v20, v12, v11, v20 op_sel_hi:[1,0,1]
	v_pk_fma_f16 v12, v12, v11, v21 op_sel:[0,1,0]
	ds_read_b128 v[8:11], v103 offset:688
	s_waitcnt lgkmcnt(0)
	v_pk_fma_f16 v14, v13, v8, v14 op_sel_hi:[1,0,1]
	v_pk_fma_f16 v15, v13, v8, v15 op_sel:[0,1,0]
	v_pk_fma_f16 v16, v13, v9, v16 op_sel_hi:[1,0,1]
	v_pk_fma_f16 v17, v13, v9, v17 op_sel:[0,1,0]
	v_pk_fma_f16 v18, v13, v10, v18 op_sel_hi:[1,0,1]
	v_pk_fma_f16 v19, v13, v10, v19 op_sel:[0,1,0]
	v_pk_fma_f16 v20, v13, v11, v20 op_sel_hi:[1,0,1]
	v_pk_fma_f16 v21, v13, v11, v12 op_sel:[0,1,0]
	ds_read2_b32 v[12:13], v114 offset0:128 offset1:160
	ds_read_b128 v[8:11], v103 offset:704
	s_waitcnt lgkmcnt(0)
	v_pk_fma_f16 v14, v12, v8, v14 op_sel_hi:[1,0,1]
	v_pk_fma_f16 v15, v12, v8, v15 op_sel:[0,1,0]
	v_pk_fma_f16 v16, v12, v9, v16 op_sel_hi:[1,0,1]
	v_pk_fma_f16 v17, v12, v9, v17 op_sel:[0,1,0]
	v_pk_fma_f16 v18, v12, v10, v18 op_sel_hi:[1,0,1]
	v_pk_fma_f16 v19, v12, v10, v19 op_sel:[0,1,0]
	v_pk_fma_f16 v20, v12, v11, v20 op_sel_hi:[1,0,1]
	v_pk_fma_f16 v12, v12, v11, v21 op_sel:[0,1,0]
	ds_read_b128 v[8:11], v103 offset:720
	s_waitcnt lgkmcnt(0)
	v_pk_fma_f16 v14, v13, v8, v14 op_sel_hi:[1,0,1]
	v_pk_fma_f16 v15, v13, v8, v15 op_sel:[0,1,0]
	v_pk_fma_f16 v16, v13, v9, v16 op_sel_hi:[1,0,1]
	v_pk_fma_f16 v17, v13, v9, v17 op_sel:[0,1,0]
	v_pk_fma_f16 v18, v13, v10, v18 op_sel_hi:[1,0,1]
	v_pk_fma_f16 v19, v13, v10, v19 op_sel:[0,1,0]
	v_pk_fma_f16 v20, v13, v11, v20 op_sel_hi:[1,0,1]
	v_pk_fma_f16 v21, v13, v11, v12 op_sel:[0,1,0]
	ds_read2_b32 v[12:13], v114 offset0:192 offset1:224
	ds_read_b128 v[8:11], v103 offset:736
	s_waitcnt lgkmcnt(0)
	v_pk_fma_f16 v14, v12, v8, v14 op_sel_hi:[1,0,1]
	v_pk_fma_f16 v15, v12, v8, v15 op_sel:[0,1,0]
	v_pk_fma_f16 v16, v12, v9, v16 op_sel_hi:[1,0,1]
	v_pk_fma_f16 v17, v12, v9, v17 op_sel:[0,1,0]
	;; [unrolled: 2-line block ×4, first 2 shown]
	ds_read_b128 v[8:11], v103 offset:752
	s_waitcnt lgkmcnt(0)
	v_pk_fma_f16 v14, v13, v8, v14 op_sel_hi:[1,0,1]
	v_pk_fma_f16 v15, v13, v8, v15 op_sel:[0,1,0]
	v_pk_fma_f16 v16, v13, v9, v16 op_sel_hi:[1,0,1]
	v_pk_fma_f16 v17, v13, v9, v17 op_sel:[0,1,0]
	;; [unrolled: 2-line block ×4, first 2 shown]
	ds_read2_b32 v[12:13], v115 offset1:32
	ds_read_b128 v[8:11], v103 offset:768
	s_waitcnt lgkmcnt(0)
	v_pk_fma_f16 v14, v12, v8, v14 op_sel_hi:[1,0,1]
	v_pk_fma_f16 v15, v12, v8, v15 op_sel:[0,1,0]
	v_pk_fma_f16 v16, v12, v9, v16 op_sel_hi:[1,0,1]
	v_pk_fma_f16 v17, v12, v9, v17 op_sel:[0,1,0]
	v_pk_fma_f16 v18, v12, v10, v18 op_sel_hi:[1,0,1]
	v_pk_fma_f16 v19, v12, v10, v19 op_sel:[0,1,0]
	v_pk_fma_f16 v20, v12, v11, v20 op_sel_hi:[1,0,1]
	v_pk_fma_f16 v12, v12, v11, v21 op_sel:[0,1,0]
	ds_read_b128 v[8:11], v103 offset:784
	s_waitcnt lgkmcnt(0)
	v_pk_fma_f16 v14, v13, v8, v14 op_sel_hi:[1,0,1]
	v_pk_fma_f16 v15, v13, v8, v15 op_sel:[0,1,0]
	v_pk_fma_f16 v16, v13, v9, v16 op_sel_hi:[1,0,1]
	v_pk_fma_f16 v17, v13, v9, v17 op_sel:[0,1,0]
	v_pk_fma_f16 v18, v13, v10, v18 op_sel_hi:[1,0,1]
	v_pk_fma_f16 v19, v13, v10, v19 op_sel:[0,1,0]
	v_pk_fma_f16 v20, v13, v11, v20 op_sel_hi:[1,0,1]
	v_pk_fma_f16 v21, v13, v11, v12 op_sel:[0,1,0]
	ds_read2_b32 v[12:13], v115 offset0:64 offset1:96
	ds_read_b128 v[8:11], v103 offset:800
	s_waitcnt lgkmcnt(0)
	v_pk_fma_f16 v14, v12, v8, v14 op_sel_hi:[1,0,1]
	v_pk_fma_f16 v15, v12, v8, v15 op_sel:[0,1,0]
	v_pk_fma_f16 v16, v12, v9, v16 op_sel_hi:[1,0,1]
	v_pk_fma_f16 v17, v12, v9, v17 op_sel:[0,1,0]
	v_pk_fma_f16 v18, v12, v10, v18 op_sel_hi:[1,0,1]
	v_pk_fma_f16 v19, v12, v10, v19 op_sel:[0,1,0]
	v_pk_fma_f16 v20, v12, v11, v20 op_sel_hi:[1,0,1]
	v_pk_fma_f16 v12, v12, v11, v21 op_sel:[0,1,0]
	ds_read_b128 v[8:11], v103 offset:816
	s_waitcnt lgkmcnt(0)
	v_pk_fma_f16 v14, v13, v8, v14 op_sel_hi:[1,0,1]
	v_pk_fma_f16 v15, v13, v8, v15 op_sel:[0,1,0]
	v_pk_fma_f16 v16, v13, v9, v16 op_sel_hi:[1,0,1]
	v_pk_fma_f16 v17, v13, v9, v17 op_sel:[0,1,0]
	v_pk_fma_f16 v18, v13, v10, v18 op_sel_hi:[1,0,1]
	v_pk_fma_f16 v19, v13, v10, v19 op_sel:[0,1,0]
	v_pk_fma_f16 v20, v13, v11, v20 op_sel_hi:[1,0,1]
	v_pk_fma_f16 v21, v13, v11, v12 op_sel:[0,1,0]
	ds_read2_b32 v[12:13], v115 offset0:128 offset1:160
	ds_read_b128 v[8:11], v103 offset:832
	s_waitcnt lgkmcnt(0)
	v_pk_fma_f16 v14, v12, v8, v14 op_sel_hi:[1,0,1]
	v_pk_fma_f16 v15, v12, v8, v15 op_sel:[0,1,0]
	v_pk_fma_f16 v16, v12, v9, v16 op_sel_hi:[1,0,1]
	v_pk_fma_f16 v17, v12, v9, v17 op_sel:[0,1,0]
	v_pk_fma_f16 v18, v12, v10, v18 op_sel_hi:[1,0,1]
	v_pk_fma_f16 v19, v12, v10, v19 op_sel:[0,1,0]
	v_pk_fma_f16 v20, v12, v11, v20 op_sel_hi:[1,0,1]
	v_pk_fma_f16 v12, v12, v11, v21 op_sel:[0,1,0]
	ds_read_b128 v[8:11], v103 offset:848
	s_waitcnt lgkmcnt(0)
	v_pk_fma_f16 v14, v13, v8, v14 op_sel_hi:[1,0,1]
	v_pk_fma_f16 v15, v13, v8, v15 op_sel:[0,1,0]
	v_pk_fma_f16 v16, v13, v9, v16 op_sel_hi:[1,0,1]
	v_pk_fma_f16 v17, v13, v9, v17 op_sel:[0,1,0]
	v_pk_fma_f16 v18, v13, v10, v18 op_sel_hi:[1,0,1]
	v_pk_fma_f16 v19, v13, v10, v19 op_sel:[0,1,0]
	v_pk_fma_f16 v20, v13, v11, v20 op_sel_hi:[1,0,1]
	v_pk_fma_f16 v21, v13, v11, v12 op_sel:[0,1,0]
	ds_read2_b32 v[12:13], v115 offset0:192 offset1:224
	ds_read_b128 v[8:11], v103 offset:864
	s_waitcnt lgkmcnt(0)
	v_pk_fma_f16 v14, v12, v8, v14 op_sel_hi:[1,0,1]
	v_pk_fma_f16 v15, v12, v8, v15 op_sel:[0,1,0]
	v_pk_fma_f16 v16, v12, v9, v16 op_sel_hi:[1,0,1]
	v_pk_fma_f16 v17, v12, v9, v17 op_sel:[0,1,0]
	;; [unrolled: 2-line block ×4, first 2 shown]
	ds_read_b128 v[8:11], v103 offset:880
	s_waitcnt lgkmcnt(0)
	v_pk_fma_f16 v14, v13, v8, v14 op_sel_hi:[1,0,1]
	v_pk_fma_f16 v15, v13, v8, v15 op_sel:[0,1,0]
	v_pk_fma_f16 v16, v13, v9, v16 op_sel_hi:[1,0,1]
	v_pk_fma_f16 v17, v13, v9, v17 op_sel:[0,1,0]
	;; [unrolled: 2-line block ×4, first 2 shown]
	ds_read2_b32 v[12:13], v116 offset1:32
	ds_read_b128 v[8:11], v103 offset:896
	s_waitcnt lgkmcnt(0)
	v_pk_fma_f16 v14, v12, v8, v14 op_sel_hi:[1,0,1]
	v_pk_fma_f16 v15, v12, v8, v15 op_sel:[0,1,0]
	v_pk_fma_f16 v16, v12, v9, v16 op_sel_hi:[1,0,1]
	v_pk_fma_f16 v17, v12, v9, v17 op_sel:[0,1,0]
	v_pk_fma_f16 v18, v12, v10, v18 op_sel_hi:[1,0,1]
	v_pk_fma_f16 v19, v12, v10, v19 op_sel:[0,1,0]
	v_pk_fma_f16 v20, v12, v11, v20 op_sel_hi:[1,0,1]
	v_pk_fma_f16 v12, v12, v11, v21 op_sel:[0,1,0]
	ds_read_b128 v[8:11], v103 offset:912
	s_waitcnt lgkmcnt(0)
	v_pk_fma_f16 v14, v13, v8, v14 op_sel_hi:[1,0,1]
	v_pk_fma_f16 v15, v13, v8, v15 op_sel:[0,1,0]
	v_pk_fma_f16 v16, v13, v9, v16 op_sel_hi:[1,0,1]
	v_pk_fma_f16 v17, v13, v9, v17 op_sel:[0,1,0]
	v_pk_fma_f16 v18, v13, v10, v18 op_sel_hi:[1,0,1]
	v_pk_fma_f16 v19, v13, v10, v19 op_sel:[0,1,0]
	v_pk_fma_f16 v20, v13, v11, v20 op_sel_hi:[1,0,1]
	v_pk_fma_f16 v21, v13, v11, v12 op_sel:[0,1,0]
	ds_read2_b32 v[12:13], v116 offset0:64 offset1:96
	ds_read_b128 v[8:11], v103 offset:928
	s_waitcnt lgkmcnt(0)
	v_pk_fma_f16 v14, v12, v8, v14 op_sel_hi:[1,0,1]
	v_pk_fma_f16 v15, v12, v8, v15 op_sel:[0,1,0]
	v_pk_fma_f16 v16, v12, v9, v16 op_sel_hi:[1,0,1]
	v_pk_fma_f16 v17, v12, v9, v17 op_sel:[0,1,0]
	v_pk_fma_f16 v18, v12, v10, v18 op_sel_hi:[1,0,1]
	v_pk_fma_f16 v19, v12, v10, v19 op_sel:[0,1,0]
	v_pk_fma_f16 v20, v12, v11, v20 op_sel_hi:[1,0,1]
	v_pk_fma_f16 v12, v12, v11, v21 op_sel:[0,1,0]
	ds_read_b128 v[8:11], v103 offset:944
	s_waitcnt lgkmcnt(0)
	v_pk_fma_f16 v14, v13, v8, v14 op_sel_hi:[1,0,1]
	v_pk_fma_f16 v15, v13, v8, v15 op_sel:[0,1,0]
	v_pk_fma_f16 v16, v13, v9, v16 op_sel_hi:[1,0,1]
	v_pk_fma_f16 v17, v13, v9, v17 op_sel:[0,1,0]
	v_pk_fma_f16 v18, v13, v10, v18 op_sel_hi:[1,0,1]
	v_pk_fma_f16 v19, v13, v10, v19 op_sel:[0,1,0]
	v_pk_fma_f16 v20, v13, v11, v20 op_sel_hi:[1,0,1]
	v_pk_fma_f16 v21, v13, v11, v12 op_sel:[0,1,0]
	ds_read2_b32 v[12:13], v116 offset0:128 offset1:160
	;; [unrolled: 21-line block ×3, first 2 shown]
	ds_read_b128 v[8:11], v103 offset:992
	s_waitcnt lgkmcnt(0)
	v_pk_fma_f16 v14, v12, v8, v14 op_sel_hi:[1,0,1]
	v_pk_fma_f16 v15, v12, v8, v15 op_sel:[0,1,0]
	v_pk_fma_f16 v16, v12, v9, v16 op_sel_hi:[1,0,1]
	v_pk_fma_f16 v17, v12, v9, v17 op_sel:[0,1,0]
	;; [unrolled: 2-line block ×4, first 2 shown]
	ds_read_b128 v[8:11], v103 offset:1008
	s_waitcnt lgkmcnt(0)
	s_barrier
	s_load_dword s25, s[0:1], 0x4
	v_pk_fma_f16 v124, v13, v8, v14 op_sel_hi:[1,0,1]
	v_pk_fma_f16 v123, v13, v8, v15 op_sel:[0,1,0]
	v_pk_fma_f16 v122, v13, v9, v16 op_sel_hi:[1,0,1]
	v_pk_fma_f16 v120, v13, v9, v17 op_sel:[0,1,0]
	s_waitcnt lgkmcnt(0)
	s_lshl_b32 s25, s25, 6
	s_add_i32 s15, s25, s15
	v_pk_fma_f16 v118, v13, v10, v18 op_sel_hi:[1,0,1]
	v_pk_fma_f16 v117, v13, v10, v19 op_sel:[0,1,0]
	v_pk_fma_f16 v121, v13, v11, v20 op_sel_hi:[1,0,1]
	v_pk_fma_f16 v119, v13, v11, v12 op_sel:[0,1,0]
	s_cmp_ge_i32 s15, s30
	s_cbranch_scc0 .LBB33_9
.LBB33_10:
	v_cmp_lt_i32_e32 vcc, v93, v89
	v_cndmask_b32_e32 v8, v88, v93, vcc
	v_lshlrev_b32_e32 v17, 2, v8
	ds_bpermute_b32 v12, v17, v48
	ds_bpermute_b32 v13, v17, v49
	v_cmp_lt_i32_e32 vcc, v94, v89
	v_cndmask_b32_e32 v10, v88, v94, vcc
	v_cmp_lt_i32_e32 vcc, v92, v89
	v_lshlrev_b32_e32 v23, 2, v10
	v_cndmask_b32_e32 v10, v88, v92, vcc
	v_cmp_lt_i32_e32 vcc, v91, v89
	v_cndmask_b32_e32 v14, v88, v91, vcc
	s_waitcnt lgkmcnt(0)
	v_pk_add_f32 v[12:13], v[48:49], v[12:13]
	v_lshlrev_b32_e32 v25, 2, v14
	ds_bpermute_b32 v14, v23, v12
	ds_bpermute_b32 v15, v23, v13
	v_lshlrev_b32_e32 v24, 2, v10
	ds_bpermute_b32 v8, v17, v50
	ds_bpermute_b32 v9, v17, v51
	;; [unrolled: 1-line block ×3, first 2 shown]
	s_waitcnt lgkmcnt(3)
	v_pk_add_f32 v[12:13], v[12:13], v[14:15]
	ds_bpermute_b32 v14, v24, v12
	ds_bpermute_b32 v15, v24, v13
	;; [unrolled: 1-line block ×3, first 2 shown]
	s_waitcnt lgkmcnt(4)
	v_pk_add_f32 v[8:9], v[50:51], v[8:9]
	v_cmp_lt_i32_e32 vcc, v90, v89
	ds_bpermute_b32 v10, v23, v8
	s_waitcnt lgkmcnt(2)
	v_pk_add_f32 v[12:13], v[12:13], v[14:15]
	ds_bpermute_b32 v14, v17, v46
	ds_bpermute_b32 v15, v17, v47
	s_waitcnt lgkmcnt(3)
	v_pk_add_f32 v[18:19], v[44:45], v[18:19]
	ds_bpermute_b32 v11, v23, v9
	v_cndmask_b32_e32 v16, v88, v90, vcc
	ds_bpermute_b32 v22, v23, v18
	s_waitcnt lgkmcnt(2)
	v_pk_add_f32 v[14:15], v[46:47], v[14:15]
	ds_bpermute_b32 v20, v23, v14
	ds_bpermute_b32 v21, v23, v15
	;; [unrolled: 1-line block ×3, first 2 shown]
	v_lshlrev_b32_e32 v27, 2, v16
	ds_bpermute_b32 v16, v25, v12
	ds_bpermute_b32 v17, v25, v13
	s_waitcnt lgkmcnt(6)
	v_pk_add_f32 v[8:9], v[8:9], v[10:11]
	s_waitcnt lgkmcnt(3)
	v_pk_add_f32 v[14:15], v[14:15], v[20:21]
	;; [unrolled: 2-line block ×3, first 2 shown]
	ds_bpermute_b32 v10, v24, v8
	ds_bpermute_b32 v11, v24, v9
	s_waitcnt lgkmcnt(2)
	v_pk_add_f32 v[12:13], v[12:13], v[16:17]
	ds_bpermute_b32 v16, v24, v14
	ds_bpermute_b32 v17, v24, v15
	;; [unrolled: 1-line block ×4, first 2 shown]
	s_waitcnt lgkmcnt(4)
	v_pk_add_f32 v[8:9], v[8:9], v[10:11]
	ds_bpermute_b32 v10, v25, v8
	s_waitcnt lgkmcnt(3)
	v_pk_add_f32 v[14:15], v[14:15], v[16:17]
	ds_bpermute_b32 v11, v25, v9
	;; [unrolled: 3-line block ×3, first 2 shown]
	ds_bpermute_b32 v17, v25, v15
	ds_bpermute_b32 v20, v25, v18
	;; [unrolled: 1-line block ×3, first 2 shown]
	s_waitcnt lgkmcnt(4)
	v_pk_add_f32 v[8:9], v[8:9], v[10:11]
	ds_bpermute_b32 v10, v27, v8
	s_waitcnt lgkmcnt(3)
	v_pk_add_f32 v[14:15], v[14:15], v[16:17]
	ds_bpermute_b32 v11, v27, v9
	;; [unrolled: 3-line block ×3, first 2 shown]
	ds_bpermute_b32 v25, v27, v13
	ds_bpermute_b32 v16, v27, v14
	;; [unrolled: 1-line block ×5, first 2 shown]
	s_cmp_lg_u64 s[16:17], 0
	s_cselect_b64 s[0:1], -1, 0
	s_cmp_eq_u32 s7, 0
	s_cselect_b64 s[8:9], -1, 0
	s_and_b64 s[0:1], s[8:9], s[0:1]
	v_lshlrev_b32_e32 v26, 1, v85
	s_waitcnt lgkmcnt(6)
	v_pk_add_f32 v[22:23], v[8:9], v[10:11]
	s_waitcnt lgkmcnt(4)
	v_pk_add_f32 v[20:21], v[12:13], v[24:25]
	;; [unrolled: 2-line block ×4, first 2 shown]
	s_and_b64 vcc, exec, s[0:1]
	s_cbranch_vccz .LBB33_12
; %bb.11:
	s_ashr_i32 s29, s28, 31
	s_lshl_b64 s[0:1], s[28:29], 2
	s_add_u32 s0, s16, s0
	s_addc_u32 s1, s17, s1
	v_mov_b32_e32 v8, 0
	global_load_dwordx2 v[24:25], v8, s[0:1]
	v_max_f32_e32 v8, v1, v1
	v_max_f32_e32 v10, v0, v0
	s_mov_b32 s6, 0x3fb8aa3b
	v_max_f32_e32 v12, v2, v2
	v_max_f32_e32 v11, v3, v3
	s_mov_b32 s1, 0xc2ce8ed0
	s_mov_b32 s0, 0x42b17218
	v_mov_b32_e32 v27, 0x7f800000
	s_waitcnt vmcnt(0)
	v_max_f32_e32 v28, v25, v25
	v_max_f32_e32 v29, v24, v24
	;; [unrolled: 1-line block ×4, first 2 shown]
	v_pk_add_f32 v[0:1], v[0:1], v[8:9] neg_lo:[0,1] neg_hi:[0,1]
	v_mul_f32_e32 v30, 0x3fb8aa3b, v1
	v_max_f32_e32 v10, v12, v29
	v_pk_add_f32 v[12:13], v[24:25], v[8:9] neg_lo:[0,1] neg_hi:[0,1]
	v_mul_f32_e32 v31, 0x3fb8aa3b, v0
	v_fma_f32 v36, v1, s6, -v30
	v_rndne_f32_e32 v37, v30
	v_max_f32_e32 v11, v11, v28
	v_mul_f32_e32 v32, 0x3fb8aa3b, v13
	v_fma_f32 v38, v0, s6, -v31
	v_rndne_f32_e32 v39, v31
	v_fmac_f32_e32 v36, 0x32a5705f, v1
	v_sub_f32_e32 v30, v30, v37
	v_pk_add_f32 v[2:3], v[2:3], v[10:11] neg_lo:[0,1] neg_hi:[0,1]
	v_mul_f32_e32 v33, 0x3fb8aa3b, v12
	v_fma_f32 v40, v13, s6, -v32
	v_rndne_f32_e32 v41, v32
	v_fmac_f32_e32 v38, 0x32a5705f, v0
	v_sub_f32_e32 v31, v31, v39
	v_add_f32_e32 v30, v30, v36
	v_mul_f32_e32 v34, 0x3fb8aa3b, v3
	v_fma_f32 v42, v12, s6, -v33
	v_rndne_f32_e32 v43, v33
	v_cvt_i32_f32_e32 v37, v37
	v_fmac_f32_e32 v40, 0x32a5705f, v13
	v_sub_f32_e32 v32, v32, v41
	v_add_f32_e32 v31, v31, v38
	v_exp_f32_e32 v30, v30
	v_fma_f32 v44, v3, s6, -v34
	v_rndne_f32_e32 v45, v34
	v_cvt_i32_f32_e32 v39, v39
	v_fmac_f32_e32 v42, 0x32a5705f, v12
	v_sub_f32_e32 v33, v33, v43
	v_add_f32_e32 v32, v32, v40
	v_exp_f32_e32 v31, v31
	v_cvt_i32_f32_e32 v41, v41
	v_fmac_f32_e32 v44, 0x32a5705f, v3
	v_sub_f32_e32 v34, v34, v45
	v_add_f32_e32 v33, v33, v42
	v_exp_f32_e32 v32, v32
	v_cvt_i32_f32_e32 v43, v43
	v_add_f32_e32 v34, v34, v44
	v_exp_f32_e32 v33, v33
	v_cvt_i32_f32_e32 v45, v45
	v_exp_f32_e32 v34, v34
	v_ldexp_f32 v30, v30, v37
	v_cmp_ngt_f32_e32 vcc, s1, v1
	v_ldexp_f32 v31, v31, v39
	v_cndmask_b32_e32 v30, 0, v30, vcc
	v_cmp_ngt_f32_e32 vcc, s1, v0
	v_ldexp_f32 v32, v32, v41
	v_cndmask_b32_e32 v31, 0, v31, vcc
	;; [unrolled: 3-line block ×4, first 2 shown]
	v_cmp_ngt_f32_e32 vcc, s1, v3
	v_cndmask_b32_e32 v34, 0, v34, vcc
	v_cmp_nlt_f32_e32 vcc, s0, v1
	v_cndmask_b32_e32 v1, v27, v30, vcc
	v_cmp_nlt_f32_e32 vcc, s0, v0
	;; [unrolled: 2-line block ×4, first 2 shown]
	v_pk_add_f32 v[14:15], v[24:25], v[10:11] neg_lo:[0,1] neg_hi:[0,1]
	v_mul_f32_e32 v35, 0x3fb8aa3b, v2
	v_cndmask_b32_e32 v12, v27, v33, vcc
	v_fma_f32 v46, v2, s6, -v35
	v_rndne_f32_e32 v47, v35
	v_cvt_f16_f32_e32 v30, v0
	v_pk_fma_f32 v[22:23], v[22:23], v[0:1], v[12:13]
	v_mul_f32_e32 v0, 0x3fb8aa3b, v15
	v_fmac_f32_e32 v46, 0x32a5705f, v2
	v_sub_f32_e32 v35, v35, v47
	v_cvt_f16_f32_e32 v31, v1
	v_fma_f32 v1, v15, s6, -v0
	v_rndne_f32_e32 v12, v0
	v_add_f32_e32 v35, v35, v46
	v_fmac_f32_e32 v1, 0x32a5705f, v15
	v_sub_f32_e32 v0, v0, v12
	v_cvt_i32_f32_e32 v47, v47
	v_exp_f32_e32 v35, v35
	v_add_f32_e32 v0, v0, v1
	v_exp_f32_e32 v0, v0
	v_cvt_i32_f32_e32 v1, v12
	v_cmp_nlt_f32_e32 vcc, s0, v3
	v_ldexp_f32 v35, v35, v47
	v_cndmask_b32_e32 v3, v27, v34, vcc
	v_cmp_ngt_f32_e32 vcc, s1, v2
	v_cndmask_b32_e32 v12, 0, v35, vcc
	v_cmp_nlt_f32_e32 vcc, s0, v2
	v_ldexp_f32 v0, v0, v1
	v_mul_f32_e32 v1, 0x3fb8aa3b, v14
	v_cndmask_b32_e32 v2, v27, v12, vcc
	v_fma_f32 v12, v14, s6, -v1
	v_rndne_f32_e32 v13, v1
	v_fmac_f32_e32 v12, 0x32a5705f, v14
	v_sub_f32_e32 v1, v1, v13
	v_add_f32_e32 v1, v1, v12
	v_exp_f32_e32 v12, v1
	v_cvt_i32_f32_e32 v13, v13
	v_cmp_ngt_f32_e32 vcc, s1, v15
	v_cndmask_b32_e32 v0, 0, v0, vcc
	v_cmp_nlt_f32_e32 vcc, s0, v15
	v_cndmask_b32_e32 v1, v27, v0, vcc
	v_ldexp_f32 v0, v12, v13
	v_max_f32_e32 v12, v5, v5
	v_max_f32_e32 v13, v12, v28
	;; [unrolled: 1-line block ×4, first 2 shown]
	v_cmp_ngt_f32_e32 vcc, s1, v14
	v_pk_add_f32 v[4:5], v[4:5], v[12:13] neg_lo:[0,1] neg_hi:[0,1]
	v_pk_mul_f16 v124, v124, v30 op_sel_hi:[1,0]
	v_cndmask_b32_e32 v0, 0, v0, vcc
	v_cmp_nlt_f32_e32 vcc, s0, v14
	v_mul_f32_e32 v30, 0x3fb8aa3b, v5
	v_pk_mul_f16 v123, v123, v31 op_sel_hi:[1,0]
	v_cndmask_b32_e32 v0, v27, v0, vcc
	v_fma_f32 v31, v5, s6, -v30
	v_rndne_f32_e32 v32, v30
	v_fmac_f32_e32 v31, 0x32a5705f, v5
	v_sub_f32_e32 v30, v30, v32
	v_pk_fma_f32 v[20:21], v[20:21], v[2:3], v[0:1]
	v_mul_f32_e32 v1, 0x3fb8aa3b, v4
	v_cvt_f16_f32_e32 v14, v2
	v_cvt_f16_f32_e32 v15, v3
	v_add_f32_e32 v30, v30, v31
	v_fma_f32 v2, v4, s6, -v1
	v_rndne_f32_e32 v3, v1
	v_exp_f32_e32 v30, v30
	v_cvt_i32_f32_e32 v31, v32
	v_fmac_f32_e32 v2, 0x32a5705f, v4
	v_sub_f32_e32 v1, v1, v3
	v_add_f32_e32 v1, v1, v2
	v_exp_f32_e32 v2, v1
	v_cvt_i32_f32_e32 v3, v3
	v_ldexp_f32 v0, v30, v31
	v_cmp_ngt_f32_e32 vcc, s1, v5
	v_cndmask_b32_e32 v0, 0, v0, vcc
	v_cmp_nlt_f32_e32 vcc, s0, v5
	v_cndmask_b32_e32 v1, v27, v0, vcc
	v_ldexp_f32 v0, v2, v3
	v_pk_add_f32 v[2:3], v[24:25], v[12:13] neg_lo:[0,1] neg_hi:[0,1]
	v_mul_f32_e32 v5, 0x3fb8aa3b, v3
	v_pk_mul_f16 v122, v122, v14 op_sel_hi:[1,0]
	v_pk_mul_f16 v120, v120, v15 op_sel_hi:[1,0]
	v_fma_f32 v14, v3, s6, -v5
	v_rndne_f32_e32 v15, v5
	v_fmac_f32_e32 v14, 0x32a5705f, v3
	v_sub_f32_e32 v5, v5, v15
	v_add_f32_e32 v5, v5, v14
	v_exp_f32_e32 v5, v5
	v_cvt_i32_f32_e32 v14, v15
	v_cmp_ngt_f32_e32 vcc, s1, v4
	v_cndmask_b32_e32 v0, 0, v0, vcc
	v_cmp_nlt_f32_e32 vcc, s0, v4
	v_ldexp_f32 v4, v5, v14
	v_mul_f32_e32 v5, 0x3fb8aa3b, v2
	v_fma_f32 v14, v2, s6, -v5
	v_rndne_f32_e32 v15, v5
	v_fmac_f32_e32 v14, 0x32a5705f, v2
	v_sub_f32_e32 v5, v5, v15
	v_add_f32_e32 v5, v5, v14
	v_exp_f32_e32 v5, v5
	v_cvt_i32_f32_e32 v14, v15
	v_cndmask_b32_e32 v0, v27, v0, vcc
	v_cmp_ngt_f32_e32 vcc, s1, v3
	v_cndmask_b32_e32 v4, 0, v4, vcc
	v_cmp_nlt_f32_e32 vcc, s0, v3
	v_cndmask_b32_e32 v3, v27, v4, vcc
	v_ldexp_f32 v4, v5, v14
	v_cmp_ngt_f32_e32 vcc, s1, v2
	v_cndmask_b32_e32 v4, 0, v4, vcc
	v_cmp_nlt_f32_e32 vcc, s0, v2
	v_cndmask_b32_e32 v2, v27, v4, vcc
	v_max_f32_e32 v4, v7, v7
	v_max_f32_e32 v15, v4, v28
	v_max_f32_e32 v4, v6, v6
	v_max_f32_e32 v14, v4, v29
	v_pk_add_f32 v[4:5], v[6:7], v[14:15] neg_lo:[0,1] neg_hi:[0,1]
	v_mul_f32_e32 v6, 0x3fb8aa3b, v5
	v_fma_f32 v7, v5, s6, -v6
	v_rndne_f32_e32 v28, v6
	v_cvt_f16_f32_e32 v31, v1
	v_fmac_f32_e32 v7, 0x32a5705f, v5
	v_sub_f32_e32 v6, v6, v28
	v_pk_fma_f32 v[18:19], v[18:19], v[0:1], v[2:3]
	v_mul_f32_e32 v1, 0x3fb8aa3b, v4
	v_add_f32_e32 v6, v6, v7
	v_fma_f32 v2, v4, s6, -v1
	v_rndne_f32_e32 v3, v1
	v_exp_f32_e32 v6, v6
	v_cvt_i32_f32_e32 v7, v28
	v_fmac_f32_e32 v2, 0x32a5705f, v4
	v_sub_f32_e32 v1, v1, v3
	v_add_f32_e32 v1, v1, v2
	v_exp_f32_e32 v2, v1
	v_cvt_i32_f32_e32 v3, v3
	v_cvt_f16_f32_e32 v30, v0
	v_ldexp_f32 v0, v6, v7
	v_cmp_ngt_f32_e32 vcc, s1, v5
	v_cndmask_b32_e32 v0, 0, v0, vcc
	v_cmp_nlt_f32_e32 vcc, s0, v5
	v_cndmask_b32_e32 v1, v27, v0, vcc
	v_ldexp_f32 v0, v2, v3
	v_pk_add_f32 v[2:3], v[24:25], v[14:15] neg_lo:[0,1] neg_hi:[0,1]
	v_mul_f32_e32 v5, 0x3fb8aa3b, v3
	v_fma_f32 v6, v3, s6, -v5
	v_rndne_f32_e32 v7, v5
	v_fmac_f32_e32 v6, 0x32a5705f, v3
	v_sub_f32_e32 v5, v5, v7
	v_add_f32_e32 v5, v5, v6
	v_exp_f32_e32 v5, v5
	v_cvt_i32_f32_e32 v6, v7
	v_cmp_ngt_f32_e32 vcc, s1, v4
	v_cndmask_b32_e32 v0, 0, v0, vcc
	v_cmp_nlt_f32_e32 vcc, s0, v4
	v_ldexp_f32 v4, v5, v6
	v_mul_f32_e32 v5, 0x3fb8aa3b, v2
	v_fma_f32 v6, v2, s6, -v5
	v_rndne_f32_e32 v7, v5
	v_fmac_f32_e32 v6, 0x32a5705f, v2
	v_sub_f32_e32 v5, v5, v7
	v_add_f32_e32 v5, v5, v6
	v_exp_f32_e32 v5, v5
	v_cvt_i32_f32_e32 v6, v7
	v_cndmask_b32_e32 v0, v27, v0, vcc
	v_cmp_ngt_f32_e32 vcc, s1, v3
	v_cndmask_b32_e32 v4, 0, v4, vcc
	v_cmp_nlt_f32_e32 vcc, s0, v3
	v_cndmask_b32_e32 v3, v27, v4, vcc
	v_ldexp_f32 v4, v5, v6
	v_cvt_f16_f32_e32 v5, v0
	v_cvt_f16_f32_e32 v6, v1
	v_cmp_ngt_f32_e32 vcc, s1, v2
	v_cndmask_b32_e32 v4, 0, v4, vcc
	v_cmp_nlt_f32_e32 vcc, s0, v2
	v_cndmask_b32_e32 v2, v27, v4, vcc
	v_pk_fma_f32 v[16:17], v[16:17], v[0:1], v[2:3]
	v_pk_mul_f16 v121, v121, v5 op_sel_hi:[1,0]
	v_pk_mul_f16 v119, v119, v6 op_sel_hi:[1,0]
	v_pk_mov_b32 v[0:1], v[8:9], v[8:9] op_sel:[0,1]
	v_pk_mul_f16 v118, v118, v30 op_sel_hi:[1,0]
	v_pk_mul_f16 v117, v117, v31 op_sel_hi:[1,0]
	v_pk_mov_b32 v[2:3], v[10:11], v[10:11] op_sel:[0,1]
	v_pk_mov_b32 v[4:5], v[12:13], v[12:13] op_sel:[0,1]
	;; [unrolled: 1-line block ×3, first 2 shown]
.LBB33_12:
	v_cmp_gt_i32_e32 vcc, s2, v86
	s_and_saveexec_b64 s[0:1], vcc
	s_cbranch_execz .LBB33_51
; %bb.13:
	s_load_dword s6, s[4:5], 0xd4
	v_mov_b32_e32 v8, 1.0
	s_waitcnt lgkmcnt(0)
	s_cmp_lg_u32 s6, 1
	s_cselect_b64 s[4:5], -1, 0
	s_cmp_eq_u32 s6, 1
	s_cselect_b64 s[8:9], -1, 0
	s_and_b64 vcc, exec, s[4:5]
	s_cbranch_vccnz .LBB33_15
; %bb.14:
	v_div_scale_f32 v8, s[0:1], v22, v22, 1.0
	v_rcp_f32_e32 v9, v8
	v_div_scale_f32 v10, vcc, 1.0, v22, 1.0
	v_fma_f32 v11, -v8, v9, 1.0
	v_fmac_f32_e32 v9, v11, v9
	v_mul_f32_e32 v11, v10, v9
	v_fma_f32 v12, -v8, v11, v10
	v_fmac_f32_e32 v11, v12, v9
	v_fma_f32 v8, -v8, v11, v10
	v_div_fmas_f32 v8, v8, v9, v11
	v_div_fixup_f32 v8, v8, v22, 1.0
.LBB33_15:
	s_mul_i32 s10, s33, s2
	s_add_i32 s10, s10, s14
	v_add_u32_e32 v9, s10, v84
	v_mul_lo_u32 v9, v9, s3
	v_add_u32_e32 v10, s28, v9
	v_mul_lo_u32 v10, s6, v10
	v_add_u32_e32 v10, s7, v10
	v_cvt_f32_f16_sdwa v15, v124 dst_sel:DWORD dst_unused:UNUSED_PAD src0_sel:WORD_1
	v_cvt_f32_f16_e32 v14, v124
	v_lshl_add_u32 v12, v10, 6, v26
	v_mov_b32_e32 v13, 0
	v_lshlrev_b64 v[12:13], 2, v[12:13]
	v_cmp_eq_u32_e32 vcc, 0, v85
	v_mov_b32_e32 v11, s21
	v_add_co_u32_e64 v12, s[0:1], s20, v12
	v_addc_co_u32_e64 v13, s[0:1], v11, v13, s[0:1]
	v_pk_mul_f32 v[14:15], v[8:9], v[14:15] op_sel_hi:[0,1]
	s_and_b64 s[4:5], vcc, s[4:5]
	global_store_dwordx2 v[12:13], v[14:15], off
	s_and_saveexec_b64 s[0:1], s[4:5]
	s_cbranch_execz .LBB33_17
; %bb.16:
	v_ashrrev_i32_e32 v11, 31, v10
	v_lshlrev_b64 v[10:11], 3, v[10:11]
	v_mov_b32_e32 v8, s23
	v_add_co_u32_e32 v10, vcc, s22, v10
	v_addc_co_u32_e32 v11, vcc, v8, v11, vcc
	v_mov_b32_e32 v12, v0
	v_mov_b32_e32 v13, v22
	global_store_dwordx2 v[10:11], v[12:13], off
.LBB33_17:
	s_or_b64 exec, exec, s[0:1]
	v_cndmask_b32_e64 v0, 0, 1, s[8:9]
	v_cmp_ne_u32_e64 s[0:1], 1, v0
	s_andn2_b64 vcc, exec, s[8:9]
	v_mov_b32_e32 v0, 1.0
	s_cbranch_vccnz .LBB33_19
; %bb.18:
	v_div_scale_f32 v0, s[8:9], v23, v23, 1.0
	v_rcp_f32_e32 v8, v0
	v_div_scale_f32 v10, vcc, 1.0, v23, 1.0
	v_fma_f32 v11, -v0, v8, 1.0
	v_fmac_f32_e32 v8, v11, v8
	v_mul_f32_e32 v11, v10, v8
	v_fma_f32 v12, -v0, v11, v10
	v_fmac_f32_e32 v11, v12, v8
	v_fma_f32 v0, -v0, v11, v10
	v_div_fmas_f32 v0, v0, v8, v11
	v_div_fixup_f32 v0, v0, v23, 1.0
.LBB33_19:
	s_add_i32 s11, s28, 1
	v_add_u32_e32 v8, s11, v9
	v_mul_lo_u32 v8, s6, v8
	v_add_u32_e32 v8, s7, v8
	v_cvt_f32_f16_sdwa v13, v123 dst_sel:DWORD dst_unused:UNUSED_PAD src0_sel:WORD_1
	v_cvt_f32_f16_e32 v12, v123
	v_lshl_add_u32 v10, v8, 6, v26
	v_mov_b32_e32 v11, 0
	v_lshlrev_b64 v[10:11], 2, v[10:11]
	v_mov_b32_e32 v9, s21
	v_add_co_u32_e32 v10, vcc, s20, v10
	v_addc_co_u32_e32 v11, vcc, v9, v11, vcc
	v_pk_mul_f32 v[12:13], v[0:1], v[12:13] op_sel_hi:[0,1]
	global_store_dwordx2 v[10:11], v[12:13], off
	s_and_saveexec_b64 s[8:9], s[4:5]
	s_cbranch_execz .LBB33_21
; %bb.20:
	v_ashrrev_i32_e32 v9, 31, v8
	v_lshlrev_b64 v[8:9], 3, v[8:9]
	v_mov_b32_e32 v0, s23
	v_add_co_u32_e32 v8, vcc, s22, v8
	v_addc_co_u32_e32 v9, vcc, v0, v9, vcc
	v_mov_b32_e32 v22, v1
	global_store_dwordx2 v[8:9], v[22:23], off
.LBB33_21:
	s_or_b64 exec, exec, s[8:9]
	v_cmp_gt_i32_e32 vcc, s2, v83
	s_and_b64 exec, exec, vcc
	s_cbranch_execz .LBB33_51
; %bb.22:
	s_and_b64 vcc, exec, s[0:1]
	v_mov_b32_e32 v0, 1.0
	s_cbranch_vccnz .LBB33_24
; %bb.23:
	v_div_scale_f32 v0, s[8:9], v20, v20, 1.0
	v_rcp_f32_e32 v1, v0
	v_div_scale_f32 v8, vcc, 1.0, v20, 1.0
	v_fma_f32 v9, -v0, v1, 1.0
	v_fmac_f32_e32 v1, v9, v1
	v_mul_f32_e32 v9, v8, v1
	v_fma_f32 v10, -v0, v9, v8
	v_fmac_f32_e32 v9, v10, v1
	v_fma_f32 v0, -v0, v9, v8
	v_div_fmas_f32 v0, v0, v1, v9
	v_div_fixup_f32 v0, v0, v20, 1.0
.LBB33_24:
	v_add_u32_e32 v1, s10, v82
	v_mul_lo_u32 v1, v1, s3
	v_add_u32_e32 v1, s28, v1
	v_mul_lo_u32 v1, s6, v1
	v_add_u32_e32 v8, s7, v1
	v_cvt_f32_f16_sdwa v13, v122 dst_sel:DWORD dst_unused:UNUSED_PAD src0_sel:WORD_1
	v_cvt_f32_f16_e32 v12, v122
	v_lshl_add_u32 v10, v8, 6, v26
	v_mov_b32_e32 v11, 0
	v_lshlrev_b64 v[10:11], 2, v[10:11]
	v_mov_b32_e32 v1, s21
	v_add_co_u32_e32 v10, vcc, s20, v10
	v_addc_co_u32_e32 v11, vcc, v1, v11, vcc
	v_pk_mul_f32 v[0:1], v[0:1], v[12:13] op_sel_hi:[0,1]
	global_store_dwordx2 v[10:11], v[0:1], off
	s_and_saveexec_b64 s[8:9], s[4:5]
	s_cbranch_execz .LBB33_26
; %bb.25:
	v_ashrrev_i32_e32 v9, 31, v8
	v_lshlrev_b64 v[0:1], 3, v[8:9]
	v_mov_b32_e32 v8, s23
	v_add_co_u32_e32 v0, vcc, s22, v0
	v_addc_co_u32_e32 v1, vcc, v8, v1, vcc
	v_mov_b32_e32 v8, v2
	v_mov_b32_e32 v9, v20
	global_store_dwordx2 v[0:1], v[8:9], off
.LBB33_26:
	s_or_b64 exec, exec, s[8:9]
	v_cmp_gt_i32_e32 vcc, s2, v81
	s_and_b64 exec, exec, vcc
	s_cbranch_execz .LBB33_51
; %bb.27:
	s_and_b64 vcc, exec, s[0:1]
	v_mov_b32_e32 v0, 1.0
	s_cbranch_vccnz .LBB33_29
; %bb.28:
	v_div_scale_f32 v0, s[8:9], v21, v21, 1.0
	v_rcp_f32_e32 v1, v0
	v_div_scale_f32 v2, vcc, 1.0, v21, 1.0
	v_fma_f32 v8, -v0, v1, 1.0
	v_fmac_f32_e32 v1, v8, v1
	v_mul_f32_e32 v8, v2, v1
	v_fma_f32 v9, -v0, v8, v2
	v_fmac_f32_e32 v8, v9, v1
	v_fma_f32 v0, -v0, v8, v2
	v_div_fmas_f32 v0, v0, v1, v8
	v_div_fixup_f32 v0, v0, v21, 1.0
.LBB33_29:
	v_add_u32_e32 v1, s10, v80
	v_mul_lo_u32 v1, v1, s3
	v_add_u32_e32 v1, s11, v1
	v_mul_lo_u32 v1, s6, v1
	v_add_u32_e32 v8, s7, v1
	v_cvt_f32_f16_sdwa v13, v120 dst_sel:DWORD dst_unused:UNUSED_PAD src0_sel:WORD_1
	v_cvt_f32_f16_e32 v12, v120
	v_lshl_add_u32 v10, v8, 6, v26
	v_mov_b32_e32 v11, 0
	v_lshlrev_b64 v[10:11], 2, v[10:11]
	v_mov_b32_e32 v1, s21
	v_add_co_u32_e32 v10, vcc, s20, v10
	v_addc_co_u32_e32 v11, vcc, v1, v11, vcc
	v_pk_mul_f32 v[0:1], v[0:1], v[12:13] op_sel_hi:[0,1]
	global_store_dwordx2 v[10:11], v[0:1], off
	s_and_saveexec_b64 s[8:9], s[4:5]
	s_cbranch_execz .LBB33_31
; %bb.30:
	v_ashrrev_i32_e32 v9, 31, v8
	v_lshlrev_b64 v[0:1], 3, v[8:9]
	v_mov_b32_e32 v2, s23
	v_add_co_u32_e32 v0, vcc, s22, v0
	v_addc_co_u32_e32 v1, vcc, v2, v1, vcc
	v_mov_b32_e32 v20, v3
	global_store_dwordx2 v[0:1], v[20:21], off
.LBB33_31:
	s_or_b64 exec, exec, s[8:9]
	v_cmp_gt_i32_e32 vcc, s2, v79
	s_and_b64 exec, exec, vcc
	s_cbranch_execz .LBB33_51
; %bb.32:
	s_and_b64 vcc, exec, s[0:1]
	v_mov_b32_e32 v0, 1.0
	s_cbranch_vccnz .LBB33_34
; %bb.33:
	v_div_scale_f32 v0, s[8:9], v18, v18, 1.0
	v_rcp_f32_e32 v1, v0
	v_div_scale_f32 v2, vcc, 1.0, v18, 1.0
	v_fma_f32 v3, -v0, v1, 1.0
	v_fmac_f32_e32 v1, v3, v1
	v_mul_f32_e32 v3, v2, v1
	v_fma_f32 v8, -v0, v3, v2
	v_fmac_f32_e32 v3, v8, v1
	v_fma_f32 v0, -v0, v3, v2
	v_div_fmas_f32 v0, v0, v1, v3
	v_div_fixup_f32 v0, v0, v18, 1.0
.LBB33_34:
	v_add_u32_e32 v1, s10, v78
	v_mul_lo_u32 v1, v1, s3
	v_add_u32_e32 v1, s28, v1
	v_mul_lo_u32 v1, s6, v1
	v_add_u32_e32 v2, s7, v1
	v_cvt_f32_f16_sdwa v11, v118 dst_sel:DWORD dst_unused:UNUSED_PAD src0_sel:WORD_1
	v_cvt_f32_f16_e32 v10, v118
	v_lshl_add_u32 v8, v2, 6, v26
	v_mov_b32_e32 v9, 0
	v_lshlrev_b64 v[8:9], 2, v[8:9]
	v_mov_b32_e32 v1, s21
	v_add_co_u32_e32 v8, vcc, s20, v8
	v_addc_co_u32_e32 v9, vcc, v1, v9, vcc
	v_pk_mul_f32 v[0:1], v[0:1], v[10:11] op_sel_hi:[0,1]
	global_store_dwordx2 v[8:9], v[0:1], off
	s_and_saveexec_b64 s[8:9], s[4:5]
	s_cbranch_execz .LBB33_36
; %bb.35:
	v_ashrrev_i32_e32 v3, 31, v2
	v_lshlrev_b64 v[0:1], 3, v[2:3]
	v_mov_b32_e32 v2, s23
	v_add_co_u32_e32 v0, vcc, s22, v0
	v_addc_co_u32_e32 v1, vcc, v2, v1, vcc
	v_mov_b32_e32 v2, v4
	v_mov_b32_e32 v3, v18
	global_store_dwordx2 v[0:1], v[2:3], off
.LBB33_36:
	s_or_b64 exec, exec, s[8:9]
	v_cmp_gt_i32_e32 vcc, s2, v77
	s_and_b64 exec, exec, vcc
	s_cbranch_execz .LBB33_51
; %bb.37:
	s_and_b64 vcc, exec, s[0:1]
	v_mov_b32_e32 v0, 1.0
	s_cbranch_vccnz .LBB33_39
; %bb.38:
	v_div_scale_f32 v0, s[8:9], v19, v19, 1.0
	v_rcp_f32_e32 v1, v0
	v_div_scale_f32 v2, vcc, 1.0, v19, 1.0
	v_fma_f32 v3, -v0, v1, 1.0
	v_fmac_f32_e32 v1, v3, v1
	v_mul_f32_e32 v3, v2, v1
	v_fma_f32 v4, -v0, v3, v2
	v_fmac_f32_e32 v3, v4, v1
	v_fma_f32 v0, -v0, v3, v2
	v_div_fmas_f32 v0, v0, v1, v3
	v_div_fixup_f32 v0, v0, v19, 1.0
.LBB33_39:
	v_add_u32_e32 v1, s10, v76
	v_mul_lo_u32 v1, v1, s3
	v_add_u32_e32 v1, s11, v1
	v_mul_lo_u32 v1, s6, v1
	v_add_u32_e32 v2, s7, v1
	v_cvt_f32_f16_sdwa v11, v117 dst_sel:DWORD dst_unused:UNUSED_PAD src0_sel:WORD_1
	v_cvt_f32_f16_e32 v10, v117
	v_lshl_add_u32 v8, v2, 6, v26
	v_mov_b32_e32 v9, 0
	v_lshlrev_b64 v[8:9], 2, v[8:9]
	v_mov_b32_e32 v1, s21
	v_add_co_u32_e32 v8, vcc, s20, v8
	v_addc_co_u32_e32 v9, vcc, v1, v9, vcc
	v_pk_mul_f32 v[0:1], v[0:1], v[10:11] op_sel_hi:[0,1]
	global_store_dwordx2 v[8:9], v[0:1], off
	s_and_saveexec_b64 s[8:9], s[4:5]
	s_cbranch_execz .LBB33_41
; %bb.40:
	v_ashrrev_i32_e32 v3, 31, v2
	v_lshlrev_b64 v[0:1], 3, v[2:3]
	v_mov_b32_e32 v2, s23
	v_add_co_u32_e32 v0, vcc, s22, v0
	v_addc_co_u32_e32 v1, vcc, v2, v1, vcc
	v_mov_b32_e32 v18, v5
	global_store_dwordx2 v[0:1], v[18:19], off
.LBB33_41:
	s_or_b64 exec, exec, s[8:9]
	v_cmp_gt_i32_e32 vcc, s2, v75
	s_and_b64 exec, exec, vcc
	s_cbranch_execz .LBB33_51
; %bb.42:
	s_and_b64 vcc, exec, s[0:1]
	v_mov_b32_e32 v0, 1.0
	s_cbranch_vccnz .LBB33_44
; %bb.43:
	v_div_scale_f32 v0, s[8:9], v16, v16, 1.0
	v_rcp_f32_e32 v1, v0
	v_div_scale_f32 v2, vcc, 1.0, v16, 1.0
	v_fma_f32 v3, -v0, v1, 1.0
	v_fmac_f32_e32 v1, v3, v1
	v_mul_f32_e32 v3, v2, v1
	v_fma_f32 v4, -v0, v3, v2
	v_fmac_f32_e32 v3, v4, v1
	v_fma_f32 v0, -v0, v3, v2
	v_div_fmas_f32 v0, v0, v1, v3
	v_div_fixup_f32 v0, v0, v16, 1.0
.LBB33_44:
	v_add_u32_e32 v1, s10, v74
	v_mul_lo_u32 v1, v1, s3
	v_add_u32_e32 v1, s28, v1
	v_mul_lo_u32 v1, s6, v1
	v_add_u32_e32 v2, s7, v1
	v_cvt_f32_f16_sdwa v9, v121 dst_sel:DWORD dst_unused:UNUSED_PAD src0_sel:WORD_1
	v_cvt_f32_f16_e32 v8, v121
	v_lshl_add_u32 v4, v2, 6, v26
	v_mov_b32_e32 v5, 0
	v_lshlrev_b64 v[4:5], 2, v[4:5]
	v_mov_b32_e32 v1, s21
	v_add_co_u32_e32 v4, vcc, s20, v4
	v_addc_co_u32_e32 v5, vcc, v1, v5, vcc
	v_pk_mul_f32 v[0:1], v[0:1], v[8:9] op_sel_hi:[0,1]
	global_store_dwordx2 v[4:5], v[0:1], off
	s_and_saveexec_b64 s[8:9], s[4:5]
	s_cbranch_execz .LBB33_46
; %bb.45:
	v_ashrrev_i32_e32 v3, 31, v2
	v_lshlrev_b64 v[0:1], 3, v[2:3]
	v_mov_b32_e32 v2, s23
	v_add_co_u32_e32 v0, vcc, s22, v0
	v_addc_co_u32_e32 v1, vcc, v2, v1, vcc
	v_mov_b32_e32 v2, v6
	v_mov_b32_e32 v3, v16
	global_store_dwordx2 v[0:1], v[2:3], off
.LBB33_46:
	s_or_b64 exec, exec, s[8:9]
	v_cmp_gt_i32_e32 vcc, s2, v73
	s_and_b64 exec, exec, vcc
	s_cbranch_execz .LBB33_51
; %bb.47:
	s_and_b64 vcc, exec, s[0:1]
	v_mov_b32_e32 v0, 1.0
	s_cbranch_vccnz .LBB33_49
; %bb.48:
	v_div_scale_f32 v0, s[0:1], v17, v17, 1.0
	v_rcp_f32_e32 v1, v0
	v_div_scale_f32 v2, vcc, 1.0, v17, 1.0
	v_fma_f32 v3, -v0, v1, 1.0
	v_fmac_f32_e32 v1, v3, v1
	v_mul_f32_e32 v3, v2, v1
	v_fma_f32 v4, -v0, v3, v2
	v_fmac_f32_e32 v3, v4, v1
	v_fma_f32 v0, -v0, v3, v2
	v_div_fmas_f32 v0, v0, v1, v3
	v_div_fixup_f32 v0, v0, v17, 1.0
.LBB33_49:
	v_add_u32_e32 v1, s10, v72
	v_mul_lo_u32 v1, v1, s3
	v_add_u32_e32 v1, s11, v1
	v_mul_lo_u32 v1, s6, v1
	v_add_u32_e32 v2, s7, v1
	v_cvt_f32_f16_sdwa v9, v119 dst_sel:DWORD dst_unused:UNUSED_PAD src0_sel:WORD_1
	v_cvt_f32_f16_e32 v8, v119
	v_lshl_add_u32 v4, v2, 6, v26
	v_mov_b32_e32 v5, 0
	v_lshlrev_b64 v[4:5], 2, v[4:5]
	v_mov_b32_e32 v1, s21
	v_add_co_u32_e32 v4, vcc, s20, v4
	v_addc_co_u32_e32 v5, vcc, v1, v5, vcc
	v_pk_mul_f32 v[0:1], v[0:1], v[8:9] op_sel_hi:[0,1]
	global_store_dwordx2 v[4:5], v[0:1], off
	s_and_b64 exec, exec, s[4:5]
	s_cbranch_execz .LBB33_51
; %bb.50:
	v_ashrrev_i32_e32 v3, 31, v2
	v_lshlrev_b64 v[0:1], 3, v[2:3]
	v_mov_b32_e32 v2, s23
	v_add_co_u32_e32 v0, vcc, s22, v0
	v_addc_co_u32_e32 v1, vcc, v2, v1, vcc
	v_mov_b32_e32 v16, v7
	global_store_dwordx2 v[0:1], v[16:17], off
.LBB33_51:
	s_endpgm
	.section	.rodata,"a",@progbits
	.p2align	6, 0x0
	.amdhsa_kernel _ZL15flash_attn_tileILi64ELi64ELi32ELi2ELb0EEvPKcS1_S1_S1_S1_PKiPfP15HIP_vector_typeIfLj2EEffffjfiS5_IjLj3EEiiiiiiiiiiiliiliiiiil
		.amdhsa_group_segment_fixed_size 25600
		.amdhsa_private_segment_fixed_size 0
		.amdhsa_kernarg_size 464
		.amdhsa_user_sgpr_count 6
		.amdhsa_user_sgpr_private_segment_buffer 1
		.amdhsa_user_sgpr_dispatch_ptr 0
		.amdhsa_user_sgpr_queue_ptr 0
		.amdhsa_user_sgpr_kernarg_segment_ptr 1
		.amdhsa_user_sgpr_dispatch_id 0
		.amdhsa_user_sgpr_flat_scratch_init 0
		.amdhsa_user_sgpr_kernarg_preload_length 0
		.amdhsa_user_sgpr_kernarg_preload_offset 0
		.amdhsa_user_sgpr_private_segment_size 0
		.amdhsa_uses_dynamic_stack 0
		.amdhsa_system_sgpr_private_segment_wavefront_offset 0
		.amdhsa_system_sgpr_workgroup_id_x 1
		.amdhsa_system_sgpr_workgroup_id_y 1
		.amdhsa_system_sgpr_workgroup_id_z 1
		.amdhsa_system_sgpr_workgroup_info 0
		.amdhsa_system_vgpr_workitem_id 1
		.amdhsa_next_free_vgpr 142
		.amdhsa_next_free_sgpr 41
		.amdhsa_accum_offset 144
		.amdhsa_reserve_vcc 1
		.amdhsa_reserve_flat_scratch 0
		.amdhsa_float_round_mode_32 0
		.amdhsa_float_round_mode_16_64 0
		.amdhsa_float_denorm_mode_32 3
		.amdhsa_float_denorm_mode_16_64 3
		.amdhsa_dx10_clamp 1
		.amdhsa_ieee_mode 1
		.amdhsa_fp16_overflow 0
		.amdhsa_tg_split 0
		.amdhsa_exception_fp_ieee_invalid_op 0
		.amdhsa_exception_fp_denorm_src 0
		.amdhsa_exception_fp_ieee_div_zero 0
		.amdhsa_exception_fp_ieee_overflow 0
		.amdhsa_exception_fp_ieee_underflow 0
		.amdhsa_exception_fp_ieee_inexact 0
		.amdhsa_exception_int_div_zero 0
	.end_amdhsa_kernel
	.section	.text._ZL15flash_attn_tileILi64ELi64ELi32ELi2ELb0EEvPKcS1_S1_S1_S1_PKiPfP15HIP_vector_typeIfLj2EEffffjfiS5_IjLj3EEiiiiiiiiiiiliiliiiiil,"axG",@progbits,_ZL15flash_attn_tileILi64ELi64ELi32ELi2ELb0EEvPKcS1_S1_S1_S1_PKiPfP15HIP_vector_typeIfLj2EEffffjfiS5_IjLj3EEiiiiiiiiiiiliiliiiiil,comdat
.Lfunc_end33:
	.size	_ZL15flash_attn_tileILi64ELi64ELi32ELi2ELb0EEvPKcS1_S1_S1_S1_PKiPfP15HIP_vector_typeIfLj2EEffffjfiS5_IjLj3EEiiiiiiiiiiiliiliiiiil, .Lfunc_end33-_ZL15flash_attn_tileILi64ELi64ELi32ELi2ELb0EEvPKcS1_S1_S1_S1_PKiPfP15HIP_vector_typeIfLj2EEffffjfiS5_IjLj3EEiiiiiiiiiiiliiliiiiil
                                        ; -- End function
	.section	.AMDGPU.csdata,"",@progbits
; Kernel info:
; codeLenInByte = 20392
; NumSgprs: 45
; NumVgprs: 142
; NumAgprs: 0
; TotalNumVgprs: 142
; ScratchSize: 0
; MemoryBound: 0
; FloatMode: 240
; IeeeMode: 1
; LDSByteSize: 25600 bytes/workgroup (compile time only)
; SGPRBlocks: 5
; VGPRBlocks: 17
; NumSGPRsForWavesPerEU: 45
; NumVGPRsForWavesPerEU: 142
; AccumOffset: 144
; Occupancy: 2
; WaveLimiterHint : 1
; COMPUTE_PGM_RSRC2:SCRATCH_EN: 0
; COMPUTE_PGM_RSRC2:USER_SGPR: 6
; COMPUTE_PGM_RSRC2:TRAP_HANDLER: 0
; COMPUTE_PGM_RSRC2:TGID_X_EN: 1
; COMPUTE_PGM_RSRC2:TGID_Y_EN: 1
; COMPUTE_PGM_RSRC2:TGID_Z_EN: 1
; COMPUTE_PGM_RSRC2:TIDIG_COMP_CNT: 1
; COMPUTE_PGM_RSRC3_GFX90A:ACCUM_OFFSET: 35
; COMPUTE_PGM_RSRC3_GFX90A:TG_SPLIT: 0
	.section	.text._ZL25flash_attn_mask_to_KV_maxILi32EEvPK7__half2Piiii,"axG",@progbits,_ZL25flash_attn_mask_to_KV_maxILi32EEvPK7__half2Piiii,comdat
	.globl	_ZL25flash_attn_mask_to_KV_maxILi32EEvPK7__half2Piiii ; -- Begin function _ZL25flash_attn_mask_to_KV_maxILi32EEvPK7__half2Piiii
	.p2align	8
	.type	_ZL25flash_attn_mask_to_KV_maxILi32EEvPK7__half2Piiii,@function
_ZL25flash_attn_mask_to_KV_maxILi32EEvPK7__half2Piiii: ; @_ZL25flash_attn_mask_to_KV_maxILi32EEvPK7__half2Piiii
; %bb.0:
	s_load_dwordx4 s[8:11], s[4:5], 0x0
	v_cmp_gt_u32_e32 vcc, 32, v0
	s_and_saveexec_b64 s[0:1], vcc
	s_cbranch_execz .LBB34_2
; %bb.1:
	v_lshlrev_b32_e32 v1, 2, v0
	v_mov_b32_e32 v2, 1
	ds_write_b32 v1, v2
.LBB34_2:
	s_or_b64 exec, exec, s[0:1]
	s_load_dwordx4 s[12:15], s[4:5], 0x10
	s_load_dword s33, s[4:5], 0x20
	v_and_b32_e32 v2, 31, v0
	v_lshlrev_b32_e32 v6, 2, v2
	v_lshrrev_b32_e32 v1, 3, v0
	s_waitcnt lgkmcnt(0)
	s_mul_i32 s1, s6, s13
	s_mul_i32 s0, s7, s14
	s_lshl_b32 s1, s1, 5
	s_add_i32 s0, s0, s1
	s_ashr_i32 s1, s0, 31
	s_lshl_b64 s[0:1], s[0:1], 2
	s_add_u32 s94, s8, s0
	s_addc_u32 s95, s9, s1
	v_cmp_eq_u32_e64 s[0:1], 0, v2
	v_mbcnt_lo_u32_b32 v2, -1, 0
	s_lshl_b32 s12, s12, 8
	s_mov_b64 s[4:5], 0
	v_mov_b32_e32 v3, 0
	s_movk_i32 s92, 0x204
	s_movk_i32 s93, 0x7fff
	;; [unrolled: 1-line block ×3, first 2 shown]
	v_mbcnt_hi_u32_b32 v7, -1, v2
	s_barrier
	s_waitcnt lgkmcnt(0)
                                        ; implicit-def: $sgpr2_sgpr3
	s_branch .LBB34_5
.LBB34_3:                               ;   in Loop: Header=BB34_5 Depth=1
	s_or_b64 exec, exec, s[8:9]
	s_waitcnt lgkmcnt(0)
	s_barrier
	ds_read_b32 v10, v6
	s_waitcnt lgkmcnt(0)
	s_barrier
	ds_bpermute_b32 v2, v2, v10
	v_cmp_ne_u32_e32 vcc, 0, v10
	s_waitcnt lgkmcnt(0)
	v_cmp_ne_u32_e64 s[2:3], 0, v2
	s_and_b64 s[2:3], vcc, s[2:3]
	v_cndmask_b32_e64 v2, 0, 1, s[2:3]
	ds_bpermute_b32 v2, v4, v2
	s_waitcnt lgkmcnt(0)
	v_cmp_ne_u32_e32 vcc, 0, v2
	s_and_b64 s[2:3], vcc, s[2:3]
	v_cndmask_b32_e64 v2, 0, 1, s[2:3]
	ds_bpermute_b32 v2, v5, v2
	s_waitcnt lgkmcnt(0)
	v_cmp_ne_u32_e32 vcc, 0, v2
	;; [unrolled: 5-line block ×3, first 2 shown]
	s_and_b64 s[2:3], vcc, s[2:3]
	v_cndmask_b32_e64 v2, 0, 1, s[2:3]
	ds_bpermute_b32 v2, v9, v2
	s_xor_b64 s[2:3], s[2:3], -1
	s_waitcnt lgkmcnt(0)
	v_cmp_eq_u32_e32 vcc, 0, v2
	s_or_b64 s[2:3], vcc, s[2:3]
.LBB34_4:                               ;   in Loop: Header=BB34_5 Depth=1
	s_and_b64 s[8:9], exec, s[2:3]
	s_or_b64 s[4:5], s[8:9], s[4:5]
	v_mov_b32_e32 v2, s12
	s_mov_b32 s12, s91
	s_andn2_b64 exec, exec, s[4:5]
	s_cbranch_execz .LBB34_132
.LBB34_5:                               ; =>This Inner Loop Header: Depth=1
	s_add_i32 s91, s12, 0xffffff00
	s_or_b64 s[2:3], s[2:3], exec
	s_cmp_lt_i32 s91, 0
	s_cbranch_scc1 .LBB34_4
; %bb.6:                                ;   in Loop: Header=BB34_5 Depth=1
	s_lshr_b32 s2, s91, 1
	v_add_u32_e32 v2, s2, v0
	v_lshlrev_b64 v[4:5], 2, v[2:3]
	v_mov_b32_e32 v8, s95
	v_add_co_u32_e32 v4, vcc, s94, v4
	v_addc_co_u32_e32 v5, vcc, v8, v5, vcc
	global_load_dword v4, v[4:5], off
	s_mov_b64 s[8:9], 0
	s_waitcnt vmcnt(0)
	v_cmp_class_f16_e64 s[2:3], v4, s92
	v_and_b32_sdwa v4, s93, v4 dst_sel:DWORD dst_unused:UNUSED_PAD src0_sel:DWORD src1_sel:WORD_1
	v_cmp_eq_f16_e32 vcc, s90, v4
	s_and_b64 s[14:15], s[2:3], vcc
	s_and_saveexec_b64 s[2:3], s[14:15]
	s_cbranch_execz .LBB34_130
; %bb.7:                                ;   in Loop: Header=BB34_5 Depth=1
	v_add_u32_e32 v4, s13, v2
	v_ashrrev_i32_e32 v5, 31, v4
	v_lshlrev_b64 v[8:9], 2, v[4:5]
	v_mov_b32_e32 v2, s95
	v_add_co_u32_e32 v8, vcc, s94, v8
	v_addc_co_u32_e32 v9, vcc, v2, v9, vcc
	global_load_dword v2, v[8:9], off
	s_mov_b64 s[14:15], 0
	s_waitcnt vmcnt(0)
	v_cmp_class_f16_e64 s[16:17], v2, s92
	s_and_saveexec_b64 s[8:9], s[16:17]
	s_cbranch_execz .LBB34_129
; %bb.8:                                ;   in Loop: Header=BB34_5 Depth=1
	v_cmp_class_f16_sdwa s[18:19], v2, s92 src0_sel:WORD_1 src1_sel:DWORD
	s_mov_b64 s[16:17], 0
	s_and_saveexec_b64 s[14:15], s[18:19]
	s_cbranch_execz .LBB34_128
; %bb.9:                                ;   in Loop: Header=BB34_5 Depth=1
	v_add_u32_e32 v4, s13, v4
	v_ashrrev_i32_e32 v5, 31, v4
	v_lshlrev_b64 v[8:9], 2, v[4:5]
	v_mov_b32_e32 v2, s95
	v_add_co_u32_e32 v8, vcc, s94, v8
	v_addc_co_u32_e32 v9, vcc, v2, v9, vcc
	global_load_dword v2, v[8:9], off
	s_mov_b64 s[18:19], 0
	s_waitcnt vmcnt(0)
	v_cmp_class_f16_e64 s[20:21], v2, s92
	s_and_saveexec_b64 s[16:17], s[20:21]
	s_cbranch_execz .LBB34_127
; %bb.10:                               ;   in Loop: Header=BB34_5 Depth=1
	v_cmp_class_f16_sdwa s[22:23], v2, s92 src0_sel:WORD_1 src1_sel:DWORD
	s_mov_b64 s[20:21], 0
	s_and_saveexec_b64 s[18:19], s[22:23]
	s_cbranch_execz .LBB34_126
; %bb.11:                               ;   in Loop: Header=BB34_5 Depth=1
	v_add_u32_e32 v4, s13, v4
	v_ashrrev_i32_e32 v5, 31, v4
	v_lshlrev_b64 v[8:9], 2, v[4:5]
	v_mov_b32_e32 v2, s95
	v_add_co_u32_e32 v8, vcc, s94, v8
	v_addc_co_u32_e32 v9, vcc, v2, v9, vcc
	global_load_dword v2, v[8:9], off
	s_mov_b64 s[22:23], 0
	s_waitcnt vmcnt(0)
	v_cmp_class_f16_e64 s[24:25], v2, s92
	s_and_saveexec_b64 s[20:21], s[24:25]
	s_cbranch_execz .LBB34_125
; %bb.12:                               ;   in Loop: Header=BB34_5 Depth=1
	v_cmp_class_f16_sdwa s[26:27], v2, s92 src0_sel:WORD_1 src1_sel:DWORD
	s_mov_b64 s[24:25], 0
	s_and_saveexec_b64 s[22:23], s[26:27]
	s_cbranch_execz .LBB34_124
; %bb.13:                               ;   in Loop: Header=BB34_5 Depth=1
	;; [unrolled: 18-line block ×17, first 2 shown]
	v_add_u32_e32 v4, s13, v4
	v_ashrrev_i32_e32 v5, 31, v4
	v_lshlrev_b64 v[8:9], 2, v[4:5]
	v_mov_b32_e32 v2, s95
	v_add_co_u32_e32 v8, vcc, s94, v8
	v_addc_co_u32_e32 v9, vcc, v2, v9, vcc
	global_load_dword v2, v[8:9], off
	s_mov_b64 s[88:89], 0
	s_waitcnt vmcnt(0)
	v_cmp_class_f16_e64 vcc, v2, s92
	s_mov_b64 s[86:87], exec
                                        ; implicit-def: $vgpr12 : SGPR spill to VGPR lane
	v_writelane_b32 v12, s86, 0
	s_and_b64 vcc, s[86:87], vcc
	v_writelane_b32 v12, s87, 1
	s_mov_b64 exec, vcc
	s_cbranch_execz .LBB34_93
; %bb.44:                               ;   in Loop: Header=BB34_5 Depth=1
	v_cmp_class_f16_sdwa s[88:89], v2, s92 src0_sel:WORD_1 src1_sel:DWORD
	s_mov_b64 vcc, 0
	s_mov_b64 s[86:87], exec
	v_writelane_b32 v12, s86, 2
	s_and_b64 s[88:89], s[86:87], s[88:89]
	v_writelane_b32 v12, s87, 3
	s_mov_b64 exec, s[88:89]
	s_cbranch_execz .LBB34_92
; %bb.45:                               ;   in Loop: Header=BB34_5 Depth=1
	v_add_u32_e32 v4, s13, v4
	v_ashrrev_i32_e32 v5, 31, v4
	v_lshlrev_b64 v[8:9], 2, v[4:5]
	v_mov_b32_e32 v2, s95
	v_add_co_u32_e32 v8, vcc, s94, v8
	v_addc_co_u32_e32 v9, vcc, v2, v9, vcc
	global_load_dword v2, v[8:9], off
	s_mov_b64 vcc, 0
	s_waitcnt vmcnt(0)
	v_cmp_class_f16_e64 s[88:89], v2, s92
	s_mov_b64 s[86:87], exec
	v_writelane_b32 v12, s86, 4
	s_and_b64 s[88:89], s[86:87], s[88:89]
	v_writelane_b32 v12, s87, 5
	s_mov_b64 exec, s[88:89]
	s_cbranch_execz .LBB34_91
; %bb.46:                               ;   in Loop: Header=BB34_5 Depth=1
	v_cmp_class_f16_sdwa s[88:89], v2, s92 src0_sel:WORD_1 src1_sel:DWORD
	s_mov_b64 vcc, 0
	s_mov_b64 s[86:87], exec
	v_writelane_b32 v12, s86, 6
	s_and_b64 s[88:89], s[86:87], s[88:89]
	v_writelane_b32 v12, s87, 7
	s_mov_b64 exec, s[88:89]
	s_cbranch_execz .LBB34_90
; %bb.47:                               ;   in Loop: Header=BB34_5 Depth=1
	v_add_u32_e32 v4, s13, v4
	v_ashrrev_i32_e32 v5, 31, v4
	v_lshlrev_b64 v[8:9], 2, v[4:5]
	v_mov_b32_e32 v2, s95
	v_add_co_u32_e32 v8, vcc, s94, v8
	v_addc_co_u32_e32 v9, vcc, v2, v9, vcc
	global_load_dword v2, v[8:9], off
	s_mov_b64 vcc, 0
	s_waitcnt vmcnt(0)
	v_cmp_class_f16_e64 s[88:89], v2, s92
	s_mov_b64 s[86:87], exec
	v_writelane_b32 v12, s86, 8
	s_and_b64 s[88:89], s[86:87], s[88:89]
	v_writelane_b32 v12, s87, 9
	s_mov_b64 exec, s[88:89]
	;; [unrolled: 26-line block ×11, first 2 shown]
	s_cbranch_execz .LBB34_71
; %bb.66:                               ;   in Loop: Header=BB34_5 Depth=1
	v_cmp_class_f16_sdwa s[88:89], v2, s92 src0_sel:WORD_1 src1_sel:DWORD
	s_mov_b64 vcc, 0
	s_mov_b64 s[86:87], exec
	v_writelane_b32 v12, s86, 46
	s_and_b64 s[88:89], s[86:87], s[88:89]
	v_writelane_b32 v12, s87, 47
	s_mov_b64 exec, s[88:89]
	s_cbranch_execz .LBB34_70
; %bb.67:                               ;   in Loop: Header=BB34_5 Depth=1
	v_add_u32_e32 v4, s13, v4
	v_ashrrev_i32_e32 v5, 31, v4
	v_lshlrev_b64 v[4:5], 2, v[4:5]
	v_mov_b32_e32 v2, s95
	v_add_co_u32_e32 v4, vcc, s94, v4
	v_addc_co_u32_e32 v5, vcc, v2, v5, vcc
	global_load_dword v2, v[4:5], off
	s_mov_b64 vcc, 0
	s_waitcnt vmcnt(0)
	v_cmp_class_f16_e64 s[88:89], v2, s92
	s_and_saveexec_b64 s[86:87], s[88:89]
; %bb.68:                               ;   in Loop: Header=BB34_5 Depth=1
	v_cmp_class_f16_sdwa s[88:89], v2, s92 src0_sel:WORD_1 src1_sel:DWORD
	s_and_b64 vcc, s[88:89], exec
; %bb.69:                               ;   in Loop: Header=BB34_5 Depth=1
	s_or_b64 exec, exec, s[86:87]
	s_and_b64 vcc, vcc, exec
.LBB34_70:                              ;   in Loop: Header=BB34_5 Depth=1
	v_readlane_b32 s88, v12, 46
	v_readlane_b32 s89, v12, 47
	s_or_b64 exec, exec, s[88:89]
	s_and_b64 vcc, vcc, exec
.LBB34_71:                              ;   in Loop: Header=BB34_5 Depth=1
	v_readlane_b32 s86, v12, 44
	v_readlane_b32 s87, v12, 45
	s_or_b64 exec, exec, s[86:87]
	s_and_b64 vcc, vcc, exec
.LBB34_72:                              ;   in Loop: Header=BB34_5 Depth=1
	v_readlane_b32 s88, v12, 42
	v_readlane_b32 s89, v12, 43
	s_or_b64 exec, exec, s[88:89]
	s_and_b64 vcc, vcc, exec
.LBB34_73:                              ;   in Loop: Header=BB34_5 Depth=1
	v_readlane_b32 s86, v12, 40
	v_readlane_b32 s87, v12, 41
	s_or_b64 exec, exec, s[86:87]
	s_and_b64 vcc, vcc, exec
.LBB34_74:                              ;   in Loop: Header=BB34_5 Depth=1
	v_readlane_b32 s88, v12, 38
	v_readlane_b32 s89, v12, 39
	s_or_b64 exec, exec, s[88:89]
	s_and_b64 vcc, vcc, exec
.LBB34_75:                              ;   in Loop: Header=BB34_5 Depth=1
	v_readlane_b32 s86, v12, 36
	v_readlane_b32 s87, v12, 37
	s_or_b64 exec, exec, s[86:87]
	s_and_b64 vcc, vcc, exec
.LBB34_76:                              ;   in Loop: Header=BB34_5 Depth=1
	v_readlane_b32 s88, v12, 34
	v_readlane_b32 s89, v12, 35
	s_or_b64 exec, exec, s[88:89]
	s_and_b64 vcc, vcc, exec
.LBB34_77:                              ;   in Loop: Header=BB34_5 Depth=1
	v_readlane_b32 s86, v12, 32
	v_readlane_b32 s87, v12, 33
	s_or_b64 exec, exec, s[86:87]
	s_and_b64 vcc, vcc, exec
.LBB34_78:                              ;   in Loop: Header=BB34_5 Depth=1
	v_readlane_b32 s88, v12, 30
	v_readlane_b32 s89, v12, 31
	s_or_b64 exec, exec, s[88:89]
	s_and_b64 vcc, vcc, exec
.LBB34_79:                              ;   in Loop: Header=BB34_5 Depth=1
	v_readlane_b32 s86, v12, 28
	v_readlane_b32 s87, v12, 29
	s_or_b64 exec, exec, s[86:87]
	s_and_b64 vcc, vcc, exec
.LBB34_80:                              ;   in Loop: Header=BB34_5 Depth=1
	v_readlane_b32 s88, v12, 26
	v_readlane_b32 s89, v12, 27
	s_or_b64 exec, exec, s[88:89]
	s_and_b64 vcc, vcc, exec
.LBB34_81:                              ;   in Loop: Header=BB34_5 Depth=1
	v_readlane_b32 s86, v12, 24
	v_readlane_b32 s87, v12, 25
	s_or_b64 exec, exec, s[86:87]
	s_and_b64 vcc, vcc, exec
.LBB34_82:                              ;   in Loop: Header=BB34_5 Depth=1
	v_readlane_b32 s88, v12, 22
	v_readlane_b32 s89, v12, 23
	s_or_b64 exec, exec, s[88:89]
	s_and_b64 vcc, vcc, exec
.LBB34_83:                              ;   in Loop: Header=BB34_5 Depth=1
	v_readlane_b32 s86, v12, 20
	v_readlane_b32 s87, v12, 21
	s_or_b64 exec, exec, s[86:87]
	s_and_b64 vcc, vcc, exec
.LBB34_84:                              ;   in Loop: Header=BB34_5 Depth=1
	v_readlane_b32 s88, v12, 18
	v_readlane_b32 s89, v12, 19
	s_or_b64 exec, exec, s[88:89]
	s_and_b64 vcc, vcc, exec
.LBB34_85:                              ;   in Loop: Header=BB34_5 Depth=1
	v_readlane_b32 s86, v12, 16
	v_readlane_b32 s87, v12, 17
	s_or_b64 exec, exec, s[86:87]
	s_and_b64 vcc, vcc, exec
.LBB34_86:                              ;   in Loop: Header=BB34_5 Depth=1
	v_readlane_b32 s88, v12, 14
	v_readlane_b32 s89, v12, 15
	s_or_b64 exec, exec, s[88:89]
	s_and_b64 vcc, vcc, exec
.LBB34_87:                              ;   in Loop: Header=BB34_5 Depth=1
	v_readlane_b32 s86, v12, 12
	v_readlane_b32 s87, v12, 13
	s_or_b64 exec, exec, s[86:87]
	s_and_b64 vcc, vcc, exec
.LBB34_88:                              ;   in Loop: Header=BB34_5 Depth=1
	v_readlane_b32 s88, v12, 10
	v_readlane_b32 s89, v12, 11
	s_or_b64 exec, exec, s[88:89]
	s_and_b64 vcc, vcc, exec
.LBB34_89:                              ;   in Loop: Header=BB34_5 Depth=1
	v_readlane_b32 s86, v12, 8
	v_readlane_b32 s87, v12, 9
	s_or_b64 exec, exec, s[86:87]
	s_and_b64 vcc, vcc, exec
.LBB34_90:                              ;   in Loop: Header=BB34_5 Depth=1
	v_readlane_b32 s88, v12, 6
	v_readlane_b32 s89, v12, 7
	s_or_b64 exec, exec, s[88:89]
	s_and_b64 vcc, vcc, exec
.LBB34_91:                              ;   in Loop: Header=BB34_5 Depth=1
	v_readlane_b32 s86, v12, 4
	v_readlane_b32 s87, v12, 5
	s_or_b64 exec, exec, s[86:87]
	s_and_b64 vcc, vcc, exec
.LBB34_92:                              ;   in Loop: Header=BB34_5 Depth=1
	v_readlane_b32 s88, v12, 2
	v_readlane_b32 s89, v12, 3
	s_or_b64 exec, exec, s[88:89]
	s_and_b64 s[88:89], vcc, exec
.LBB34_93:                              ;   in Loop: Header=BB34_5 Depth=1
	v_readlane_b32 s86, v12, 0
	v_readlane_b32 s87, v12, 1
	s_or_b64 exec, exec, s[86:87]
	s_and_b64 s[86:87], s[88:89], exec
.LBB34_94:                              ;   in Loop: Header=BB34_5 Depth=1
	s_or_b64 exec, exec, s[84:85]
	s_and_b64 s[84:85], s[86:87], exec
.LBB34_95:                              ;   in Loop: Header=BB34_5 Depth=1
	s_or_b64 exec, exec, s[82:83]
	s_and_b64 s[82:83], s[84:85], exec
.LBB34_96:                              ;   in Loop: Header=BB34_5 Depth=1
	s_or_b64 exec, exec, s[80:81]
	s_and_b64 s[80:81], s[82:83], exec
.LBB34_97:                              ;   in Loop: Header=BB34_5 Depth=1
	s_or_b64 exec, exec, s[78:79]
	s_and_b64 s[78:79], s[80:81], exec
.LBB34_98:                              ;   in Loop: Header=BB34_5 Depth=1
	s_or_b64 exec, exec, s[76:77]
	s_and_b64 s[76:77], s[78:79], exec
.LBB34_99:                              ;   in Loop: Header=BB34_5 Depth=1
	s_or_b64 exec, exec, s[74:75]
	s_and_b64 s[74:75], s[76:77], exec
.LBB34_100:                             ;   in Loop: Header=BB34_5 Depth=1
	s_or_b64 exec, exec, s[72:73]
	s_and_b64 s[72:73], s[74:75], exec
.LBB34_101:                             ;   in Loop: Header=BB34_5 Depth=1
	s_or_b64 exec, exec, s[70:71]
	s_and_b64 s[70:71], s[72:73], exec
.LBB34_102:                             ;   in Loop: Header=BB34_5 Depth=1
	s_or_b64 exec, exec, s[68:69]
	s_and_b64 s[68:69], s[70:71], exec
.LBB34_103:                             ;   in Loop: Header=BB34_5 Depth=1
	s_or_b64 exec, exec, s[66:67]
	s_and_b64 s[66:67], s[68:69], exec
.LBB34_104:                             ;   in Loop: Header=BB34_5 Depth=1
	s_or_b64 exec, exec, s[64:65]
	s_and_b64 s[64:65], s[66:67], exec
.LBB34_105:                             ;   in Loop: Header=BB34_5 Depth=1
	s_or_b64 exec, exec, s[62:63]
	s_and_b64 s[62:63], s[64:65], exec
.LBB34_106:                             ;   in Loop: Header=BB34_5 Depth=1
	s_or_b64 exec, exec, s[60:61]
	s_and_b64 s[60:61], s[62:63], exec
.LBB34_107:                             ;   in Loop: Header=BB34_5 Depth=1
	s_or_b64 exec, exec, s[58:59]
	s_and_b64 s[58:59], s[60:61], exec
.LBB34_108:                             ;   in Loop: Header=BB34_5 Depth=1
	s_or_b64 exec, exec, s[56:57]
	s_and_b64 s[56:57], s[58:59], exec
.LBB34_109:                             ;   in Loop: Header=BB34_5 Depth=1
	s_or_b64 exec, exec, s[54:55]
	s_and_b64 s[54:55], s[56:57], exec
.LBB34_110:                             ;   in Loop: Header=BB34_5 Depth=1
	s_or_b64 exec, exec, s[52:53]
	s_and_b64 s[52:53], s[54:55], exec
.LBB34_111:                             ;   in Loop: Header=BB34_5 Depth=1
	s_or_b64 exec, exec, s[50:51]
	s_and_b64 s[50:51], s[52:53], exec
.LBB34_112:                             ;   in Loop: Header=BB34_5 Depth=1
	s_or_b64 exec, exec, s[48:49]
	s_and_b64 s[48:49], s[50:51], exec
.LBB34_113:                             ;   in Loop: Header=BB34_5 Depth=1
	s_or_b64 exec, exec, s[46:47]
	s_and_b64 s[46:47], s[48:49], exec
.LBB34_114:                             ;   in Loop: Header=BB34_5 Depth=1
	s_or_b64 exec, exec, s[44:45]
	s_and_b64 s[44:45], s[46:47], exec
.LBB34_115:                             ;   in Loop: Header=BB34_5 Depth=1
	s_or_b64 exec, exec, s[42:43]
	s_and_b64 s[42:43], s[44:45], exec
.LBB34_116:                             ;   in Loop: Header=BB34_5 Depth=1
	s_or_b64 exec, exec, s[40:41]
	s_and_b64 s[40:41], s[42:43], exec
.LBB34_117:                             ;   in Loop: Header=BB34_5 Depth=1
	s_or_b64 exec, exec, s[38:39]
	s_and_b64 s[38:39], s[40:41], exec
.LBB34_118:                             ;   in Loop: Header=BB34_5 Depth=1
	s_or_b64 exec, exec, s[36:37]
	s_and_b64 s[36:37], s[38:39], exec
.LBB34_119:                             ;   in Loop: Header=BB34_5 Depth=1
	s_or_b64 exec, exec, s[34:35]
	s_and_b64 s[34:35], s[36:37], exec
.LBB34_120:                             ;   in Loop: Header=BB34_5 Depth=1
	s_or_b64 exec, exec, s[30:31]
	s_and_b64 s[30:31], s[34:35], exec
.LBB34_121:                             ;   in Loop: Header=BB34_5 Depth=1
	s_or_b64 exec, exec, s[28:29]
	s_and_b64 s[28:29], s[30:31], exec
.LBB34_122:                             ;   in Loop: Header=BB34_5 Depth=1
	s_or_b64 exec, exec, s[26:27]
	s_and_b64 s[26:27], s[28:29], exec
.LBB34_123:                             ;   in Loop: Header=BB34_5 Depth=1
	s_or_b64 exec, exec, s[24:25]
	s_and_b64 s[24:25], s[26:27], exec
.LBB34_124:                             ;   in Loop: Header=BB34_5 Depth=1
	s_or_b64 exec, exec, s[22:23]
	s_and_b64 s[22:23], s[24:25], exec
.LBB34_125:                             ;   in Loop: Header=BB34_5 Depth=1
	s_or_b64 exec, exec, s[20:21]
	s_and_b64 s[20:21], s[22:23], exec
.LBB34_126:                             ;   in Loop: Header=BB34_5 Depth=1
	s_or_b64 exec, exec, s[18:19]
	s_and_b64 s[18:19], s[20:21], exec
.LBB34_127:                             ;   in Loop: Header=BB34_5 Depth=1
	s_or_b64 exec, exec, s[16:17]
	s_and_b64 s[16:17], s[18:19], exec
.LBB34_128:                             ;   in Loop: Header=BB34_5 Depth=1
	s_or_b64 exec, exec, s[14:15]
	s_and_b64 s[14:15], s[16:17], exec
.LBB34_129:                             ;   in Loop: Header=BB34_5 Depth=1
	s_or_b64 exec, exec, s[8:9]
	s_and_b64 s[8:9], s[14:15], exec
.LBB34_130:                             ;   in Loop: Header=BB34_5 Depth=1
	s_or_b64 exec, exec, s[2:3]
	v_and_b32_e32 v2, 0x60, v7
	v_add_u32_e32 v9, 32, v2
	v_xor_b32_e32 v2, 16, v7
	v_cmp_lt_i32_e32 vcc, v2, v9
	v_cndmask_b32_e32 v2, v7, v2, vcc
	v_cndmask_b32_e64 v4, 0, 1, s[8:9]
	v_lshlrev_b32_e32 v2, 2, v2
	ds_bpermute_b32 v4, v2, v4
	v_xor_b32_e32 v11, 1, v7
	s_waitcnt lgkmcnt(0)
	v_cmp_ne_u32_e32 vcc, 0, v4
	v_xor_b32_e32 v4, 8, v7
	s_and_b64 s[2:3], s[8:9], vcc
	v_cmp_lt_i32_e32 vcc, v4, v9
	v_cndmask_b32_e32 v4, v7, v4, vcc
	v_cndmask_b32_e64 v5, 0, 1, s[2:3]
	v_lshlrev_b32_e32 v4, 2, v4
	ds_bpermute_b32 v5, v4, v5
	s_waitcnt lgkmcnt(0)
	v_cmp_ne_u32_e32 vcc, 0, v5
	v_xor_b32_e32 v5, 4, v7
	s_and_b64 s[2:3], vcc, s[2:3]
	v_cmp_lt_i32_e32 vcc, v5, v9
	v_cndmask_b32_e32 v5, v7, v5, vcc
	v_cndmask_b32_e64 v8, 0, 1, s[2:3]
	v_lshlrev_b32_e32 v5, 2, v5
	ds_bpermute_b32 v8, v5, v8
	s_waitcnt lgkmcnt(0)
	v_cmp_ne_u32_e32 vcc, 0, v8
	v_xor_b32_e32 v8, 2, v7
	s_and_b64 s[2:3], vcc, s[2:3]
	v_cmp_lt_i32_e32 vcc, v8, v9
	v_cndmask_b32_e32 v8, v7, v8, vcc
	v_cndmask_b32_e64 v10, 0, 1, s[2:3]
	v_lshlrev_b32_e32 v8, 2, v8
	ds_bpermute_b32 v10, v8, v10
	s_waitcnt lgkmcnt(0)
	v_cmp_ne_u32_e32 vcc, 0, v10
	s_and_b64 s[2:3], vcc, s[2:3]
	v_cmp_lt_i32_e32 vcc, v11, v9
	v_cndmask_b32_e32 v9, v7, v11, vcc
	v_cndmask_b32_e64 v10, 0, 1, s[2:3]
	v_lshlrev_b32_e32 v9, 2, v9
	ds_bpermute_b32 v10, v9, v10
	s_and_saveexec_b64 s[8:9], s[0:1]
	s_cbranch_execz .LBB34_3
; %bb.131:                              ;   in Loop: Header=BB34_5 Depth=1
	s_waitcnt lgkmcnt(0)
	v_cmp_ne_u32_e32 vcc, 0, v10
	s_and_b64 s[2:3], vcc, s[2:3]
	v_cndmask_b32_e64 v10, 0, 1, s[2:3]
	ds_write_b32 v1, v10
	s_branch .LBB34_3
.LBB34_132:
	s_or_b64 exec, exec, s[4:5]
	v_cmp_eq_u32_e32 vcc, 0, v0
	s_and_saveexec_b64 s[0:1], vcc
	s_cbranch_execz .LBB34_134
; %bb.133:
	s_mul_i32 s0, s33, s7
	s_add_i32 s0, s0, s6
	s_ashr_i32 s1, s0, 31
	s_lshl_b64 s[0:1], s[0:1], 2
	s_add_u32 s0, s10, s0
	s_addc_u32 s1, s11, s1
	v_mov_b32_e32 v0, 0
	global_store_dword v0, v2, s[0:1]
.LBB34_134:
	s_endpgm
	.section	.rodata,"a",@progbits
	.p2align	6, 0x0
	.amdhsa_kernel _ZL25flash_attn_mask_to_KV_maxILi32EEvPK7__half2Piiii
		.amdhsa_group_segment_fixed_size 128
		.amdhsa_private_segment_fixed_size 0
		.amdhsa_kernarg_size 288
		.amdhsa_user_sgpr_count 6
		.amdhsa_user_sgpr_private_segment_buffer 1
		.amdhsa_user_sgpr_dispatch_ptr 0
		.amdhsa_user_sgpr_queue_ptr 0
		.amdhsa_user_sgpr_kernarg_segment_ptr 1
		.amdhsa_user_sgpr_dispatch_id 0
		.amdhsa_user_sgpr_flat_scratch_init 0
		.amdhsa_user_sgpr_kernarg_preload_length 0
		.amdhsa_user_sgpr_kernarg_preload_offset 0
		.amdhsa_user_sgpr_private_segment_size 0
		.amdhsa_uses_dynamic_stack 0
		.amdhsa_system_sgpr_private_segment_wavefront_offset 0
		.amdhsa_system_sgpr_workgroup_id_x 1
		.amdhsa_system_sgpr_workgroup_id_y 1
		.amdhsa_system_sgpr_workgroup_id_z 0
		.amdhsa_system_sgpr_workgroup_info 0
		.amdhsa_system_vgpr_workitem_id 0
		.amdhsa_next_free_vgpr 13
		.amdhsa_next_free_sgpr 96
		.amdhsa_accum_offset 16
		.amdhsa_reserve_vcc 1
		.amdhsa_reserve_flat_scratch 0
		.amdhsa_float_round_mode_32 0
		.amdhsa_float_round_mode_16_64 0
		.amdhsa_float_denorm_mode_32 3
		.amdhsa_float_denorm_mode_16_64 3
		.amdhsa_dx10_clamp 1
		.amdhsa_ieee_mode 1
		.amdhsa_fp16_overflow 0
		.amdhsa_tg_split 0
		.amdhsa_exception_fp_ieee_invalid_op 0
		.amdhsa_exception_fp_denorm_src 0
		.amdhsa_exception_fp_ieee_div_zero 0
		.amdhsa_exception_fp_ieee_overflow 0
		.amdhsa_exception_fp_ieee_underflow 0
		.amdhsa_exception_fp_ieee_inexact 0
		.amdhsa_exception_int_div_zero 0
	.end_amdhsa_kernel
	.section	.text._ZL25flash_attn_mask_to_KV_maxILi32EEvPK7__half2Piiii,"axG",@progbits,_ZL25flash_attn_mask_to_KV_maxILi32EEvPK7__half2Piiii,comdat
.Lfunc_end34:
	.size	_ZL25flash_attn_mask_to_KV_maxILi32EEvPK7__half2Piiii, .Lfunc_end34-_ZL25flash_attn_mask_to_KV_maxILi32EEvPK7__half2Piiii
                                        ; -- End function
	.section	.AMDGPU.csdata,"",@progbits
; Kernel info:
; codeLenInByte = 4692
; NumSgprs: 100
; NumVgprs: 13
; NumAgprs: 0
; TotalNumVgprs: 13
; ScratchSize: 0
; MemoryBound: 0
; FloatMode: 240
; IeeeMode: 1
; LDSByteSize: 128 bytes/workgroup (compile time only)
; SGPRBlocks: 12
; VGPRBlocks: 1
; NumSGPRsForWavesPerEU: 100
; NumVGPRsForWavesPerEU: 13
; AccumOffset: 16
; Occupancy: 8
; WaveLimiterHint : 0
; COMPUTE_PGM_RSRC2:SCRATCH_EN: 0
; COMPUTE_PGM_RSRC2:USER_SGPR: 6
; COMPUTE_PGM_RSRC2:TRAP_HANDLER: 0
; COMPUTE_PGM_RSRC2:TGID_X_EN: 1
; COMPUTE_PGM_RSRC2:TGID_Y_EN: 1
; COMPUTE_PGM_RSRC2:TGID_Z_EN: 0
; COMPUTE_PGM_RSRC2:TIDIG_COMP_CNT: 0
; COMPUTE_PGM_RSRC3_GFX90A:ACCUM_OFFSET: 3
; COMPUTE_PGM_RSRC3_GFX90A:TG_SPLIT: 0
	.section	.text._ZL33flash_attn_stream_k_fixup_uniformILi64ELi32ELi2EEvPfPK15HIP_vector_typeIfLj2EEiiiiiiS1_IjLj3EES5_S5_,"axG",@progbits,_ZL33flash_attn_stream_k_fixup_uniformILi64ELi32ELi2EEvPfPK15HIP_vector_typeIfLj2EEiiiiiiS1_IjLj3EES5_S5_,comdat
	.globl	_ZL33flash_attn_stream_k_fixup_uniformILi64ELi32ELi2EEvPfPK15HIP_vector_typeIfLj2EEiiiiiiS1_IjLj3EES5_S5_ ; -- Begin function _ZL33flash_attn_stream_k_fixup_uniformILi64ELi32ELi2EEvPfPK15HIP_vector_typeIfLj2EEiiiiiiS1_IjLj3EES5_S5_
	.p2align	8
	.type	_ZL33flash_attn_stream_k_fixup_uniformILi64ELi32ELi2EEvPfPK15HIP_vector_typeIfLj2EEiiiiiiS1_IjLj3EES5_S5_,@function
_ZL33flash_attn_stream_k_fixup_uniformILi64ELi32ELi2EEvPfPK15HIP_vector_typeIfLj2EEiiiiiiS1_IjLj3EES5_S5_: ; @_ZL33flash_attn_stream_k_fixup_uniformILi64ELi32ELi2EEvPfPK15HIP_vector_typeIfLj2EEiiiiiiS1_IjLj3EES5_S5_
; %bb.0:
	s_load_dwordx8 s[12:19], s[4:5], 0x1c
	s_load_dwordx2 s[10:11], s[4:5], 0x10
	s_load_dwordx4 s[0:3], s[4:5], 0x3c
	s_waitcnt lgkmcnt(0)
	s_mul_hi_u32 s9, s15, s6
	s_add_i32 s9, s6, s9
	s_lshr_b32 s9, s9, s16
	s_mul_i32 s15, s9, s17
	s_sub_i32 s15, s6, s15
	s_mul_hi_u32 s16, s15, s18
	s_add_i32 s16, s15, s16
	s_lshr_b32 s16, s16, s19
	s_mul_i32 s0, s16, s0
	s_sub_i32 s0, s15, s0
	;; [unrolled: 5-line block ×3, first 2 shown]
	s_lshl_b32 s0, s17, 5
	s_lshl_b32 s15, s1, 1
	s_add_i32 s0, s0, s7
	s_cmp_lt_i32 s0, s10
	s_cselect_b64 s[0:1], -1, 0
	s_add_i32 s2, s15, s8
	s_cmp_lt_i32 s2, s13
	s_cselect_b64 s[2:3], -1, 0
	s_and_b64 s[0:1], s[0:1], s[2:3]
	s_andn2_b64 vcc, exec, s[0:1]
	s_cbranch_vccnz .LBB35_6
; %bb.1:
	s_load_dwordx4 s[0:3], s[4:5], 0x0
	s_mul_i32 s4, s9, s10
	s_add_i32 s4, s4, s7
	s_mul_i32 s4, s4, s11
	s_mul_i32 s16, s16, s13
	s_add_i32 s4, s4, s8
	s_add_i32 s4, s4, s16
	s_mul_i32 s5, s11, s17
	s_add_i32 s4, s4, s15
	s_lshl_b32 s5, s5, 11
	s_lshl_b32 s4, s4, 6
	s_add_i32 s5, s5, s4
	v_or_b32_e32 v2, s5, v0
	v_ashrrev_i32_e32 v3, 31, v2
	v_lshlrev_b64 v[2:3], 2, v[2:3]
	s_waitcnt lgkmcnt(0)
	v_mov_b32_e32 v1, s1
	v_add_co_u32_e32 v2, vcc, s0, v2
	v_addc_co_u32_e32 v3, vcc, v1, v3, vcc
	global_load_dword v8, v[2:3], off
	s_mul_i32 s9, s6, s14
	s_lshl_b32 s4, s7, 1
	s_add_i32 s11, s9, s14
	s_add_i32 s0, s4, s8
	s_lshl_b32 s1, s11, 6
	s_add_i32 s0, s0, s1
	s_sub_i32 s0, s0, 64
	s_ashr_i32 s1, s0, 31
	s_lshl_b64 s[0:1], s[0:1], 3
	s_add_u32 s0, s2, s0
	s_addc_u32 s1, s3, s1
	s_load_dword s5, s[0:1], 0x4
	s_add_i32 s10, s11, -2
	s_cmp_lt_i32 s10, s9
	s_cbranch_scc1 .LBB35_4
; %bb.2:
	s_lshl_b32 s16, s12, 8
	s_ashr_i32 s17, s16, 31
	s_lshl_b64 s[16:17], s[16:17], 2
	s_add_u32 s10, s2, s16
	s_addc_u32 s13, s3, s17
	s_add_i32 s6, s6, 1
	s_load_dword s0, s[0:1], 0x0
	s_mul_i32 s1, s14, s6
	s_lshl_b32 s7, s7, 7
	s_lshl_b32 s14, s8, 6
	;; [unrolled: 1-line block ×3, first 2 shown]
	s_add_i32 s7, s14, s7
	s_lshl_b32 s1, s1, 6
	s_add_i32 s7, s7, s6
	s_add_i32 s1, s8, s1
	s_lshl_b32 s6, s12, 6
	s_add_i32 s1, s1, s6
	v_or_b32_e32 v0, s7, v0
	s_add_i32 s1, s1, s4
	s_add_i32 s11, s11, -1
	v_add_u32_e32 v0, 0xffffe000, v0
	s_add_i32 s4, s1, 0xffffff80
	s_waitcnt lgkmcnt(0)
	v_mov_b32_e32 v7, s5
	v_mov_b32_e32 v6, s0
	;; [unrolled: 1-line block ×3, first 2 shown]
	s_mov_b32 s6, 0x3fb8aa3b
	s_mov_b32 s7, 0xc2ce8ed0
	;; [unrolled: 1-line block ×3, first 2 shown]
	v_mov_b32_e32 v5, 0x7f800000
	s_mov_b32 s12, 0xc1a00000
.LBB35_3:                               ; =>This Inner Loop Header: Depth=1
	v_ashrrev_i32_e32 v1, 31, v0
	v_lshlrev_b64 v[10:11], 2, v[0:1]
	v_add_co_u32_e32 v10, vcc, s10, v10
	v_addc_co_u32_e32 v11, vcc, v4, v11, vcc
	global_load_dword v1, v[10:11], off
	s_ashr_i32 s5, s4, 31
	s_lshl_b64 s[0:1], s[4:5], 3
	s_add_u32 s0, s2, s0
	s_addc_u32 s1, s3, s1
	s_load_dwordx2 s[14:15], s[0:1], 0x0
	s_waitcnt vmcnt(1)
	v_mov_b32_e32 v9, v8
	v_max_f32_e32 v8, v6, v6
	v_mov_b32_e32 v10, v7
	s_add_i32 s11, s11, -1
	s_waitcnt lgkmcnt(0)
	v_max_f32_e64 v7, s14, s14
	v_max_f32_e32 v7, v8, v7
	v_sub_f32_e32 v11, s14, v7
	v_sub_f32_e32 v8, v6, v7
	v_mul_f32_e32 v12, 0x3fb8aa3b, v11
	v_mov_b32_e32 v6, v7
	v_mul_f32_e32 v7, 0x3fb8aa3b, v8
	v_fma_f32 v15, v11, s6, -v12
	v_rndne_f32_e32 v16, v12
	v_fma_f32 v13, v8, s6, -v7
	v_rndne_f32_e32 v14, v7
	v_fmac_f32_e32 v15, 0x32a5705f, v11
	v_sub_f32_e32 v12, v12, v16
	v_fmac_f32_e32 v13, 0x32a5705f, v8
	v_sub_f32_e32 v7, v7, v14
	v_add_f32_e32 v12, v12, v15
	v_cvt_i32_f32_e32 v16, v16
	v_add_f32_e32 v7, v7, v13
	v_exp_f32_e32 v12, v12
	v_cvt_i32_f32_e32 v14, v14
	v_exp_f32_e32 v7, v7
	v_cmp_ngt_f32_e32 vcc, s7, v11
	v_ldexp_f32 v12, v12, v16
	v_cmp_ngt_f32_e64 s[0:1], s7, v8
	v_ldexp_f32 v7, v7, v14
	v_cndmask_b32_e32 v12, 0, v12, vcc
	v_cmp_nlt_f32_e32 vcc, s8, v11
	v_cndmask_b32_e64 v7, 0, v7, s[0:1]
	v_cmp_nlt_f32_e64 s[0:1], s8, v8
	v_cndmask_b32_e32 v12, v5, v12, vcc
	v_cmp_le_f32_e32 vcc, s12, v11
	v_cndmask_b32_e64 v7, v5, v7, s[0:1]
	v_cmp_le_f32_e64 s[0:1], s12, v8
	v_cndmask_b32_e32 v8, 0, v12, vcc
	s_sub_i32 s4, s4, 64
	v_cndmask_b32_e64 v11, 0, v7, s[0:1]
	v_mul_f32_e32 v7, s15, v8
	v_add_u32_e32 v0, 0xfffff000, v0
	s_cmp_le_i32 s11, s9
	v_fmac_f32_e32 v7, v10, v11
	s_waitcnt vmcnt(0)
	v_mul_f32_e32 v8, v1, v8
	v_fmac_f32_e32 v8, v9, v11
	s_cbranch_scc0 .LBB35_3
	s_branch .LBB35_5
.LBB35_4:
	s_waitcnt lgkmcnt(0)
	v_mov_b32_e32 v7, s5
.LBB35_5:
	s_waitcnt vmcnt(0)
	v_div_scale_f32 v0, s[0:1], v7, v7, v8
	v_rcp_f32_e32 v1, v0
	v_div_scale_f32 v4, vcc, v8, v7, v8
	v_fma_f32 v5, -v0, v1, 1.0
	v_fmac_f32_e32 v1, v5, v1
	v_mul_f32_e32 v5, v4, v1
	v_fma_f32 v6, -v0, v5, v4
	v_fmac_f32_e32 v5, v6, v1
	v_fma_f32 v0, -v0, v5, v4
	v_div_fmas_f32 v0, v0, v1, v5
	v_div_fixup_f32 v0, v0, v7, v8
	global_store_dword v[2:3], v0, off
.LBB35_6:
	s_endpgm
	.section	.rodata,"a",@progbits
	.p2align	6, 0x0
	.amdhsa_kernel _ZL33flash_attn_stream_k_fixup_uniformILi64ELi32ELi2EEvPfPK15HIP_vector_typeIfLj2EEiiiiiiS1_IjLj3EES5_S5_
		.amdhsa_group_segment_fixed_size 0
		.amdhsa_private_segment_fixed_size 0
		.amdhsa_kernarg_size 76
		.amdhsa_user_sgpr_count 6
		.amdhsa_user_sgpr_private_segment_buffer 1
		.amdhsa_user_sgpr_dispatch_ptr 0
		.amdhsa_user_sgpr_queue_ptr 0
		.amdhsa_user_sgpr_kernarg_segment_ptr 1
		.amdhsa_user_sgpr_dispatch_id 0
		.amdhsa_user_sgpr_flat_scratch_init 0
		.amdhsa_user_sgpr_kernarg_preload_length 0
		.amdhsa_user_sgpr_kernarg_preload_offset 0
		.amdhsa_user_sgpr_private_segment_size 0
		.amdhsa_uses_dynamic_stack 0
		.amdhsa_system_sgpr_private_segment_wavefront_offset 0
		.amdhsa_system_sgpr_workgroup_id_x 1
		.amdhsa_system_sgpr_workgroup_id_y 1
		.amdhsa_system_sgpr_workgroup_id_z 1
		.amdhsa_system_sgpr_workgroup_info 0
		.amdhsa_system_vgpr_workitem_id 0
		.amdhsa_next_free_vgpr 17
		.amdhsa_next_free_sgpr 20
		.amdhsa_accum_offset 20
		.amdhsa_reserve_vcc 1
		.amdhsa_reserve_flat_scratch 0
		.amdhsa_float_round_mode_32 0
		.amdhsa_float_round_mode_16_64 0
		.amdhsa_float_denorm_mode_32 3
		.amdhsa_float_denorm_mode_16_64 3
		.amdhsa_dx10_clamp 1
		.amdhsa_ieee_mode 1
		.amdhsa_fp16_overflow 0
		.amdhsa_tg_split 0
		.amdhsa_exception_fp_ieee_invalid_op 0
		.amdhsa_exception_fp_denorm_src 0
		.amdhsa_exception_fp_ieee_div_zero 0
		.amdhsa_exception_fp_ieee_overflow 0
		.amdhsa_exception_fp_ieee_underflow 0
		.amdhsa_exception_fp_ieee_inexact 0
		.amdhsa_exception_int_div_zero 0
	.end_amdhsa_kernel
	.section	.text._ZL33flash_attn_stream_k_fixup_uniformILi64ELi32ELi2EEvPfPK15HIP_vector_typeIfLj2EEiiiiiiS1_IjLj3EES5_S5_,"axG",@progbits,_ZL33flash_attn_stream_k_fixup_uniformILi64ELi32ELi2EEvPfPK15HIP_vector_typeIfLj2EEiiiiiiS1_IjLj3EES5_S5_,comdat
.Lfunc_end35:
	.size	_ZL33flash_attn_stream_k_fixup_uniformILi64ELi32ELi2EEvPfPK15HIP_vector_typeIfLj2EEiiiiiiS1_IjLj3EES5_S5_, .Lfunc_end35-_ZL33flash_attn_stream_k_fixup_uniformILi64ELi32ELi2EEvPfPK15HIP_vector_typeIfLj2EEiiiiiiS1_IjLj3EES5_S5_
                                        ; -- End function
	.section	.AMDGPU.csdata,"",@progbits
; Kernel info:
; codeLenInByte = 860
; NumSgprs: 24
; NumVgprs: 17
; NumAgprs: 0
; TotalNumVgprs: 17
; ScratchSize: 0
; MemoryBound: 0
; FloatMode: 240
; IeeeMode: 1
; LDSByteSize: 0 bytes/workgroup (compile time only)
; SGPRBlocks: 2
; VGPRBlocks: 2
; NumSGPRsForWavesPerEU: 24
; NumVGPRsForWavesPerEU: 17
; AccumOffset: 20
; Occupancy: 8
; WaveLimiterHint : 0
; COMPUTE_PGM_RSRC2:SCRATCH_EN: 0
; COMPUTE_PGM_RSRC2:USER_SGPR: 6
; COMPUTE_PGM_RSRC2:TRAP_HANDLER: 0
; COMPUTE_PGM_RSRC2:TGID_X_EN: 1
; COMPUTE_PGM_RSRC2:TGID_Y_EN: 1
; COMPUTE_PGM_RSRC2:TGID_Z_EN: 1
; COMPUTE_PGM_RSRC2:TIDIG_COMP_CNT: 0
; COMPUTE_PGM_RSRC3_GFX90A:ACCUM_OFFSET: 4
; COMPUTE_PGM_RSRC3_GFX90A:TG_SPLIT: 0
	.section	.text._ZL33flash_attn_stream_k_fixup_generalILi64ELi32ELi2EEvPfPK15HIP_vector_typeIfLj2EEiiiiS1_IjLj3EES5_S5_S5_,"axG",@progbits,_ZL33flash_attn_stream_k_fixup_generalILi64ELi32ELi2EEvPfPK15HIP_vector_typeIfLj2EEiiiiS1_IjLj3EES5_S5_S5_,comdat
	.globl	_ZL33flash_attn_stream_k_fixup_generalILi64ELi32ELi2EEvPfPK15HIP_vector_typeIfLj2EEiiiiS1_IjLj3EES5_S5_S5_ ; -- Begin function _ZL33flash_attn_stream_k_fixup_generalILi64ELi32ELi2EEvPfPK15HIP_vector_typeIfLj2EEiiiiS1_IjLj3EES5_S5_S5_
	.p2align	8
	.type	_ZL33flash_attn_stream_k_fixup_generalILi64ELi32ELi2EEvPfPK15HIP_vector_typeIfLj2EEiiiiS1_IjLj3EES5_S5_S5_,@function
_ZL33flash_attn_stream_k_fixup_generalILi64ELi32ELi2EEvPfPK15HIP_vector_typeIfLj2EEiiiiS1_IjLj3EES5_S5_S5_: ; @_ZL33flash_attn_stream_k_fixup_generalILi64ELi32ELi2EEvPfPK15HIP_vector_typeIfLj2EEiiiiS1_IjLj3EES5_S5_S5_
; %bb.0:
	s_load_dwordx4 s[12:15], s[4:5], 0x10
	s_load_dword s9, s[4:5], 0x50
	s_mov_b32 s2, 0
	s_waitcnt lgkmcnt(0)
	s_mul_hi_i32 s3, s15, s6
	s_cmp_lg_u64 s[2:3], 0
	s_mul_i32 s2, s15, s6
	s_cbranch_scc0 .LBB36_21
; %bb.1:
	v_cvt_f32_u32_e32 v1, s9
	v_cvt_f32_ubyte0_e32 v2, 0
	s_sub_u32 s10, 0, s9
	s_subb_u32 s11, 0, 0
	v_madmk_f32 v1, v2, 0x4f800000, v1
	v_rcp_f32_e32 v1, v1
	v_mul_f32_e32 v1, 0x5f7ffffc, v1
	v_mul_f32_e32 v2, 0x2f800000, v1
	v_trunc_f32_e32 v2, v2
	v_madmk_f32 v1, v2, 0xcf800000, v1
	v_cvt_u32_f32_e32 v2, v2
	v_cvt_u32_f32_e32 v1, v1
	v_readfirstlane_b32 s16, v2
	v_readfirstlane_b32 s17, v1
	s_mul_i32 s18, s10, s16
	s_mul_hi_u32 s20, s10, s17
	s_mul_i32 s19, s11, s17
	s_add_i32 s18, s20, s18
	s_add_i32 s18, s18, s19
	s_mul_i32 s21, s10, s17
	s_mul_hi_u32 s19, s17, s18
	s_mul_i32 s20, s17, s18
	s_mul_hi_u32 s17, s17, s21
	s_add_u32 s17, s17, s20
	s_addc_u32 s19, 0, s19
	s_mul_hi_u32 s22, s16, s21
	s_mul_i32 s21, s16, s21
	s_add_u32 s17, s17, s21
	s_mul_hi_u32 s20, s16, s18
	s_addc_u32 s17, s19, s22
	s_addc_u32 s19, s20, 0
	s_mul_i32 s18, s16, s18
	s_add_u32 s17, s17, s18
	s_addc_u32 s18, 0, s19
	v_add_co_u32_e32 v1, vcc, s17, v1
	s_cmp_lg_u64 vcc, 0
	s_addc_u32 s16, s16, s18
	v_readfirstlane_b32 s18, v1
	s_mul_i32 s17, s10, s16
	s_mul_hi_u32 s19, s10, s18
	s_add_i32 s17, s19, s17
	s_mul_i32 s11, s11, s18
	s_add_i32 s17, s17, s11
	s_mul_i32 s10, s10, s18
	s_mul_hi_u32 s19, s16, s10
	s_mul_i32 s20, s16, s10
	s_mul_i32 s22, s18, s17
	s_mul_hi_u32 s10, s18, s10
	s_mul_hi_u32 s21, s18, s17
	s_add_u32 s10, s10, s22
	s_addc_u32 s18, 0, s21
	s_add_u32 s10, s10, s20
	s_mul_hi_u32 s11, s16, s17
	s_addc_u32 s10, s18, s19
	s_addc_u32 s11, s11, 0
	s_mul_i32 s17, s16, s17
	s_add_u32 s10, s10, s17
	s_addc_u32 s11, 0, s11
	v_add_co_u32_e32 v1, vcc, s10, v1
	s_cmp_lg_u64 vcc, 0
	s_addc_u32 s18, s16, s11
	s_ashr_i32 s10, s3, 31
	s_add_u32 s16, s2, s10
	s_mov_b32 s11, s10
	s_addc_u32 s17, s3, s10
	s_xor_b64 s[16:17], s[16:17], s[10:11]
	v_readfirstlane_b32 s20, v1
	s_mul_i32 s19, s16, s18
	s_mul_hi_u32 s21, s16, s20
	s_mul_hi_u32 s3, s16, s18
	s_add_u32 s19, s21, s19
	s_addc_u32 s3, 0, s3
	s_mul_hi_u32 s22, s17, s20
	s_mul_i32 s20, s17, s20
	s_add_u32 s19, s19, s20
	s_mul_hi_u32 s21, s17, s18
	s_addc_u32 s3, s3, s22
	s_addc_u32 s19, s21, 0
	s_mul_i32 s18, s17, s18
	s_add_u32 s3, s3, s18
	s_addc_u32 s18, 0, s19
	s_add_u32 s19, s3, 1
	s_addc_u32 s20, s18, 0
	s_add_u32 s21, s3, 2
	s_mul_i32 s23, s9, s18
	s_mul_hi_u32 s24, s9, s3
	s_addc_u32 s22, s18, 0
	s_add_i32 s24, s24, s23
	s_mul_i32 s23, s9, s3
	v_mov_b32_e32 v1, s23
	v_sub_co_u32_e32 v1, vcc, s16, v1
	s_cmp_lg_u64 vcc, 0
	s_subb_u32 s16, s17, s24
	v_subrev_co_u32_e32 v2, vcc, s9, v1
	s_cmp_lg_u64 vcc, 0
	s_subb_u32 s17, s16, 0
	v_readfirstlane_b32 s23, v2
	s_cmp_ge_u32 s23, s9
	s_cselect_b32 s23, -1, 0
	s_cmp_eq_u32 s17, 0
	s_cselect_b32 s17, s23, -1
	s_cmp_lg_u32 s17, 0
	s_cselect_b32 s17, s22, s20
	v_readfirstlane_b32 s20, v1
	s_cselect_b32 s19, s21, s19
	s_cmp_ge_u32 s20, s9
	s_cselect_b32 s20, -1, 0
	s_cmp_eq_u32 s16, 0
	s_cselect_b32 s16, s20, -1
	s_cmp_lg_u32 s16, 0
	s_cselect_b32 s17, s17, s18
	s_cselect_b32 s16, s19, s3
	s_xor_b64 s[16:17], s[16:17], s[10:11]
	s_sub_u32 s20, s16, s10
	s_load_dwordx4 s[16:19], s[4:5], 0x44
	s_cbranch_execnz .LBB36_3
.LBB36_2:
	v_cvt_f32_u32_e32 v1, s9
	s_sub_i32 s0, 0, s9
	v_rcp_iflag_f32_e32 v1, v1
	v_mul_f32_e32 v1, 0x4f7ffffe, v1
	v_cvt_u32_f32_e32 v1, v1
	v_readfirstlane_b32 s1, v1
	s_mul_i32 s0, s0, s1
	s_mul_hi_u32 s0, s1, s0
	s_add_i32 s1, s1, s0
	s_mul_hi_u32 s0, s2, s1
	s_mul_i32 s3, s0, s9
	s_sub_i32 s2, s2, s3
	s_add_i32 s1, s0, 1
	s_sub_i32 s3, s2, s9
	s_cmp_ge_u32 s2, s9
	s_cselect_b32 s0, s1, s0
	s_cselect_b32 s2, s3, s2
	s_add_i32 s1, s0, 1
	s_cmp_ge_u32 s2, s9
	s_cselect_b32 s20, s1, s0
.LBB36_3:
	s_add_i32 s0, s6, 1
	s_mul_hi_i32 s3, s15, s0
	s_mov_b32 s2, 0
	s_cmp_lg_u64 s[2:3], 0
	s_mul_i32 s2, s15, s0
	s_cbranch_scc0 .LBB36_22
; %bb.4:
	v_cvt_f32_u32_e32 v1, s9
	v_cvt_f32_ubyte0_e32 v2, 0
	s_sub_u32 s10, 0, s9
	s_subb_u32 s11, 0, 0
	v_madmk_f32 v1, v2, 0x4f800000, v1
	v_rcp_f32_e32 v1, v1
	v_mul_f32_e32 v1, 0x5f7ffffc, v1
	v_mul_f32_e32 v2, 0x2f800000, v1
	v_trunc_f32_e32 v2, v2
	v_madmk_f32 v1, v2, 0xcf800000, v1
	v_cvt_u32_f32_e32 v2, v2
	v_cvt_u32_f32_e32 v1, v1
	s_waitcnt lgkmcnt(0)
	v_readfirstlane_b32 s19, v2
	v_readfirstlane_b32 s21, v1
	s_mul_i32 s22, s10, s19
	s_mul_hi_u32 s24, s10, s21
	s_mul_i32 s23, s11, s21
	s_add_i32 s22, s24, s22
	s_add_i32 s22, s22, s23
	s_mul_i32 s25, s10, s21
	s_mul_hi_u32 s23, s21, s22
	s_mul_i32 s24, s21, s22
	s_mul_hi_u32 s21, s21, s25
	s_add_u32 s21, s21, s24
	s_addc_u32 s23, 0, s23
	s_mul_hi_u32 s26, s19, s25
	s_mul_i32 s25, s19, s25
	s_add_u32 s21, s21, s25
	s_mul_hi_u32 s24, s19, s22
	s_addc_u32 s21, s23, s26
	s_addc_u32 s23, s24, 0
	s_mul_i32 s22, s19, s22
	s_add_u32 s21, s21, s22
	s_addc_u32 s22, 0, s23
	v_add_co_u32_e32 v1, vcc, s21, v1
	s_cmp_lg_u64 vcc, 0
	s_addc_u32 s19, s19, s22
	v_readfirstlane_b32 s22, v1
	s_mul_i32 s21, s10, s19
	s_mul_hi_u32 s23, s10, s22
	s_add_i32 s21, s23, s21
	s_mul_i32 s11, s11, s22
	s_add_i32 s21, s21, s11
	s_mul_i32 s10, s10, s22
	s_mul_hi_u32 s23, s19, s10
	s_mul_i32 s24, s19, s10
	s_mul_i32 s26, s22, s21
	s_mul_hi_u32 s10, s22, s10
	s_mul_hi_u32 s25, s22, s21
	s_add_u32 s10, s10, s26
	s_addc_u32 s22, 0, s25
	s_add_u32 s10, s10, s24
	s_mul_hi_u32 s11, s19, s21
	s_addc_u32 s10, s22, s23
	s_addc_u32 s11, s11, 0
	s_mul_i32 s21, s19, s21
	s_add_u32 s10, s10, s21
	s_addc_u32 s11, 0, s11
	v_add_co_u32_e32 v1, vcc, s10, v1
	s_cmp_lg_u64 vcc, 0
	s_addc_u32 s19, s19, s11
	s_ashr_i32 s10, s3, 31
	s_add_u32 s22, s2, s10
	s_mov_b32 s11, s10
	s_addc_u32 s23, s3, s10
	s_xor_b64 s[22:23], s[22:23], s[10:11]
	v_readfirstlane_b32 s21, v1
	s_mul_i32 s11, s22, s19
	s_mul_hi_u32 s24, s22, s21
	s_mul_hi_u32 s3, s22, s19
	s_add_u32 s11, s24, s11
	s_addc_u32 s3, 0, s3
	s_mul_hi_u32 s25, s23, s21
	s_mul_i32 s21, s23, s21
	s_add_u32 s11, s11, s21
	s_mul_hi_u32 s24, s23, s19
	s_addc_u32 s3, s3, s25
	s_addc_u32 s11, s24, 0
	s_mul_i32 s19, s23, s19
	s_add_u32 s3, s3, s19
	s_addc_u32 s11, 0, s11
	s_mul_i32 s11, s9, s11
	s_mul_hi_u32 s24, s9, s3
	s_add_i32 s24, s24, s11
	s_mul_i32 s11, s9, s3
	v_mov_b32_e32 v1, s11
	s_add_u32 s19, s3, 1
	s_add_u32 s21, s3, 2
	v_sub_co_u32_e32 v1, vcc, s22, v1
	s_cmp_lg_u64 vcc, 0
	s_subb_u32 s11, s23, s24
	v_subrev_co_u32_e32 v2, vcc, s9, v1
	s_cmp_lg_u64 vcc, 0
	s_subb_u32 s22, s11, 0
	v_cmp_le_u32_e32 vcc, s9, v2
	s_cmp_eq_u32 s22, 0
	v_cndmask_b32_e64 v2, 0, -1, vcc
	s_cselect_b64 vcc, -1, 0
	v_cndmask_b32_e32 v2, -1, v2, vcc
	v_mov_b32_e32 v3, s19
	v_mov_b32_e32 v4, s21
	v_cmp_ne_u32_e32 vcc, 0, v2
	v_cndmask_b32_e32 v2, v3, v4, vcc
	v_cmp_le_u32_e32 vcc, s9, v1
	s_cmp_eq_u32 s11, 0
	v_cndmask_b32_e64 v1, 0, -1, vcc
	s_cselect_b64 vcc, -1, 0
	v_cndmask_b32_e32 v1, -1, v1, vcc
	v_mov_b32_e32 v3, s3
	v_cmp_ne_u32_e32 vcc, 0, v1
	v_cndmask_b32_e32 v1, v3, v2, vcc
	v_xor_b32_e32 v1, s10, v1
	v_subrev_co_u32_e32 v2, vcc, s10, v1
	s_cbranch_execnz .LBB36_6
.LBB36_5:
	v_cvt_f32_u32_e32 v1, s9
	s_sub_i32 s0, 0, s9
	s_mov_b32 s1, 0
	v_rcp_iflag_f32_e32 v1, v1
	v_mul_f32_e32 v1, 0x4f7ffffe, v1
	v_cvt_u32_f32_e32 v1, v1
	v_readfirstlane_b32 s3, v1
	s_mul_i32 s0, s0, s3
	s_mul_hi_u32 s0, s3, s0
	s_add_i32 s3, s3, s0
	s_mul_hi_u32 s0, s2, s3
	s_mul_i32 s10, s0, s9
	s_sub_i32 s2, s2, s10
	s_add_i32 s3, s0, 1
	s_sub_i32 s10, s2, s9
	s_cmp_ge_u32 s2, s9
	s_cselect_b32 s0, s3, s0
	s_cselect_b32 s2, s10, s2
	s_add_i32 s3, s0, 1
	s_cmp_ge_u32 s2, s9
	s_cselect_b32 s0, s3, s0
	v_pk_mov_b32 v[2:3], s[0:1], s[0:1] op_sel:[0,1]
.LBB36_6:
	s_waitcnt lgkmcnt(0)
	s_mul_hi_u32 s0, s20, s16
	s_add_i32 s0, s0, s20
	v_mul_hi_u32 v1, v2, s16
	s_lshr_b32 s19, s0, s17
	v_add_u32_e32 v1, v1, v2
	s_mul_i32 s0, s19, s18
	v_lshrrev_b32_e32 v1, s17, v1
	s_cmp_eq_u32 s0, s20
	v_cmp_eq_u32_e64 s[0:1], s19, v1
	v_mul_lo_u32 v1, v1, s18
	v_cmp_eq_u32_e32 vcc, s20, v2
	s_cselect_b64 s[10:11], -1, 0
	v_cmp_ne_u32_e64 s[2:3], v1, v2
	s_and_b64 s[0:1], s[0:1], s[2:3]
	s_or_b64 s[2:3], vcc, s[10:11]
	s_or_b64 s[0:1], s[2:3], s[0:1]
	s_and_b64 vcc, exec, s[0:1]
	s_cbranch_vccnz .LBB36_24
; %bb.7:
	s_load_dwordx8 s[24:31], s[4:5], 0x20
	s_load_dword s0, s[4:5], 0x40
	s_mov_b32 s10, 0
	s_waitcnt lgkmcnt(0)
	s_mul_hi_u32 s1, s20, s24
	s_add_i32 s1, s1, s20
	s_lshr_b32 s11, s1, s25
	s_mul_i32 s1, s11, s26
	s_sub_i32 s1, s20, s1
	s_mul_hi_u32 s2, s1, s27
	s_add_i32 s2, s1, s2
	s_lshr_b32 s24, s2, s28
	s_mul_i32 s2, s24, s29
	s_sub_i32 s1, s1, s2
	;; [unrolled: 5-line block ×3, first 2 shown]
	s_mul_hi_u32 s1, s0, s16
	s_add_i32 s0, s0, s1
	s_lshr_b32 s26, s0, s17
	s_lshl_b32 s0, s26, 5
	s_lshl_b32 s25, s2, 1
	s_add_i32 s0, s0, s7
	s_cmp_lt_i32 s0, s12
	s_cselect_b64 s[0:1], -1, 0
	s_add_i32 s2, s25, s8
	s_cmp_lt_i32 s2, s14
	s_cselect_b64 s[2:3], -1, 0
	s_and_b64 s[0:1], s[0:1], s[2:3]
	s_andn2_b64 vcc, exec, s[0:1]
	s_cbranch_vccnz .LBB36_24
; %bb.8:
	s_load_dwordx4 s[0:3], s[4:5], 0x0
	s_lshl_b32 s21, s7, 1
	s_lshl_b32 s4, s9, 8
	s_mov_b32 s5, s10
	s_add_i32 s21, s21, s8
	s_lshl_b64 s[4:5], s[4:5], 2
	s_waitcnt lgkmcnt(0)
	s_add_u32 s22, s2, s4
	s_mul_i32 s4, s11, s12
	s_addc_u32 s23, s3, s5
	s_add_i32 s4, s4, s7
	s_mul_i32 s4, s4, s13
	s_mul_i32 s24, s24, s14
	s_add_i32 s4, s4, s8
	s_add_i32 s4, s4, s24
	s_mul_i32 s5, s13, s26
	s_add_i32 s4, s4, s25
	s_lshl_b32 s5, s5, 11
	s_lshl_b32 s4, s4, 6
	s_add_i32 s5, s5, s4
	v_or_b32_e32 v2, s5, v0
	v_ashrrev_i32_e32 v3, 31, v2
	v_lshlrev_b64 v[2:3], 2, v[2:3]
	v_mov_b32_e32 v1, s1
	v_add_co_u32_e32 v2, vcc, s0, v2
	v_addc_co_u32_e32 v3, vcc, v1, v3, vcc
	global_load_dword v5, v[2:3], off
	v_lshl_or_b32 v4, s21, 6, v0
	v_cvt_f32_u32_e32 v0, s9
	v_cvt_f32_ubyte0_e32 v1, 0
	s_lshl_b32 s0, s6, 6
	s_add_i32 s0, s21, s0
	v_mac_f32_e32 v0, 0x4f800000, v1
	v_rcp_f32_e32 v0, v0
	v_cvt_f32_u32_e32 v1, s9
	s_ashr_i32 s1, s0, 31
	s_lshl_b64 s[0:1], s[0:1], 3
	v_mul_f32_e32 v0, 0x5f7ffffc, v0
	v_rcp_iflag_f32_e32 v1, v1
	s_add_u32 s0, s2, s0
	v_mul_f32_e32 v9, 0x2f800000, v0
	s_addc_u32 s1, s3, s1
	v_trunc_f32_e32 v10, v9
	s_load_dwordx2 s[0:1], s[0:1], 0x0
	v_mac_f32_e32 v0, 0xcf800000, v10
	v_cvt_u32_f32_e32 v9, v0
	v_mul_f32_e32 v0, 0x4f7ffffe, v1
	v_cvt_u32_f32_e32 v10, v10
	v_cvt_u32_f32_e32 v11, v0
	s_add_i32 s8, s6, -1
	s_waitcnt lgkmcnt(0)
	v_mov_b32_e32 v6, s1
	v_mov_b32_e32 v7, s0
	;; [unrolled: 1-line block ×3, first 2 shown]
	s_mov_b32 s6, 0x3fb8aa3b
	s_mov_b32 s7, 0xc2ce8ed0
	;; [unrolled: 1-line block ×4, first 2 shown]
	v_mov_b32_e32 v12, 0x7f800000
	s_mul_hi_i32 s11, s8, s15
	s_cmp_lg_u64 s[10:11], 0
	s_mul_i32 s4, s8, s15
	s_cbranch_scc0 .LBB36_15
.LBB36_9:
	s_sub_u32 s0, 0, s9
	v_readfirstlane_b32 s5, v9
	v_readfirstlane_b32 s24, v10
	s_subb_u32 s1, 0, 0
	s_mul_hi_u32 s20, s0, s5
	s_mul_i32 s25, s0, s24
	s_mul_i32 s14, s1, s5
	s_add_i32 s20, s20, s25
	s_add_i32 s20, s20, s14
	s_mul_i32 s26, s0, s5
	s_mul_hi_u32 s14, s5, s20
	s_mul_i32 s25, s5, s20
	s_mul_hi_u32 s5, s5, s26
	s_add_u32 s5, s5, s25
	s_addc_u32 s14, 0, s14
	s_mul_hi_u32 s27, s24, s26
	s_mul_i32 s26, s24, s26
	s_add_u32 s5, s5, s26
	s_mul_hi_u32 s25, s24, s20
	s_addc_u32 s5, s14, s27
	s_addc_u32 s14, s25, 0
	s_mul_i32 s20, s24, s20
	s_add_u32 s5, s5, s20
	s_addc_u32 s14, 0, s14
	v_add_co_u32_e32 v0, vcc, s5, v9
	s_cmp_lg_u64 vcc, 0
	s_addc_u32 s5, s24, s14
	v_readfirstlane_b32 s20, v0
	s_mul_i32 s14, s0, s5
	s_mul_hi_u32 s24, s0, s20
	s_add_i32 s14, s24, s14
	s_mul_i32 s1, s1, s20
	s_add_i32 s14, s14, s1
	s_mul_i32 s0, s0, s20
	s_mul_hi_u32 s24, s5, s0
	s_mul_i32 s25, s5, s0
	s_mul_i32 s27, s20, s14
	s_mul_hi_u32 s0, s20, s0
	s_mul_hi_u32 s26, s20, s14
	s_add_u32 s0, s0, s27
	s_addc_u32 s20, 0, s26
	s_add_u32 s0, s0, s25
	s_mul_hi_u32 s1, s5, s14
	s_addc_u32 s0, s20, s24
	s_addc_u32 s1, s1, 0
	s_mul_i32 s14, s5, s14
	s_add_u32 s0, s0, s14
	s_addc_u32 s1, 0, s1
	v_add_co_u32_e32 v0, vcc, s0, v0
	s_cmp_lg_u64 vcc, 0
	s_addc_u32 s5, s5, s1
	s_ashr_i32 s0, s11, 31
	s_add_u32 s24, s4, s0
	s_mov_b32 s1, s0
	s_addc_u32 s25, s11, s0
	s_xor_b64 s[24:25], s[24:25], s[0:1]
	v_readfirstlane_b32 s14, v0
	s_mul_i32 s11, s24, s5
	s_mul_hi_u32 s20, s24, s14
	s_mul_hi_u32 s1, s24, s5
	s_add_u32 s11, s20, s11
	s_addc_u32 s1, 0, s1
	s_mul_hi_u32 s26, s25, s14
	s_mul_i32 s14, s25, s14
	s_add_u32 s11, s11, s14
	s_mul_hi_u32 s20, s25, s5
	s_addc_u32 s1, s1, s26
	s_addc_u32 s11, s20, 0
	s_mul_i32 s5, s25, s5
	s_add_u32 s1, s1, s5
	s_addc_u32 s5, 0, s11
	s_mul_i32 s5, s9, s5
	s_mul_hi_u32 s20, s9, s1
	s_add_i32 s20, s20, s5
	s_mul_i32 s5, s9, s1
	v_mov_b32_e32 v0, s5
	s_add_u32 s11, s1, 1
	s_add_u32 s14, s1, 2
	v_sub_co_u32_e32 v0, vcc, s24, v0
	s_cmp_lg_u64 vcc, 0
	s_subb_u32 s5, s25, s20
	v_subrev_co_u32_e32 v1, vcc, s9, v0
	s_cmp_lg_u64 vcc, 0
	s_subb_u32 s20, s5, 0
	v_cmp_le_u32_e32 vcc, s9, v1
	s_cmp_eq_u32 s20, 0
	v_cndmask_b32_e64 v1, 0, -1, vcc
	s_cselect_b64 vcc, -1, 0
	v_cndmask_b32_e32 v1, -1, v1, vcc
	v_mov_b32_e32 v13, s11
	v_mov_b32_e32 v14, s14
	v_cmp_ne_u32_e32 vcc, 0, v1
	v_cndmask_b32_e32 v1, v13, v14, vcc
	v_cmp_le_u32_e32 vcc, s9, v0
	s_cmp_eq_u32 s5, 0
	v_cndmask_b32_e64 v0, 0, -1, vcc
	s_cselect_b64 vcc, -1, 0
	v_cndmask_b32_e32 v0, -1, v0, vcc
	v_mov_b32_e32 v13, s1
	v_cmp_ne_u32_e32 vcc, 0, v0
	v_cndmask_b32_e32 v0, v13, v1, vcc
	v_xor_b32_e32 v0, s0, v0
	v_subrev_co_u32_e32 v0, vcc, s0, v0
	s_cbranch_execnz .LBB36_11
.LBB36_10:
	s_sub_i32 s0, 0, s9
	v_mul_lo_u32 v0, s0, v11
	v_mul_hi_u32 v0, v11, v0
	v_add_u32_e32 v0, v11, v0
	v_mul_hi_u32 v0, s4, v0
	v_mul_lo_u32 v13, v0, s9
	v_sub_u32_e32 v13, s4, v13
	v_add_u32_e32 v1, 1, v0
	v_subrev_u32_e32 v14, s9, v13
	v_cmp_le_u32_e32 vcc, s9, v13
	v_cndmask_b32_e32 v13, v13, v14, vcc
	v_cndmask_b32_e32 v0, v0, v1, vcc
	v_add_u32_e32 v1, 1, v0
	v_cmp_le_u32_e32 vcc, s9, v13
	v_cndmask_b32_e32 v0, v0, v1, vcc
.LBB36_11:
	v_cmp_ne_u32_e32 vcc, v8, v0
	s_cbranch_vccz .LBB36_14
; %bb.12:
	s_add_i32 s0, s8, s9
	s_lshl_b32 s0, s0, 6
	v_mul_hi_u32 v1, v0, s16
	s_add_i32 s0, s0, s21
	s_mov_b32 s1, s10
	v_add_u32_e32 v1, v1, v0
	s_lshl_b64 s[0:1], s[0:1], 3
	v_lshrrev_b32_e32 v1, s17, v1
	s_add_u32 s4, s2, s0
	v_mul_lo_u32 v13, v1, s18
	s_addc_u32 s5, s3, s1
	v_cmp_eq_u32_e32 vcc, v13, v0
	v_cmp_gt_u32_e64 s[0:1], s19, v1
	s_or_b64 s[0:1], s[0:1], vcc
	s_and_b64 vcc, exec, s[0:1]
	s_cbranch_vccnz .LBB36_16
; %bb.13:
	s_add_i32 s11, s8, -1
	s_mov_b64 s[0:1], 0
	s_branch .LBB36_17
.LBB36_14:
                                        ; implicit-def: $sgpr0_sgpr1
                                        ; implicit-def: $vgpr14
                                        ; implicit-def: $vgpr1
                                        ; implicit-def: $vgpr13
                                        ; implicit-def: $sgpr11
                                        ; implicit-def: $vgpr0
	s_branch .LBB36_18
.LBB36_15:
                                        ; implicit-def: $vgpr0_vgpr1
	s_branch .LBB36_10
.LBB36_16:
	s_mov_b64 s[0:1], -1
	s_mov_b32 s11, s8
	v_mov_b32_e32 v0, v8
.LBB36_17:
	v_lshl_add_u32 v14, s8, 12, v4
	v_ashrrev_i32_e32 v15, 31, v14
	v_lshlrev_b64 v[14:15], 2, v[14:15]
	v_mov_b32_e32 v1, s23
	v_add_co_u32_e32 v14, vcc, s22, v14
	v_addc_co_u32_e32 v15, vcc, v1, v15, vcc
	global_load_dword v14, v[14:15], off
	s_load_dwordx2 s[4:5], s[4:5], 0x0
	v_max_f32_e32 v1, v7, v7
	s_waitcnt lgkmcnt(0)
	v_max_f32_e64 v13, s4, s4
	v_max_f32_e32 v1, v1, v13
	v_sub_f32_e32 v13, v7, v1
	v_sub_f32_e32 v15, s4, v1
	v_mul_f32_e32 v16, 0x3fb8aa3b, v13
	v_mul_f32_e32 v17, 0x3fb8aa3b, v15
	v_fma_f32 v18, v13, s6, -v16
	v_rndne_f32_e32 v19, v16
	v_fma_f32 v20, v15, s6, -v17
	v_rndne_f32_e32 v21, v17
	v_fmac_f32_e32 v18, 0x32a5705f, v13
	v_sub_f32_e32 v16, v16, v19
	v_fmac_f32_e32 v20, 0x32a5705f, v15
	v_sub_f32_e32 v17, v17, v21
	v_add_f32_e32 v16, v16, v18
	v_cvt_i32_f32_e32 v19, v19
	v_add_f32_e32 v17, v17, v20
	v_exp_f32_e32 v16, v16
	v_cvt_i32_f32_e32 v21, v21
	v_exp_f32_e32 v17, v17
	v_cmp_ngt_f32_e32 vcc, s7, v13
	v_ldexp_f32 v16, v16, v19
	v_cndmask_b32_e32 v16, 0, v16, vcc
	v_ldexp_f32 v17, v17, v21
	v_cmp_ngt_f32_e32 vcc, s7, v15
	v_cndmask_b32_e32 v17, 0, v17, vcc
	v_cmp_nlt_f32_e32 vcc, s12, v13
	v_cndmask_b32_e32 v16, v12, v16, vcc
	v_cmp_nlt_f32_e32 vcc, s12, v15
	v_cndmask_b32_e32 v17, v12, v17, vcc
	v_cmp_le_f32_e32 vcc, s13, v13
	v_cndmask_b32_e32 v16, 0, v16, vcc
	v_cmp_le_f32_e32 vcc, s13, v15
	v_cndmask_b32_e32 v15, 0, v17, vcc
	v_mul_f32_e32 v13, s5, v15
	v_fmac_f32_e32 v13, v6, v16
	s_waitcnt vmcnt(0)
	v_mul_f32_e32 v14, v14, v15
	v_fmac_f32_e32 v14, v5, v16
	s_cbranch_execnz .LBB36_19
.LBB36_18:
	s_add_i32 s11, s8, -1
	s_mov_b64 s[0:1], 0
	v_mov_b32_e32 v0, v8
	v_mov_b32_e32 v13, v6
	;; [unrolled: 1-line block ×3, first 2 shown]
	s_waitcnt vmcnt(0)
	v_mov_b32_e32 v14, v5
.LBB36_19:
	s_andn2_b64 vcc, exec, s[0:1]
	s_cbranch_vccz .LBB36_23
; %bb.20:
	v_mov_b32_e32 v8, v0
	s_mov_b32 s8, s11
	v_mov_b32_e32 v6, v13
	v_mov_b32_e32 v7, v1
	s_waitcnt vmcnt(0)
	v_mov_b32_e32 v5, v14
	s_mul_hi_i32 s11, s8, s15
	s_cmp_lg_u64 s[10:11], 0
	s_mul_i32 s4, s8, s15
	s_cbranch_scc1 .LBB36_9
	s_branch .LBB36_15
.LBB36_21:
                                        ; implicit-def: $sgpr20_sgpr21
	s_load_dwordx4 s[16:19], s[4:5], 0x44
	s_branch .LBB36_2
.LBB36_22:
                                        ; implicit-def: $vgpr2_vgpr3
	s_branch .LBB36_5
.LBB36_23:
	v_div_scale_f32 v0, s[0:1], v13, v13, v14
	v_rcp_f32_e32 v1, v0
	v_div_scale_f32 v4, vcc, v14, v13, v14
	s_waitcnt vmcnt(0)
	v_fma_f32 v5, -v0, v1, 1.0
	v_fmac_f32_e32 v1, v5, v1
	v_mul_f32_e32 v5, v4, v1
	v_fma_f32 v6, -v0, v5, v4
	v_fmac_f32_e32 v5, v6, v1
	v_fma_f32 v0, -v0, v5, v4
	v_div_fmas_f32 v0, v0, v1, v5
	v_div_fixup_f32 v0, v0, v13, v14
	global_store_dword v[2:3], v0, off
.LBB36_24:
	s_endpgm
	.section	.rodata,"a",@progbits
	.p2align	6, 0x0
	.amdhsa_kernel _ZL33flash_attn_stream_k_fixup_generalILi64ELi32ELi2EEvPfPK15HIP_vector_typeIfLj2EEiiiiS1_IjLj3EES5_S5_S5_
		.amdhsa_group_segment_fixed_size 0
		.amdhsa_private_segment_fixed_size 0
		.amdhsa_kernarg_size 336
		.amdhsa_user_sgpr_count 6
		.amdhsa_user_sgpr_private_segment_buffer 1
		.amdhsa_user_sgpr_dispatch_ptr 0
		.amdhsa_user_sgpr_queue_ptr 0
		.amdhsa_user_sgpr_kernarg_segment_ptr 1
		.amdhsa_user_sgpr_dispatch_id 0
		.amdhsa_user_sgpr_flat_scratch_init 0
		.amdhsa_user_sgpr_kernarg_preload_length 0
		.amdhsa_user_sgpr_kernarg_preload_offset 0
		.amdhsa_user_sgpr_private_segment_size 0
		.amdhsa_uses_dynamic_stack 0
		.amdhsa_system_sgpr_private_segment_wavefront_offset 0
		.amdhsa_system_sgpr_workgroup_id_x 1
		.amdhsa_system_sgpr_workgroup_id_y 1
		.amdhsa_system_sgpr_workgroup_id_z 1
		.amdhsa_system_sgpr_workgroup_info 0
		.amdhsa_system_vgpr_workitem_id 0
		.amdhsa_next_free_vgpr 22
		.amdhsa_next_free_sgpr 32
		.amdhsa_accum_offset 24
		.amdhsa_reserve_vcc 1
		.amdhsa_reserve_flat_scratch 0
		.amdhsa_float_round_mode_32 0
		.amdhsa_float_round_mode_16_64 0
		.amdhsa_float_denorm_mode_32 3
		.amdhsa_float_denorm_mode_16_64 3
		.amdhsa_dx10_clamp 1
		.amdhsa_ieee_mode 1
		.amdhsa_fp16_overflow 0
		.amdhsa_tg_split 0
		.amdhsa_exception_fp_ieee_invalid_op 0
		.amdhsa_exception_fp_denorm_src 0
		.amdhsa_exception_fp_ieee_div_zero 0
		.amdhsa_exception_fp_ieee_overflow 0
		.amdhsa_exception_fp_ieee_underflow 0
		.amdhsa_exception_fp_ieee_inexact 0
		.amdhsa_exception_int_div_zero 0
	.end_amdhsa_kernel
	.section	.text._ZL33flash_attn_stream_k_fixup_generalILi64ELi32ELi2EEvPfPK15HIP_vector_typeIfLj2EEiiiiS1_IjLj3EES5_S5_S5_,"axG",@progbits,_ZL33flash_attn_stream_k_fixup_generalILi64ELi32ELi2EEvPfPK15HIP_vector_typeIfLj2EEiiiiS1_IjLj3EES5_S5_S5_,comdat
.Lfunc_end36:
	.size	_ZL33flash_attn_stream_k_fixup_generalILi64ELi32ELi2EEvPfPK15HIP_vector_typeIfLj2EEiiiiS1_IjLj3EES5_S5_S5_, .Lfunc_end36-_ZL33flash_attn_stream_k_fixup_generalILi64ELi32ELi2EEvPfPK15HIP_vector_typeIfLj2EEiiiiS1_IjLj3EES5_S5_S5_
                                        ; -- End function
	.section	.AMDGPU.csdata,"",@progbits
; Kernel info:
; codeLenInByte = 2824
; NumSgprs: 36
; NumVgprs: 22
; NumAgprs: 0
; TotalNumVgprs: 22
; ScratchSize: 0
; MemoryBound: 0
; FloatMode: 240
; IeeeMode: 1
; LDSByteSize: 0 bytes/workgroup (compile time only)
; SGPRBlocks: 4
; VGPRBlocks: 2
; NumSGPRsForWavesPerEU: 36
; NumVGPRsForWavesPerEU: 22
; AccumOffset: 24
; Occupancy: 8
; WaveLimiterHint : 0
; COMPUTE_PGM_RSRC2:SCRATCH_EN: 0
; COMPUTE_PGM_RSRC2:USER_SGPR: 6
; COMPUTE_PGM_RSRC2:TRAP_HANDLER: 0
; COMPUTE_PGM_RSRC2:TGID_X_EN: 1
; COMPUTE_PGM_RSRC2:TGID_Y_EN: 1
; COMPUTE_PGM_RSRC2:TGID_Z_EN: 1
; COMPUTE_PGM_RSRC2:TIDIG_COMP_CNT: 0
; COMPUTE_PGM_RSRC3_GFX90A:ACCUM_OFFSET: 5
; COMPUTE_PGM_RSRC3_GFX90A:TG_SPLIT: 0
	.section	.text._ZL15flash_attn_tileILi64ELi64ELi16ELi2ELb0EEvPKcS1_S1_S1_S1_PKiPfP15HIP_vector_typeIfLj2EEffffjfiS5_IjLj3EEiiiiiiiiiiiliiliiiiil,"axG",@progbits,_ZL15flash_attn_tileILi64ELi64ELi16ELi2ELb0EEvPKcS1_S1_S1_S1_PKiPfP15HIP_vector_typeIfLj2EEffffjfiS5_IjLj3EEiiiiiiiiiiiliiliiiiil,comdat
	.globl	_ZL15flash_attn_tileILi64ELi64ELi16ELi2ELb0EEvPKcS1_S1_S1_S1_PKiPfP15HIP_vector_typeIfLj2EEffffjfiS5_IjLj3EEiiiiiiiiiiiliiliiiiil ; -- Begin function _ZL15flash_attn_tileILi64ELi64ELi16ELi2ELb0EEvPKcS1_S1_S1_S1_PKiPfP15HIP_vector_typeIfLj2EEffffjfiS5_IjLj3EEiiiiiiiiiiiliiliiiiil
	.p2align	8
	.type	_ZL15flash_attn_tileILi64ELi64ELi16ELi2ELb0EEvPKcS1_S1_S1_S1_PKiPfP15HIP_vector_typeIfLj2EEffffjfiS5_IjLj3EEiiiiiiiiiiiliiliiiiil,@function
_ZL15flash_attn_tileILi64ELi64ELi16ELi2ELb0EEvPKcS1_S1_S1_S1_PKiPfP15HIP_vector_typeIfLj2EEffffjfiS5_IjLj3EEiiiiiiiiiiiliiliiiiil: ; @_ZL15flash_attn_tileILi64ELi64ELi16ELi2ELb0EEvPKcS1_S1_S1_S1_PKiPfP15HIP_vector_typeIfLj2EEffffjfiS5_IjLj3EEiiiiiiiiiiiliiliiiiil
; %bb.0:
	s_load_dwordx4 s[0:3], s[4:5], 0x5c
	s_load_dwordx2 s[30:31], s[4:5], 0x80
	s_load_dwordx2 s[36:37], s[4:5], 0xb8
	s_mov_b64 s[34:35], 0
	s_waitcnt lgkmcnt(0)
	s_lshr_b32 s9, s3, 31
	s_add_i32 s9, s3, s9
	s_ashr_i32 s9, s9, 1
	v_cvt_f32_u32_e32 v1, s9
	s_sub_i32 s10, 0, s9
	v_rcp_iflag_f32_e32 v1, v1
	v_mul_f32_e32 v1, 0x4f7ffffe, v1
	v_cvt_u32_f32_e32 v1, v1
	v_readfirstlane_b32 s11, v1
	s_mul_i32 s10, s10, s11
	s_mul_hi_u32 s10, s11, s10
	s_add_i32 s11, s11, s10
	s_mul_hi_u32 s10, s8, s11
	s_mul_i32 s11, s10, s9
	s_sub_i32 s11, s8, s11
	s_add_i32 s12, s10, 1
	s_sub_i32 s13, s11, s9
	s_cmp_ge_u32 s11, s9
	s_cselect_b32 s10, s12, s10
	s_cselect_b32 s11, s13, s11
	s_add_i32 s12, s10, 1
	s_cmp_ge_u32 s11, s9
	s_cselect_b32 s33, s12, s10
	s_abs_i32 s9, s31
	v_cvt_f32_u32_e32 v1, s9
	s_lshl_b32 s8, s8, 1
	s_mul_i32 s12, s33, s3
	s_sub_i32 s13, 0, s9
	v_rcp_iflag_f32_e32 v1, v1
	s_sub_i32 s28, s8, s12
	s_abs_i32 s11, s3
	s_xor_b32 s10, s3, s31
	v_mul_f32_e32 v1, 0x4f7ffffe, v1
	v_cvt_u32_f32_e32 v1, v1
	s_ashr_i32 s10, s10, 31
	v_readfirstlane_b32 s8, v1
	s_mul_i32 s13, s13, s8
	s_mul_hi_u32 s12, s8, s13
	s_add_i32 s8, s8, s12
	s_mul_hi_u32 s8, s11, s8
	s_mul_i32 s12, s8, s9
	s_sub_i32 s11, s11, s12
	s_add_i32 s13, s8, 1
	s_sub_i32 s12, s11, s9
	s_cmp_ge_u32 s11, s9
	s_cselect_b32 s8, s13, s8
	s_cselect_b32 s11, s12, s11
	s_add_i32 s12, s8, 1
	s_cmp_ge_u32 s11, s9
	s_cselect_b32 s8, s12, s8
	s_xor_b32 s8, s8, s10
	s_sub_i32 s31, s8, s10
	s_abs_i32 s29, s31
	v_cvt_f32_u32_e32 v1, s29
	s_load_dwordx16 s[8:23], s[4:5], 0x0
	v_rcp_iflag_f32_e32 v1, v1
	s_waitcnt lgkmcnt(0)
	s_cmp_eq_u64 s[14:15], 0
	v_mul_f32_e32 v1, 0x4f7ffffe, v1
	v_cvt_u32_f32_e32 v1, v1
	v_readfirstlane_b32 s38, v1
	s_cbranch_scc1 .LBB37_2
; %bb.1:
	s_abs_i32 s26, s36
	v_cvt_f32_u32_e32 v1, s26
	s_sub_i32 s35, 0, s26
	s_abs_i32 s34, s33
	s_ashr_i32 s27, s33, 31
	v_rcp_iflag_f32_e32 v1, v1
	s_load_dwordx2 s[24:25], s[4:5], 0xc8
	v_mul_f32_e32 v1, 0x4f7ffffe, v1
	v_cvt_u32_f32_e32 v1, v1
	v_readfirstlane_b32 s36, v1
	s_mul_i32 s35, s35, s36
	s_mul_hi_u32 s35, s36, s35
	s_add_i32 s36, s36, s35
	s_mul_hi_u32 s35, s34, s36
	s_mul_i32 s35, s35, s26
	s_sub_i32 s34, s34, s35
	s_sub_i32 s35, s34, s26
	s_cmp_ge_u32 s34, s26
	s_cselect_b32 s34, s35, s34
	s_sub_i32 s35, s34, s26
	s_cmp_ge_u32 s34, s26
	s_cselect_b32 s26, s35, s34
	s_xor_b32 s26, s26, s27
	s_sub_i32 s26, s26, s27
	s_ashr_i32 s27, s26, 31
	s_waitcnt lgkmcnt(0)
	s_mul_i32 s25, s26, s25
	s_mul_hi_u32 s34, s26, s24
	s_add_i32 s25, s34, s25
	s_mul_i32 s27, s27, s24
	s_add_i32 s25, s25, s27
	s_mul_i32 s26, s26, s24
	s_add_u32 s34, s14, s26
	s_addc_u32 s35, s15, s25
.LBB37_2:
	s_load_dwordx4 s[24:27], s[4:5], 0x70
	v_bfe_u32 v5, v0, 10, 10
	s_lshl_b32 s14, s6, 4
	v_lshlrev_b32_e32 v31, 1, v5
	v_add_u32_e32 v33, s14, v31
	s_waitcnt lgkmcnt(0)
	s_mul_i32 s15, s33, s26
	s_ashr_i32 s27, s15, 31
	v_and_b32_e32 v32, 0x3ff, v0
	v_mul_hi_u32 v0, v33, s0
	s_mul_i32 s26, s28, s25
	s_add_u32 s8, s8, s15
	v_add_u32_e32 v0, v33, v0
	s_addc_u32 s9, s9, s27
	s_ashr_i32 s15, s26, 31
	v_lshrrev_b32_e32 v0, s1, v0
	s_add_u32 s26, s8, s26
	v_mul_lo_u32 v0, v0, s2
	s_addc_u32 s15, s9, s15
	s_ashr_i32 s36, s24, 31
	v_sub_u32_e32 v6, v33, v0
	v_mov_b32_e32 v0, s24
	v_alignbit_b32 v16, s36, v0, 2
	v_mad_u64_u32 v[0:1], s[8:9], v16, v6, 0
	v_mov_b32_e32 v2, v1
	s_lshr_b32 s24, s36, 2
	v_mad_u64_u32 v[2:3], s[8:9], s24, v6, v[2:3]
	v_mov_b32_e32 v1, v2
	v_lshlrev_b64 v[0:1], 2, v[0:1]
	v_mov_b32_e32 v2, s15
	v_add_co_u32_e32 v3, vcc, s26, v0
	v_lshlrev_b32_e32 v7, 2, v5
	s_ashr_i32 s27, s25, 31
	v_addc_co_u32_e32 v8, vcc, v2, v1, vcc
	v_lshlrev_b32_e32 v4, 3, v32
	s_and_b32 s8, s25, -4
	v_add_co_u32_e32 v2, vcc, v3, v4
	s_add_u32 s25, s26, s8
	v_or_b32_e32 v17, 2, v7
	v_addc_co_u32_e32 v3, vcc, 0, v8, vcc
	s_addc_u32 s27, s15, s27
	v_lshrrev_b32_e32 v29, 1, v17
	v_mov_b32_e32 v8, s27
	v_add_co_u32_e32 v0, vcc, s25, v0
	v_add_u32_e32 v30, s14, v29
	v_addc_co_u32_e32 v1, vcc, v8, v1, vcc
	v_mul_hi_u32 v8, v30, s0
	v_add_u32_e32 v8, v30, v8
	v_lshrrev_b32_e32 v8, s1, v8
	v_mul_lo_u32 v8, v8, s2
	v_sub_u32_e32 v11, v30, v8
	v_mad_u64_u32 v[8:9], s[8:9], v16, v11, 0
	v_mov_b32_e32 v10, v9
	v_mad_u64_u32 v[10:11], s[8:9], s24, v11, v[10:11]
	v_add_co_u32_e32 v0, vcc, v0, v4
	v_mov_b32_e32 v9, v10
	v_addc_co_u32_e32 v1, vcc, 0, v1, vcc
	v_lshlrev_b64 v[8:9], 2, v[8:9]
	v_mov_b32_e32 v10, s15
	v_add_co_u32_e32 v8, vcc, s26, v8
	v_addc_co_u32_e32 v9, vcc, v10, v9, vcc
	v_add_co_u32_e32 v8, vcc, v8, v4
	v_addc_co_u32_e32 v9, vcc, 0, v9, vcc
	global_load_dwordx2 v[10:11], v[2:3], off
	global_load_dwordx2 v[12:13], v[0:1], off
	;; [unrolled: 1-line block ×3, first 2 shown]
	v_or_b32_e32 v8, 3, v7
	v_lshrrev_b32_e32 v23, 1, v8
	v_add_u32_e32 v28, s14, v23
	v_mul_hi_u32 v0, v28, s0
	v_add_u32_e32 v0, v28, v0
	v_lshrrev_b32_e32 v0, s1, v0
	v_mul_lo_u32 v0, v0, s2
	v_sub_u32_e32 v3, v28, v0
	v_mad_u64_u32 v[0:1], s[8:9], v16, v3, 0
	v_mov_b32_e32 v2, v1
	v_mad_u64_u32 v[2:3], s[8:9], s24, v3, v[2:3]
	v_mov_b32_e32 v1, v2
	v_lshlrev_b64 v[0:1], 2, v[0:1]
	v_mov_b32_e32 v2, s27
	v_add_co_u32_e32 v0, vcc, s25, v0
	v_addc_co_u32_e32 v1, vcc, v2, v1, vcc
	v_add_co_u32_e32 v0, vcc, v0, v4
	v_addc_co_u32_e32 v1, vcc, 0, v1, vcc
	global_load_dwordx2 v[0:1], v[0:1], off
	s_load_dword s8, s[4:5], 0x40
	v_lshlrev_b32_e32 v3, 7, v5
	v_add_lshl_u32 v3, v3, v32, 2
	v_add_u32_e32 v3, 0x3400, v3
	s_cmp_eq_u64 s[18:19], 0
	s_waitcnt vmcnt(3) lgkmcnt(0)
	v_fma_mixlo_f16 v2, v10, s8, 0
	s_waitcnt vmcnt(2)
	v_fma_mixlo_f16 v9, v12, s8, 0
	v_fma_mixhi_f16 v2, v11, s8, 0
	v_fma_mixhi_f16 v9, v13, s8, 0
	ds_write2_b32 v3, v2, v9 offset1:32
	s_waitcnt vmcnt(1)
	v_fma_mixlo_f16 v2, v14, s8, 0
	v_lshlrev_b32_e32 v3, 5, v17
	v_fma_mixhi_f16 v2, v15, s8, 0
	v_add_lshl_u32 v3, v3, v32, 2
	ds_write_b32 v3, v2 offset:13312
	s_waitcnt vmcnt(0)
	v_fma_mixlo_f16 v0, v0, s8, 0
	v_fma_mixhi_f16 v0, v1, s8, 0
	v_lshlrev_b32_e32 v1, 5, v8
	v_add_lshl_u32 v1, v1, v32, 2
	ds_write_b32 v1, v0 offset:13312
	s_waitcnt lgkmcnt(0)
	s_barrier
	s_cbranch_scc1 .LBB37_4
; %bb.3:
	s_load_dword s8, s[4:5], 0xd0
	s_mov_b32 s9, 0
	s_waitcnt lgkmcnt(0)
	s_mul_i32 s8, s8, s33
	s_add_i32 s8, s8, s6
	s_lshl_b64 s[8:9], s[8:9], 2
	s_add_u32 s8, s18, s8
	s_addc_u32 s9, s19, s9
	s_load_dword s30, s[8:9], 0x0
.LBB37_4:
	s_lshl_b32 s15, s7, 6
	s_waitcnt lgkmcnt(0)
	s_cmp_lt_i32 s15, s30
	v_mbcnt_lo_u32_b32 v16, -1, 0
	s_cbranch_scc1 .LBB37_6
; %bb.5:
	v_mbcnt_hi_u32_b32 v34, -1, v16
	v_and_b32_e32 v0, 0x60, v34
	s_mov_b32 s6, 0
	v_add_u32_e32 v35, 32, v0
	v_xor_b32_e32 v38, 16, v34
	v_xor_b32_e32 v39, 8, v34
	;; [unrolled: 1-line block ×5, first 2 shown]
	s_mov_b64 s[8:9], 0
	s_mov_b32 s18, 0xfeffffff
	s_branch .LBB37_7
.LBB37_6:
	s_mov_b64 s[8:9], -1
                                        ; implicit-def: $sgpr18
                                        ; implicit-def: $sgpr6
                                        ; implicit-def: $vgpr34
                                        ; implicit-def: $vgpr35
                                        ; implicit-def: $vgpr38
                                        ; implicit-def: $vgpr39
                                        ; implicit-def: $vgpr40
                                        ; implicit-def: $vgpr37
                                        ; implicit-def: $vgpr36
.LBB37_7:
	s_andn2_b64 vcc, exec, s[8:9]
	v_mov_b32_e32 v3, s18
	v_mov_b32_e32 v9, s6
	;; [unrolled: 1-line block ×12, first 2 shown]
	s_cbranch_vccnz .LBB37_10
; %bb.8:
	s_load_dwordx2 s[18:19], s[4:5], 0x8c
	s_load_dwordx4 s[24:27], s[4:5], 0x98
	s_sub_i32 s6, 0, s29
	s_mul_i32 s6, s6, s38
	s_mul_hi_u32 s6, s38, s6
	s_waitcnt lgkmcnt(0)
	s_ashr_i32 s9, s18, 2
	s_ashr_i32 s8, s26, 2
	;; [unrolled: 1-line block ×4, first 2 shown]
	s_mul_i32 s25, s33, s25
	s_mul_hi_u32 s37, s33, s24
	s_add_i32 s25, s37, s25
	s_mul_i32 s37, s18, s24
	s_abs_i32 s36, s28
	s_add_i32 s38, s38, s6
	s_ashr_i32 s40, s28, 31
	s_ashr_i32 s31, s31, 31
	s_add_i32 s25, s25, s37
	s_mul_i32 s24, s33, s24
	s_mul_hi_u32 s6, s36, s38
	s_add_u32 s10, s10, s24
	s_addc_u32 s11, s11, s25
	s_mul_i32 s25, s6, s29
	s_sub_i32 s25, s36, s25
	s_xor_b32 s24, s40, s31
	s_add_i32 s31, s6, 1
	s_sub_i32 s36, s25, s29
	s_cmp_ge_u32 s25, s29
	s_cselect_b32 s6, s31, s6
	s_cselect_b32 s25, s36, s25
	s_add_i32 s31, s6, 1
	s_cmp_ge_u32 s25, s29
	s_cselect_b32 s6, s31, s6
	s_load_dwordx2 s[38:39], s[4:5], 0xa8
	s_xor_b32 s6, s6, s24
	s_sub_i32 s6, s6, s24
	s_mul_i32 s19, s6, s19
	s_ashr_i32 s24, s19, 31
	s_add_u32 s10, s10, s19
	s_addc_u32 s11, s11, s24
	s_waitcnt lgkmcnt(0)
	s_mul_i32 s19, s33, s39
	s_mul_hi_u32 s24, s33, s38
	v_lshlrev_b32_e32 v3, 9, v5
	v_add3_u32 v5, s14, v31, 1
	s_add_i32 s19, s24, s19
	s_mul_i32 s18, s18, s38
	v_mul_lo_u32 v46, v6, s26
	v_mul_hi_u32 v6, s0, v5
	s_add_i32 s19, s19, s18
	s_mul_i32 s18, s33, s38
	v_add_u32_e32 v6, v5, v6
	s_add_u32 s12, s12, s18
	s_mul_i32 s6, s6, s27
	v_lshrrev_b32_e32 v0, 3, v32
	v_lshrrev_b32_e32 v6, s1, v6
	s_addc_u32 s13, s13, s19
	s_ashr_i32 s18, s6, 31
	v_add_u32_e32 v0, v0, v7
	v_lshlrev_b32_e32 v41, 2, v32
	v_mul_lo_u32 v6, v6, s2
	s_add_u32 s12, s12, s6
	v_and_b32_e32 v2, 28, v41
	v_mul_lo_u32 v8, s9, v0
	v_sub_u32_e32 v5, v5, v6
	v_mul_lo_u32 v6, s8, v0
	s_addc_u32 s13, s13, s18
	v_lshlrev_b32_e32 v1, 2, v2
	s_movk_i32 s6, 0x90
	v_lshl_add_u32 v10, s9, 5, v8
	v_lshl_add_u32 v18, s8, 5, v6
	v_mbcnt_hi_u32_b32 v34, -1, v16
	v_mov_b32_e32 v65, 0
	v_mad_u32_u24 v42, v0, s6, v1
	v_ashrrev_i32_e32 v9, 31, v8
	v_ashrrev_i32_e32 v11, 31, v10
	v_add_u32_e32 v48, 0x2400, v3
	v_lshl_or_b32 v49, v0, 7, v1
	v_ashrrev_i32_e32 v7, 31, v6
	v_ashrrev_i32_e32 v19, 31, v18
	s_add_u32 s0, s4, 0xd0
	v_mov_b32_e32 v0, 0xfeffffff
	v_and_b32_e32 v1, 0x60, v34
	v_add_u32_e32 v43, 0x1200, v42
	v_mul_u32_u24_e32 v44, 0x90, v32
	v_add_u32_e32 v45, 0x3400, v3
	v_mul_lo_u32 v47, v5, s26
	v_add_u32_e32 v50, 0x1000, v49
	s_addc_u32 s1, s5, 0
	v_lshlrev_b64 v[12:13], 2, v[8:9]
	v_lshlrev_b32_e32 v51, 2, v2
	v_lshlrev_b64 v[14:15], 2, v[10:11]
	v_add_u32_e32 v35, 32, v1
	v_xor_b32_e32 v38, 16, v34
	v_xor_b32_e32 v39, 8, v34
	;; [unrolled: 1-line block ×5, first 2 shown]
	v_mov_b32_e32 v52, s35
	s_mov_b32 s6, 0x40051340
	s_mov_b32 s18, 0x3fb8aa3b
	;; [unrolled: 1-line block ×4, first 2 shown]
	v_mov_b32_e32 v53, 0x7f800000
	v_add_u32_e32 v54, v48, v4
	v_lshlrev_b64 v[16:17], 2, v[6:7]
	v_lshlrev_b64 v[18:19], 2, v[18:19]
	v_add_u32_e32 v55, 0x400, v41
	v_add_u32_e32 v56, 0x800, v41
	;; [unrolled: 1-line block ×7, first 2 shown]
	v_mov_b32_e32 v62, 0
	v_mov_b32_e32 v63, 0
	;; [unrolled: 1-line block ×10, first 2 shown]
.LBB37_9:                               ; =>This Inner Loop Header: Depth=1
	s_mul_hi_i32 s27, s15, s9
	s_mul_i32 s26, s15, s9
	s_lshl_b64 s[26:27], s[26:27], 2
	s_add_u32 s25, s10, s26
	s_addc_u32 s26, s11, s27
	v_add_co_u32_e32 v4, vcc, s25, v12
	v_mov_b32_e32 v5, s26
	v_addc_co_u32_e32 v5, vcc, v5, v13, vcc
	v_add_co_u32_e32 v4, vcc, v4, v51
	v_addc_co_u32_e32 v5, vcc, 0, v5, vcc
	global_load_dwordx4 v[4:7], v[4:5], off
	v_mov_b32_e32 v24, 0
	v_mov_b32_e32 v20, 0
	;; [unrolled: 1-line block ×4, first 2 shown]
	s_mul_hi_i32 s27, s15, s8
	s_waitcnt vmcnt(0)
	ds_write_b128 v42, v[4:7]
	v_add_co_u32_e32 v4, vcc, s25, v14
	v_mov_b32_e32 v5, s26
	v_addc_co_u32_e32 v5, vcc, v5, v15, vcc
	v_add_co_u32_e32 v4, vcc, v4, v51
	v_addc_co_u32_e32 v5, vcc, 0, v5, vcc
	global_load_dwordx4 v[4:7], v[4:5], off
	v_cmp_lt_i32_e32 vcc, v38, v35
	v_cndmask_b32_e32 v22, v34, v38, vcc
	v_cmp_lt_i32_e32 vcc, v39, v35
	s_mul_i32 s26, s15, s8
	s_lshl_b64 s[26:27], s[26:27], 2
	s_add_u32 s25, s12, s26
	s_addc_u32 s26, s13, s27
	s_waitcnt vmcnt(0)
	ds_write_b128 v43, v[4:7]
	s_waitcnt lgkmcnt(0)
	s_barrier
	ds_read_b128 v[66:69], v44
	ds_read_b128 v[70:73], v44 offset:4608
	ds_read_b128 v[74:77], v45
	ds_read_b128 v[78:81], v45 offset:128
	ds_read_b128 v[82:85], v45 offset:256
	;; [unrolled: 1-line block ×3, first 2 shown]
	v_mov_b32_e32 v6, 0
	s_waitcnt lgkmcnt(3)
	;;#ASMSTART
	v_dot2_f32_f16 v6, v66, v74, v6
	;;#ASMEND
	;;#ASMSTART
	v_dot2_f32_f16 v6, v67, v75, v6
	;;#ASMEND
	;; [unrolled: 3-line block ×3, first 2 shown]
	v_mov_b32_e32 v7, 0
	;;#ASMSTART
	v_dot2_f32_f16 v6, v69, v77, v6
	;;#ASMEND
	s_waitcnt lgkmcnt(2)
	;;#ASMSTART
	v_dot2_f32_f16 v7, v66, v78, v7
	;;#ASMEND
	;;#ASMSTART
	v_dot2_f32_f16 v7, v67, v79, v7
	;;#ASMEND
	;;#ASMSTART
	v_dot2_f32_f16 v7, v68, v80, v7
	;;#ASMEND
	;;#ASMSTART
	v_dot2_f32_f16 v7, v69, v81, v7
	;;#ASMEND
	s_waitcnt lgkmcnt(1)
	;;#ASMSTART
	v_dot2_f32_f16 v24, v66, v82, v24
	;;#ASMEND
	;;#ASMSTART
	v_dot2_f32_f16 v24, v67, v83, v24
	;;#ASMEND
	;;#ASMSTART
	v_dot2_f32_f16 v24, v68, v84, v24
	;;#ASMEND
	;; [unrolled: 13-line block ×3, first 2 shown]
	v_mov_b32_e32 v4, 0
	;;#ASMSTART
	v_dot2_f32_f16 v20, v69, v89, v20
	;;#ASMEND
	;;#ASMSTART
	v_dot2_f32_f16 v4, v70, v74, v4
	;;#ASMEND
	;; [unrolled: 3-line block ×4, first 2 shown]
	v_mov_b32_e32 v5, 0
	;;#ASMSTART
	v_dot2_f32_f16 v4, v73, v77, v4
	;;#ASMEND
	;;#ASMSTART
	v_dot2_f32_f16 v5, v70, v78, v5
	;;#ASMEND
	;; [unrolled: 3-line block ×13, first 2 shown]
	ds_read_b128 v[66:69], v44 offset:16
	ds_read_b128 v[70:73], v44 offset:4624
	;; [unrolled: 1-line block ×6, first 2 shown]
	s_waitcnt lgkmcnt(3)
	;;#ASMSTART
	v_dot2_f32_f16 v6, v66, v74, v6
	;;#ASMEND
	;;#ASMSTART
	v_dot2_f32_f16 v6, v67, v75, v6
	;;#ASMEND
	;;#ASMSTART
	v_dot2_f32_f16 v6, v68, v76, v6
	;;#ASMEND
	;;#ASMSTART
	v_dot2_f32_f16 v6, v69, v77, v6
	;;#ASMEND
	s_waitcnt lgkmcnt(2)
	;;#ASMSTART
	v_dot2_f32_f16 v7, v66, v78, v7
	;;#ASMEND
	;;#ASMSTART
	v_dot2_f32_f16 v7, v67, v79, v7
	;;#ASMEND
	;;#ASMSTART
	v_dot2_f32_f16 v7, v68, v80, v7
	;;#ASMEND
	;;#ASMSTART
	v_dot2_f32_f16 v7, v69, v81, v7
	;;#ASMEND
	;; [unrolled: 13-line block ×4, first 2 shown]
	;;#ASMSTART
	v_dot2_f32_f16 v4, v70, v74, v4
	;;#ASMEND
	;;#ASMSTART
	v_dot2_f32_f16 v4, v71, v75, v4
	;;#ASMEND
	;; [unrolled: 3-line block ×16, first 2 shown]
	ds_read_b128 v[66:69], v44 offset:32
	ds_read_b128 v[70:73], v44 offset:4640
	;; [unrolled: 1-line block ×6, first 2 shown]
	s_waitcnt lgkmcnt(3)
	;;#ASMSTART
	v_dot2_f32_f16 v6, v66, v74, v6
	;;#ASMEND
	;;#ASMSTART
	v_dot2_f32_f16 v6, v67, v75, v6
	;;#ASMEND
	;;#ASMSTART
	v_dot2_f32_f16 v6, v68, v76, v6
	;;#ASMEND
	;;#ASMSTART
	v_dot2_f32_f16 v6, v69, v77, v6
	;;#ASMEND
	s_waitcnt lgkmcnt(2)
	;;#ASMSTART
	v_dot2_f32_f16 v7, v66, v78, v7
	;;#ASMEND
	;;#ASMSTART
	v_dot2_f32_f16 v7, v67, v79, v7
	;;#ASMEND
	;;#ASMSTART
	v_dot2_f32_f16 v7, v68, v80, v7
	;;#ASMEND
	;;#ASMSTART
	v_dot2_f32_f16 v7, v69, v81, v7
	;;#ASMEND
	;; [unrolled: 13-line block ×4, first 2 shown]
	;;#ASMSTART
	v_dot2_f32_f16 v4, v70, v74, v4
	;;#ASMEND
	;;#ASMSTART
	v_dot2_f32_f16 v4, v71, v75, v4
	;;#ASMEND
	;; [unrolled: 3-line block ×16, first 2 shown]
	ds_read_b128 v[66:69], v44 offset:48
	ds_read_b128 v[70:73], v44 offset:4656
	;; [unrolled: 1-line block ×6, first 2 shown]
	s_waitcnt lgkmcnt(3)
	;;#ASMSTART
	v_dot2_f32_f16 v6, v66, v74, v6
	;;#ASMEND
	;;#ASMSTART
	v_dot2_f32_f16 v6, v67, v75, v6
	;;#ASMEND
	;;#ASMSTART
	v_dot2_f32_f16 v6, v68, v76, v6
	;;#ASMEND
	;;#ASMSTART
	v_dot2_f32_f16 v6, v69, v77, v6
	;;#ASMEND
	s_waitcnt lgkmcnt(2)
	;;#ASMSTART
	v_dot2_f32_f16 v7, v66, v78, v7
	;;#ASMEND
	;;#ASMSTART
	v_dot2_f32_f16 v7, v67, v79, v7
	;;#ASMEND
	;;#ASMSTART
	v_dot2_f32_f16 v7, v68, v80, v7
	;;#ASMEND
	;;#ASMSTART
	v_dot2_f32_f16 v7, v69, v81, v7
	;;#ASMEND
	;; [unrolled: 13-line block ×4, first 2 shown]
	;;#ASMSTART
	v_dot2_f32_f16 v4, v70, v74, v4
	;;#ASMEND
	;;#ASMSTART
	v_dot2_f32_f16 v4, v71, v75, v4
	;;#ASMEND
	;;#ASMSTART
	v_dot2_f32_f16 v4, v72, v76, v4
	;;#ASMEND
	;;#ASMSTART
	v_dot2_f32_f16 v4, v73, v77, v4
	;;#ASMEND
	;;#ASMSTART
	v_dot2_f32_f16 v5, v70, v78, v5
	;;#ASMEND
	;;#ASMSTART
	v_dot2_f32_f16 v5, v71, v79, v5
	;;#ASMEND
	;;#ASMSTART
	v_dot2_f32_f16 v5, v72, v80, v5
	;;#ASMEND
	;;#ASMSTART
	v_dot2_f32_f16 v5, v73, v81, v5
	;;#ASMEND
	;;#ASMSTART
	v_dot2_f32_f16 v25, v70, v82, v25
	;;#ASMEND
	;;#ASMSTART
	v_dot2_f32_f16 v25, v71, v83, v25
	;;#ASMEND
	;;#ASMSTART
	v_dot2_f32_f16 v25, v72, v84, v25
	;;#ASMEND
	;;#ASMSTART
	v_dot2_f32_f16 v25, v73, v85, v25
	;;#ASMEND
	;;#ASMSTART
	v_dot2_f32_f16 v21, v70, v86, v21
	;;#ASMEND
	;;#ASMSTART
	v_dot2_f32_f16 v21, v71, v87, v21
	;;#ASMEND
	;;#ASMSTART
	v_dot2_f32_f16 v21, v72, v88, v21
	;;#ASMEND
	;;#ASMSTART
	v_dot2_f32_f16 v21, v73, v89, v21
	;;#ASMEND
	ds_read_b128 v[66:69], v44 offset:64
	ds_read_b128 v[70:73], v44 offset:4672
	;; [unrolled: 1-line block ×6, first 2 shown]
	s_waitcnt lgkmcnt(3)
	;;#ASMSTART
	v_dot2_f32_f16 v6, v66, v74, v6
	;;#ASMEND
	;;#ASMSTART
	v_dot2_f32_f16 v6, v67, v75, v6
	;;#ASMEND
	;;#ASMSTART
	v_dot2_f32_f16 v6, v68, v76, v6
	;;#ASMEND
	;;#ASMSTART
	v_dot2_f32_f16 v6, v69, v77, v6
	;;#ASMEND
	s_waitcnt lgkmcnt(2)
	;;#ASMSTART
	v_dot2_f32_f16 v7, v66, v78, v7
	;;#ASMEND
	;;#ASMSTART
	v_dot2_f32_f16 v7, v67, v79, v7
	;;#ASMEND
	;;#ASMSTART
	v_dot2_f32_f16 v7, v68, v80, v7
	;;#ASMEND
	;;#ASMSTART
	v_dot2_f32_f16 v7, v69, v81, v7
	;;#ASMEND
	;; [unrolled: 13-line block ×4, first 2 shown]
	;;#ASMSTART
	v_dot2_f32_f16 v4, v70, v74, v4
	;;#ASMEND
	;;#ASMSTART
	v_dot2_f32_f16 v4, v71, v75, v4
	;;#ASMEND
	;; [unrolled: 3-line block ×16, first 2 shown]
	ds_read_b128 v[66:69], v44 offset:80
	ds_read_b128 v[70:73], v44 offset:4688
	;; [unrolled: 1-line block ×6, first 2 shown]
	s_waitcnt lgkmcnt(3)
	;;#ASMSTART
	v_dot2_f32_f16 v6, v66, v74, v6
	;;#ASMEND
	;;#ASMSTART
	v_dot2_f32_f16 v6, v67, v75, v6
	;;#ASMEND
	;;#ASMSTART
	v_dot2_f32_f16 v6, v68, v76, v6
	;;#ASMEND
	;;#ASMSTART
	v_dot2_f32_f16 v6, v69, v77, v6
	;;#ASMEND
	s_waitcnt lgkmcnt(2)
	;;#ASMSTART
	v_dot2_f32_f16 v7, v66, v78, v7
	;;#ASMEND
	;;#ASMSTART
	v_dot2_f32_f16 v7, v67, v79, v7
	;;#ASMEND
	;;#ASMSTART
	v_dot2_f32_f16 v7, v68, v80, v7
	;;#ASMEND
	;;#ASMSTART
	v_dot2_f32_f16 v7, v69, v81, v7
	;;#ASMEND
	;; [unrolled: 13-line block ×4, first 2 shown]
	;;#ASMSTART
	v_dot2_f32_f16 v4, v70, v74, v4
	;;#ASMEND
	;;#ASMSTART
	v_dot2_f32_f16 v4, v71, v75, v4
	;;#ASMEND
	;; [unrolled: 3-line block ×16, first 2 shown]
	ds_read_b128 v[66:69], v44 offset:96
	ds_read_b128 v[70:73], v44 offset:4704
	;; [unrolled: 1-line block ×6, first 2 shown]
	s_waitcnt lgkmcnt(3)
	;;#ASMSTART
	v_dot2_f32_f16 v6, v66, v74, v6
	;;#ASMEND
	;;#ASMSTART
	v_dot2_f32_f16 v6, v67, v75, v6
	;;#ASMEND
	;;#ASMSTART
	v_dot2_f32_f16 v6, v68, v76, v6
	;;#ASMEND
	;;#ASMSTART
	v_dot2_f32_f16 v6, v69, v77, v6
	;;#ASMEND
	s_waitcnt lgkmcnt(2)
	;;#ASMSTART
	v_dot2_f32_f16 v7, v66, v78, v7
	;;#ASMEND
	;;#ASMSTART
	v_dot2_f32_f16 v7, v67, v79, v7
	;;#ASMEND
	;;#ASMSTART
	v_dot2_f32_f16 v7, v68, v80, v7
	;;#ASMEND
	;;#ASMSTART
	v_dot2_f32_f16 v7, v69, v81, v7
	;;#ASMEND
	;; [unrolled: 13-line block ×4, first 2 shown]
	;;#ASMSTART
	v_dot2_f32_f16 v4, v70, v74, v4
	;;#ASMEND
	;;#ASMSTART
	v_dot2_f32_f16 v4, v71, v75, v4
	;;#ASMEND
	;; [unrolled: 3-line block ×16, first 2 shown]
	ds_read_b128 v[66:69], v44 offset:112
	ds_read_b128 v[70:73], v44 offset:4720
	;; [unrolled: 1-line block ×6, first 2 shown]
	s_waitcnt lgkmcnt(3)
	;;#ASMSTART
	v_dot2_f32_f16 v6, v66, v74, v6
	;;#ASMEND
	;;#ASMSTART
	v_dot2_f32_f16 v6, v67, v75, v6
	;;#ASMEND
	;;#ASMSTART
	v_dot2_f32_f16 v6, v68, v76, v6
	;;#ASMEND
	;;#ASMSTART
	v_dot2_f32_f16 v6, v69, v77, v6
	;;#ASMEND
	s_waitcnt lgkmcnt(2)
	;;#ASMSTART
	v_dot2_f32_f16 v7, v66, v78, v7
	;;#ASMEND
	;;#ASMSTART
	v_dot2_f32_f16 v7, v67, v79, v7
	;;#ASMEND
	;;#ASMSTART
	v_dot2_f32_f16 v7, v68, v80, v7
	;;#ASMEND
	;;#ASMSTART
	v_dot2_f32_f16 v7, v69, v81, v7
	;;#ASMEND
	;; [unrolled: 13-line block ×4, first 2 shown]
	;;#ASMSTART
	v_dot2_f32_f16 v4, v70, v74, v4
	;;#ASMEND
	;;#ASMSTART
	v_dot2_f32_f16 v4, v71, v75, v4
	;;#ASMEND
	;; [unrolled: 3-line block ×9, first 2 shown]
	v_add_u32_e32 v66, s15, v32
	;;#ASMSTART
	v_dot2_f32_f16 v25, v71, v83, v25
	;;#ASMEND
	v_lshlrev_b32_e32 v74, 2, v22
	v_cndmask_b32_e32 v22, v34, v39, vcc
	v_cmp_lt_i32_e32 vcc, v40, v35
	v_add_u32_e32 v26, v66, v46
	;;#ASMSTART
	v_dot2_f32_f16 v25, v72, v84, v25
	;;#ASMEND
	v_lshlrev_b32_e32 v75, 2, v22
	v_cndmask_b32_e32 v22, v34, v40, vcc
	v_cmp_lt_i32_e32 vcc, v37, v35
	v_ashrrev_i32_e32 v27, 31, v26
	;;#ASMSTART
	v_dot2_f32_f16 v25, v73, v85, v25
	;;#ASMEND
	;;#ASMSTART
	v_dot2_f32_f16 v21, v70, v86, v21
	;;#ASMEND
	v_lshlrev_b32_e32 v76, 2, v22
	v_cndmask_b32_e32 v22, v34, v37, vcc
	v_cmp_lt_i32_e32 vcc, v36, v35
	v_lshlrev_b64 v[26:27], 1, v[26:27]
	;;#ASMSTART
	v_dot2_f32_f16 v21, v71, v87, v21
	;;#ASMEND
	v_lshlrev_b32_e32 v77, 2, v22
	v_cndmask_b32_e32 v22, v34, v36, vcc
	v_add_co_u32_e32 v26, vcc, s34, v26
	;;#ASMSTART
	v_dot2_f32_f16 v21, v72, v88, v21
	;;#ASMEND
	v_addc_co_u32_e32 v27, vcc, v52, v27, vcc
	;;#ASMSTART
	v_dot2_f32_f16 v21, v73, v89, v21
	;;#ASMEND
	v_lshlrev_b32_e32 v78, 2, v22
	flat_load_ushort v22, v[26:27]
	s_waitcnt vmcnt(0) lgkmcnt(0)
	v_cvt_f32_f16_e32 v68, v22
	flat_load_ushort v22, v[26:27] offset:64
	v_add_u32_e32 v26, v66, v47
	v_ashrrev_i32_e32 v27, 31, v26
	v_lshlrev_b64 v[26:27], 1, v[26:27]
	v_add_co_u32_e32 v26, vcc, s34, v26
	v_addc_co_u32_e32 v27, vcc, v52, v27, vcc
	flat_load_ushort v66, v[26:27]
	flat_load_ushort v67, v[26:27] offset:64
	s_waitcnt lgkmcnt(0)
	s_barrier
	s_waitcnt vmcnt(0)
	v_cvt_f32_f16_e32 v22, v22
	v_pk_add_f32 v[4:5], v[4:5], v[22:23] op_sel_hi:[1,0]
	v_cvt_f32_f16_e32 v26, v66
	v_cvt_f32_f16_e32 v27, v67
	v_add_f32_e32 v24, v24, v26
	v_pk_add_f32 v[70:71], v[20:21], v[26:27]
	v_add_f32_e32 v66, v25, v27
	v_mov_b32_e32 v25, v70
	v_mov_b32_e32 v67, v71
	v_pk_add_f32 v[20:21], v[24:25], s[6:7] op_sel_hi:[1,0]
	v_pk_add_f32 v[72:73], v[66:67], s[6:7] op_sel_hi:[1,0]
	v_mov_b32_e32 v26, v2
	v_max3_f32 v2, v2, v20, v72
	ds_bpermute_b32 v20, v74, v2
	v_mov_b32_e32 v27, v3
	v_max3_f32 v3, v3, v21, v73
	ds_bpermute_b32 v21, v74, v3
	s_waitcnt lgkmcnt(1)
	v_max_f32_e32 v20, v20, v20
	v_max_f32_e32 v2, v2, v20
	ds_bpermute_b32 v20, v75, v2
	s_waitcnt lgkmcnt(1)
	v_max_f32_e32 v21, v21, v21
	v_max_f32_e32 v3, v3, v21
	;; [unrolled: 4-line block ×9, first 2 shown]
	v_sub_f32_e32 v20, v24, v2
	s_waitcnt lgkmcnt(0)
	v_max_f32_e32 v21, v21, v21
	v_max_f32_e32 v3, v3, v21
	v_mul_f32_e32 v21, 0x3fb8aa3b, v20
	v_fma_f32 v24, v20, s18, -v21
	v_rndne_f32_e32 v25, v21
	v_fmac_f32_e32 v24, 0x32a5705f, v20
	v_sub_f32_e32 v21, v21, v25
	v_add_f32_e32 v21, v21, v24
	v_exp_f32_e32 v21, v21
	v_cvt_i32_f32_e32 v24, v25
	v_cmp_ngt_f32_e32 vcc, s19, v20
	v_pk_add_f32 v[26:27], v[26:27], v[2:3] neg_lo:[0,1] neg_hi:[0,1]
	v_mov_b32_e32 v72, v3
	v_ldexp_f32 v21, v21, v24
	v_cndmask_b32_e32 v21, 0, v21, vcc
	v_cmp_nlt_f32_e32 vcc, s24, v20
	v_cndmask_b32_e32 v20, v53, v21, vcc
	v_sub_f32_e32 v21, v66, v2
	v_mul_f32_e32 v24, 0x3fb8aa3b, v21
	v_fma_f32 v25, v21, s18, -v24
	v_rndne_f32_e32 v66, v24
	v_fmac_f32_e32 v25, 0x32a5705f, v21
	v_sub_f32_e32 v24, v24, v66
	v_add_f32_e32 v24, v24, v25
	v_exp_f32_e32 v24, v24
	v_cvt_i32_f32_e32 v25, v66
	v_cmp_ngt_f32_e32 vcc, s19, v21
	v_pk_add_f32 v[70:71], v[70:71], v[72:73] op_sel_hi:[1,0] neg_lo:[0,1] neg_hi:[0,1]
	v_pk_add_f32 v[72:73], v[4:5], s[6:7] op_sel_hi:[1,0]
	v_ldexp_f32 v24, v24, v25
	v_cndmask_b32_e32 v24, 0, v24, vcc
	v_cmp_nlt_f32_e32 vcc, s24, v21
	v_mul_f32_e32 v21, 0x3fb8aa3b, v27
	v_fma_f32 v25, v27, s18, -v21
	v_rndne_f32_e32 v66, v21
	v_fmac_f32_e32 v25, 0x32a5705f, v27
	v_sub_f32_e32 v21, v21, v66
	v_add_f32_e32 v21, v21, v25
	v_exp_f32_e32 v21, v21
	v_cvt_i32_f32_e32 v25, v66
	v_cndmask_b32_e32 v24, v53, v24, vcc
	v_cmp_ngt_f32_e32 vcc, s19, v27
	v_cvt_f16_f32_e32 v79, v20
	v_ldexp_f32 v21, v21, v25
	v_cndmask_b32_e32 v21, 0, v21, vcc
	v_cmp_nlt_f32_e32 vcc, s24, v27
	v_cndmask_b32_e32 v27, v53, v21, vcc
	v_mul_f32_e32 v21, 0x3fb8aa3b, v26
	v_fma_f32 v25, v26, s18, -v21
	v_rndne_f32_e32 v66, v21
	v_fmac_f32_e32 v25, 0x32a5705f, v26
	v_sub_f32_e32 v21, v21, v66
	v_add_f32_e32 v21, v21, v25
	v_exp_f32_e32 v21, v21
	v_cvt_i32_f32_e32 v25, v66
	v_cmp_ngt_f32_e32 vcc, s19, v26
	v_cvt_f16_f32_e32 v80, v24
	v_ldexp_f32 v21, v21, v25
	v_cndmask_b32_e32 v21, 0, v21, vcc
	v_cmp_nlt_f32_e32 vcc, s24, v26
	v_cndmask_b32_e32 v26, v53, v21, vcc
	v_mul_f32_e32 v21, 0x3fb8aa3b, v71
	v_fma_f32 v25, v71, s18, -v21
	v_rndne_f32_e32 v67, v21
	v_fmac_f32_e32 v25, 0x32a5705f, v71
	v_sub_f32_e32 v21, v21, v67
	v_add_f32_e32 v21, v21, v25
	v_exp_f32_e32 v21, v21
	v_cvt_i32_f32_e32 v25, v67
	;; [unrolled: 14-line block ×3, first 2 shown]
	v_pk_add_f32 v[6:7], v[6:7], v[68:69] op_sel_hi:[1,0]
	v_cmp_ngt_f32_e32 vcc, s19, v70
	v_pk_add_f32 v[68:69], v[6:7], s[6:7] op_sel_hi:[1,0]
	v_ldexp_f32 v21, v21, v67
	v_cvt_f16_f32_e32 v67, v27
	v_cndmask_b32_e32 v21, 0, v21, vcc
	v_cmp_nlt_f32_e32 vcc, s24, v70
	v_mov_b32_e32 v70, v0
	v_mov_b32_e32 v71, v1
	v_max3_f32 v1, v1, v69, v73
	v_max3_f32 v0, v0, v68, v72
	v_pk_mul_f16 v65, v67, v65 op_sel_hi:[0,1]
	ds_bpermute_b32 v22, v74, v0
	ds_bpermute_b32 v67, v74, v1
	v_cndmask_b32_e32 v21, v53, v21, vcc
	v_cvt_f16_f32_e32 v81, v21
	v_cvt_f16_f32_e32 v82, v25
	s_waitcnt lgkmcnt(1)
	v_max_f32_e32 v22, v22, v22
	s_waitcnt lgkmcnt(0)
	v_max_f32_e32 v67, v67, v67
	v_max_f32_e32 v1, v1, v67
	v_max_f32_e32 v0, v0, v22
	ds_bpermute_b32 v22, v75, v0
	ds_bpermute_b32 v67, v75, v1
	s_waitcnt lgkmcnt(1)
	v_max_f32_e32 v22, v22, v22
	s_waitcnt lgkmcnt(0)
	v_max_f32_e32 v67, v67, v67
	v_max_f32_e32 v1, v1, v67
	v_max_f32_e32 v0, v0, v22
	ds_bpermute_b32 v22, v76, v0
	ds_bpermute_b32 v67, v76, v1
	;; [unrolled: 8-line block ×4, first 2 shown]
	s_waitcnt lgkmcnt(1)
	v_max_f32_e32 v22, v22, v22
	s_waitcnt lgkmcnt(0)
	v_max_f32_e32 v67, v67, v67
	v_max_f32_e32 v1, v1, v67
	;; [unrolled: 1-line block ×3, first 2 shown]
	v_pk_add_f32 v[6:7], v[6:7], v[0:1] neg_lo:[0,1] neg_hi:[0,1]
	v_mul_f32_e32 v22, 0x3fb8aa3b, v7
	v_fma_f32 v67, v7, s18, -v22
	v_rndne_f32_e32 v68, v22
	v_fmac_f32_e32 v67, 0x32a5705f, v7
	v_sub_f32_e32 v22, v22, v68
	v_add_f32_e32 v22, v22, v67
	v_exp_f32_e32 v22, v22
	v_cvt_i32_f32_e32 v67, v68
	v_cmp_ngt_f32_e32 vcc, s19, v7
	v_pk_add_f32 v[4:5], v[4:5], v[0:1] neg_lo:[0,1] neg_hi:[0,1]
	v_ldexp_f32 v22, v22, v67
	v_cndmask_b32_e32 v22, 0, v22, vcc
	v_cmp_nlt_f32_e32 vcc, s24, v7
	v_cndmask_b32_e32 v7, v53, v22, vcc
	v_mul_f32_e32 v22, 0x3fb8aa3b, v6
	v_fma_f32 v67, v6, s18, -v22
	v_rndne_f32_e32 v68, v22
	v_fmac_f32_e32 v67, 0x32a5705f, v6
	v_sub_f32_e32 v22, v22, v68
	v_add_f32_e32 v22, v22, v67
	v_exp_f32_e32 v22, v22
	v_cvt_i32_f32_e32 v67, v68
	v_cmp_ngt_f32_e32 vcc, s19, v6
	v_cvt_f16_f32_e32 v72, v7
	v_ldexp_f32 v22, v22, v67
	v_cndmask_b32_e32 v22, 0, v22, vcc
	v_cmp_nlt_f32_e32 vcc, s24, v6
	v_cndmask_b32_e32 v6, v53, v22, vcc
	v_mul_f32_e32 v22, 0x3fb8aa3b, v5
	v_fma_f32 v67, v5, s18, -v22
	v_rndne_f32_e32 v68, v22
	v_fmac_f32_e32 v67, 0x32a5705f, v5
	v_sub_f32_e32 v22, v22, v68
	v_add_f32_e32 v22, v22, v67
	v_exp_f32_e32 v22, v22
	v_cvt_i32_f32_e32 v67, v68
	v_cmp_ngt_f32_e32 vcc, s19, v5
	v_cvt_f16_f32_e32 v73, v6
	v_ldexp_f32 v22, v22, v67
	v_cndmask_b32_e32 v22, 0, v22, vcc
	v_cmp_nlt_f32_e32 vcc, s24, v5
	v_cndmask_b32_e32 v5, v53, v22, vcc
	v_mul_f32_e32 v22, 0x3fb8aa3b, v4
	v_fma_f32 v67, v4, s18, -v22
	v_rndne_f32_e32 v68, v22
	v_fmac_f32_e32 v67, 0x32a5705f, v4
	v_sub_f32_e32 v22, v22, v68
	v_add_f32_e32 v22, v22, v67
	v_exp_f32_e32 v22, v22
	v_cvt_i32_f32_e32 v67, v68
	v_cmp_ngt_f32_e32 vcc, s19, v4
	v_pk_add_f32 v[68:69], v[70:71], v[0:1] neg_lo:[0,1] neg_hi:[0,1]
	v_ldexp_f32 v22, v22, v67
	v_cndmask_b32_e32 v22, 0, v22, vcc
	v_cmp_nlt_f32_e32 vcc, s24, v4
	v_cndmask_b32_e32 v4, v53, v22, vcc
	v_mul_f32_e32 v22, 0x3fb8aa3b, v69
	v_fma_f32 v67, v69, s18, -v22
	v_rndne_f32_e32 v70, v22
	v_fmac_f32_e32 v67, 0x32a5705f, v69
	v_sub_f32_e32 v22, v22, v70
	v_add_f32_e32 v22, v22, v67
	v_exp_f32_e32 v22, v22
	v_cvt_i32_f32_e32 v67, v70
	v_cmp_ngt_f32_e32 vcc, s19, v69
	v_cvt_f16_f32_e32 v74, v4
	v_ldexp_f32 v22, v22, v67
	v_cndmask_b32_e32 v22, 0, v22, vcc
	v_cmp_nlt_f32_e32 vcc, s24, v69
	v_cndmask_b32_e32 v69, v53, v22, vcc
	v_mul_f32_e32 v22, 0x3fb8aa3b, v68
	v_fma_f32 v67, v68, s18, -v22
	v_rndne_f32_e32 v70, v22
	v_fmac_f32_e32 v67, 0x32a5705f, v68
	v_sub_f32_e32 v22, v22, v70
	v_add_f32_e32 v22, v22, v67
	v_exp_f32_e32 v22, v22
	v_cvt_i32_f32_e32 v67, v70
	v_cvt_f16_f32_e32 v70, v5
	v_cmp_ngt_f32_e32 vcc, s19, v68
	v_pk_add_f32 v[4:5], v[6:7], v[4:5]
	v_ldexp_f32 v22, v22, v67
	v_cndmask_b32_e32 v22, 0, v22, vcc
	v_cmp_nlt_f32_e32 vcc, s24, v68
	v_cndmask_b32_e32 v68, v53, v22, vcc
	v_pk_add_f32 v[6:7], v[20:21], v[24:25]
	v_pk_fma_f32 v[8:9], v[8:9], v[26:27], v[6:7]
	v_pk_fma_f32 v[10:11], v[10:11], v[68:69], v[4:5]
	v_pack_b32_f16 v4, v73, v72
	v_pack_b32_f16 v5, v79, v81
	;; [unrolled: 1-line block ×4, first 2 shown]
	ds_write2_b64 v54, v[4:5], v[6:7] offset1:32
	v_add_co_u32_e32 v4, vcc, s25, v16
	v_mov_b32_e32 v5, s26
	v_addc_co_u32_e32 v5, vcc, v5, v17, vcc
	v_add_co_u32_e32 v4, vcc, v4, v51
	v_addc_co_u32_e32 v5, vcc, 0, v5, vcc
	global_load_dwordx4 v[4:7], v[4:5], off
	v_cvt_f16_f32_e32 v67, v69
	v_cvt_f16_f32_e32 v22, v68
	s_waitcnt vmcnt(0)
	ds_write_b128 v49, v[4:7]
	v_add_co_u32_e32 v4, vcc, s25, v18
	v_mov_b32_e32 v5, s26
	v_addc_co_u32_e32 v5, vcc, v5, v19, vcc
	v_add_co_u32_e32 v4, vcc, v4, v51
	v_addc_co_u32_e32 v5, vcc, 0, v5, vcc
	global_load_dwordx4 v[4:7], v[4:5], off
	s_waitcnt vmcnt(0)
	ds_write_b128 v50, v[4:7]
	s_waitcnt lgkmcnt(0)
	s_barrier
	ds_read2_b32 v[20:21], v41 offset1:32
	ds_read_b128 v[4:7], v48
	ds_read_b128 v[24:27], v48 offset:16
	ds_read_b128 v[68:71], v48 offset:32
	;; [unrolled: 1-line block ×3, first 2 shown]
	s_waitcnt lgkmcnt(3)
	v_pk_mul_f16 v76, v20, v4 op_sel_hi:[1,0]
	v_pk_mul_f16 v4, v20, v4 op_sel:[0,1]
	v_pk_fma_f16 v4, v67, v63, v4 op_sel_hi:[0,1,1]
	v_pk_mul_f16 v63, v20, v5 op_sel_hi:[1,0]
	v_pk_fma_f16 v22, v22, v64, v76 op_sel_hi:[0,1,1]
	v_pk_fma_f16 v62, v66, v62, v63 op_sel_hi:[0,1,1]
	v_pk_fma_f16 v5, v20, v5, v65 op_sel:[0,1,0]
	v_pk_fma_f16 v20, v21, v6, v22 op_sel_hi:[1,0,1]
	v_pk_fma_f16 v6, v21, v6, v4 op_sel:[0,1,0]
	v_pk_fma_f16 v22, v21, v7, v62 op_sel_hi:[1,0,1]
	v_pk_fma_f16 v7, v21, v7, v5 op_sel:[0,1,0]
	ds_read2_b32 v[4:5], v41 offset0:64 offset1:96
	s_waitcnt lgkmcnt(0)
	v_pk_fma_f16 v20, v4, v24, v20 op_sel_hi:[1,0,1]
	v_pk_fma_f16 v6, v4, v24, v6 op_sel:[0,1,0]
	v_pk_fma_f16 v21, v4, v25, v22 op_sel_hi:[1,0,1]
	v_pk_fma_f16 v4, v4, v25, v7 op_sel:[0,1,0]
	v_pk_fma_f16 v7, v5, v26, v20 op_sel_hi:[1,0,1]
	v_pk_fma_f16 v6, v5, v26, v6 op_sel:[0,1,0]
	v_pk_fma_f16 v20, v5, v27, v21 op_sel_hi:[1,0,1]
	v_pk_fma_f16 v21, v5, v27, v4 op_sel:[0,1,0]
	ds_read2_b32 v[4:5], v41 offset0:128 offset1:160
	s_waitcnt lgkmcnt(0)
	v_pk_fma_f16 v7, v4, v68, v7 op_sel_hi:[1,0,1]
	v_pk_fma_f16 v6, v4, v68, v6 op_sel:[0,1,0]
	;; [unrolled: 10-line block ×3, first 2 shown]
	v_pk_fma_f16 v20, v4, v73, v20 op_sel_hi:[1,0,1]
	v_pk_fma_f16 v4, v4, v73, v21 op_sel:[0,1,0]
	v_pk_fma_f16 v22, v5, v74, v7 op_sel_hi:[1,0,1]
	v_pk_fma_f16 v24, v5, v74, v6 op_sel:[0,1,0]
	v_pk_fma_f16 v25, v5, v75, v20 op_sel_hi:[1,0,1]
	v_pk_fma_f16 v26, v5, v75, v4 op_sel:[0,1,0]
	ds_read2_b32 v[20:21], v55 offset1:32
	ds_read_b128 v[4:7], v48 offset:64
	s_waitcnt lgkmcnt(0)
	v_pk_fma_f16 v22, v20, v4, v22 op_sel_hi:[1,0,1]
	v_pk_fma_f16 v4, v20, v4, v24 op_sel:[0,1,0]
	v_pk_fma_f16 v24, v20, v5, v25 op_sel_hi:[1,0,1]
	v_pk_fma_f16 v5, v20, v5, v26 op_sel:[0,1,0]
	v_pk_fma_f16 v22, v21, v6, v22 op_sel_hi:[1,0,1]
	v_pk_fma_f16 v25, v21, v6, v4 op_sel:[0,1,0]
	v_pk_fma_f16 v24, v21, v7, v24 op_sel_hi:[1,0,1]
	v_pk_fma_f16 v26, v21, v7, v5 op_sel:[0,1,0]
	ds_read2_b32 v[20:21], v55 offset0:64 offset1:96
	ds_read_b128 v[4:7], v48 offset:80
	s_waitcnt lgkmcnt(0)
	v_pk_fma_f16 v22, v20, v4, v22 op_sel_hi:[1,0,1]
	v_pk_fma_f16 v4, v20, v4, v25 op_sel:[0,1,0]
	v_pk_fma_f16 v24, v20, v5, v24 op_sel_hi:[1,0,1]
	v_pk_fma_f16 v5, v20, v5, v26 op_sel:[0,1,0]
	v_pk_fma_f16 v22, v21, v6, v22 op_sel_hi:[1,0,1]
	v_pk_fma_f16 v25, v21, v6, v4 op_sel:[0,1,0]
	v_pk_fma_f16 v24, v21, v7, v24 op_sel_hi:[1,0,1]
	v_pk_fma_f16 v26, v21, v7, v5 op_sel:[0,1,0]
	ds_read2_b32 v[20:21], v55 offset0:128 offset1:160
	ds_read_b128 v[4:7], v48 offset:96
	s_waitcnt lgkmcnt(0)
	v_pk_fma_f16 v22, v20, v4, v22 op_sel_hi:[1,0,1]
	v_pk_fma_f16 v4, v20, v4, v25 op_sel:[0,1,0]
	v_pk_fma_f16 v24, v20, v5, v24 op_sel_hi:[1,0,1]
	v_pk_fma_f16 v5, v20, v5, v26 op_sel:[0,1,0]
	v_pk_fma_f16 v22, v21, v6, v22 op_sel_hi:[1,0,1]
	v_pk_fma_f16 v25, v21, v6, v4 op_sel:[0,1,0]
	v_pk_fma_f16 v24, v21, v7, v24 op_sel_hi:[1,0,1]
	v_pk_fma_f16 v26, v21, v7, v5 op_sel:[0,1,0]
	ds_read2_b32 v[20:21], v55 offset0:192 offset1:224
	ds_read_b128 v[4:7], v48 offset:112
	s_waitcnt lgkmcnt(0)
	v_pk_fma_f16 v22, v20, v4, v22 op_sel_hi:[1,0,1]
	v_pk_fma_f16 v4, v20, v4, v25 op_sel:[0,1,0]
	v_pk_fma_f16 v24, v20, v5, v24 op_sel_hi:[1,0,1]
	v_pk_fma_f16 v5, v20, v5, v26 op_sel:[0,1,0]
	v_pk_fma_f16 v22, v21, v6, v22 op_sel_hi:[1,0,1]
	v_pk_fma_f16 v25, v21, v6, v4 op_sel:[0,1,0]
	v_pk_fma_f16 v24, v21, v7, v24 op_sel_hi:[1,0,1]
	v_pk_fma_f16 v26, v21, v7, v5 op_sel:[0,1,0]
	ds_read2_b32 v[20:21], v56 offset1:32
	ds_read_b128 v[4:7], v48 offset:128
	s_waitcnt lgkmcnt(0)
	v_pk_fma_f16 v22, v20, v4, v22 op_sel_hi:[1,0,1]
	v_pk_fma_f16 v4, v20, v4, v25 op_sel:[0,1,0]
	v_pk_fma_f16 v24, v20, v5, v24 op_sel_hi:[1,0,1]
	v_pk_fma_f16 v5, v20, v5, v26 op_sel:[0,1,0]
	v_pk_fma_f16 v22, v21, v6, v22 op_sel_hi:[1,0,1]
	v_pk_fma_f16 v25, v21, v6, v4 op_sel:[0,1,0]
	v_pk_fma_f16 v24, v21, v7, v24 op_sel_hi:[1,0,1]
	v_pk_fma_f16 v26, v21, v7, v5 op_sel:[0,1,0]
	ds_read2_b32 v[20:21], v56 offset0:64 offset1:96
	ds_read_b128 v[4:7], v48 offset:144
	s_waitcnt lgkmcnt(0)
	v_pk_fma_f16 v22, v20, v4, v22 op_sel_hi:[1,0,1]
	v_pk_fma_f16 v4, v20, v4, v25 op_sel:[0,1,0]
	v_pk_fma_f16 v24, v20, v5, v24 op_sel_hi:[1,0,1]
	v_pk_fma_f16 v5, v20, v5, v26 op_sel:[0,1,0]
	v_pk_fma_f16 v22, v21, v6, v22 op_sel_hi:[1,0,1]
	v_pk_fma_f16 v25, v21, v6, v4 op_sel:[0,1,0]
	v_pk_fma_f16 v24, v21, v7, v24 op_sel_hi:[1,0,1]
	v_pk_fma_f16 v26, v21, v7, v5 op_sel:[0,1,0]
	ds_read2_b32 v[20:21], v56 offset0:128 offset1:160
	ds_read_b128 v[4:7], v48 offset:160
	s_waitcnt lgkmcnt(0)
	v_pk_fma_f16 v22, v20, v4, v22 op_sel_hi:[1,0,1]
	v_pk_fma_f16 v4, v20, v4, v25 op_sel:[0,1,0]
	v_pk_fma_f16 v24, v20, v5, v24 op_sel_hi:[1,0,1]
	v_pk_fma_f16 v5, v20, v5, v26 op_sel:[0,1,0]
	v_pk_fma_f16 v22, v21, v6, v22 op_sel_hi:[1,0,1]
	v_pk_fma_f16 v25, v21, v6, v4 op_sel:[0,1,0]
	v_pk_fma_f16 v24, v21, v7, v24 op_sel_hi:[1,0,1]
	v_pk_fma_f16 v26, v21, v7, v5 op_sel:[0,1,0]
	ds_read2_b32 v[20:21], v56 offset0:192 offset1:224
	ds_read_b128 v[4:7], v48 offset:176
	s_waitcnt lgkmcnt(0)
	v_pk_fma_f16 v22, v20, v4, v22 op_sel_hi:[1,0,1]
	v_pk_fma_f16 v4, v20, v4, v25 op_sel:[0,1,0]
	;; [unrolled: 44-line block ×6, first 2 shown]
	v_pk_fma_f16 v24, v20, v5, v24 op_sel_hi:[1,0,1]
	v_pk_fma_f16 v5, v20, v5, v26 op_sel:[0,1,0]
	v_pk_fma_f16 v22, v21, v6, v22 op_sel_hi:[1,0,1]
	v_pk_fma_f16 v25, v21, v6, v4 op_sel:[0,1,0]
	;; [unrolled: 2-line block ×3, first 2 shown]
	ds_read2_b32 v[20:21], v61 offset1:32
	ds_read_b128 v[4:7], v48 offset:448
	s_waitcnt lgkmcnt(0)
	v_pk_fma_f16 v22, v20, v4, v22 op_sel_hi:[1,0,1]
	v_pk_fma_f16 v4, v20, v4, v25 op_sel:[0,1,0]
	v_pk_fma_f16 v24, v20, v5, v24 op_sel_hi:[1,0,1]
	v_pk_fma_f16 v5, v20, v5, v26 op_sel:[0,1,0]
	v_pk_fma_f16 v22, v21, v6, v22 op_sel_hi:[1,0,1]
	v_pk_fma_f16 v25, v21, v6, v4 op_sel:[0,1,0]
	v_pk_fma_f16 v24, v21, v7, v24 op_sel_hi:[1,0,1]
	v_pk_fma_f16 v26, v21, v7, v5 op_sel:[0,1,0]
	ds_read2_b32 v[20:21], v61 offset0:64 offset1:96
	ds_read_b128 v[4:7], v48 offset:464
	s_waitcnt lgkmcnt(0)
	v_pk_fma_f16 v22, v20, v4, v22 op_sel_hi:[1,0,1]
	v_pk_fma_f16 v4, v20, v4, v25 op_sel:[0,1,0]
	v_pk_fma_f16 v24, v20, v5, v24 op_sel_hi:[1,0,1]
	v_pk_fma_f16 v5, v20, v5, v26 op_sel:[0,1,0]
	v_pk_fma_f16 v22, v21, v6, v22 op_sel_hi:[1,0,1]
	v_pk_fma_f16 v25, v21, v6, v4 op_sel:[0,1,0]
	v_pk_fma_f16 v24, v21, v7, v24 op_sel_hi:[1,0,1]
	v_pk_fma_f16 v26, v21, v7, v5 op_sel:[0,1,0]
	ds_read2_b32 v[20:21], v61 offset0:128 offset1:160
	;; [unrolled: 11-line block ×3, first 2 shown]
	ds_read_b128 v[4:7], v48 offset:496
	s_waitcnt lgkmcnt(0)
	s_barrier
	s_load_dword s25, s[0:1], 0x4
	v_pk_fma_f16 v22, v20, v4, v22 op_sel_hi:[1,0,1]
	v_pk_fma_f16 v4, v20, v4, v25 op_sel:[0,1,0]
	v_pk_fma_f16 v24, v20, v5, v24 op_sel_hi:[1,0,1]
	v_pk_fma_f16 v5, v20, v5, v26 op_sel:[0,1,0]
	s_waitcnt lgkmcnt(0)
	s_lshl_b32 s25, s25, 6
	s_add_i32 s15, s25, s15
	v_pk_fma_f16 v64, v21, v6, v22 op_sel_hi:[1,0,1]
	v_pk_fma_f16 v63, v21, v6, v4 op_sel:[0,1,0]
	v_pk_fma_f16 v62, v21, v7, v24 op_sel_hi:[1,0,1]
	v_pk_fma_f16 v65, v21, v7, v5 op_sel:[0,1,0]
	s_cmp_ge_i32 s15, s30
	s_cbranch_scc0 .LBB37_9
.LBB37_10:
	v_cmp_lt_i32_e32 vcc, v38, v35
	v_cndmask_b32_e32 v4, v34, v38, vcc
	v_cmp_lt_i32_e32 vcc, v39, v35
	v_lshlrev_b32_e32 v7, 2, v4
	v_cndmask_b32_e32 v4, v34, v39, vcc
	v_cmp_lt_i32_e32 vcc, v40, v35
	v_lshlrev_b32_e32 v13, 2, v4
	v_cndmask_b32_e32 v4, v34, v40, vcc
	v_lshlrev_b32_e32 v14, 2, v4
	ds_bpermute_b32 v4, v7, v10
	ds_bpermute_b32 v5, v7, v11
	;; [unrolled: 1-line block ×4, first 2 shown]
	v_cmp_lt_i32_e32 vcc, v37, v35
	v_cndmask_b32_e32 v15, v34, v37, vcc
	s_waitcnt lgkmcnt(2)
	v_pk_add_f32 v[4:5], v[10:11], v[4:5]
	ds_bpermute_b32 v10, v13, v4
	s_waitcnt lgkmcnt(1)
	v_pk_add_f32 v[6:7], v[8:9], v[6:7]
	ds_bpermute_b32 v11, v13, v5
	ds_bpermute_b32 v8, v13, v6
	;; [unrolled: 1-line block ×3, first 2 shown]
	v_lshlrev_b32_e32 v13, 2, v15
	v_cmp_lt_i32_e32 vcc, v36, v35
	s_waitcnt lgkmcnt(2)
	v_pk_add_f32 v[4:5], v[4:5], v[10:11]
	ds_bpermute_b32 v10, v14, v4
	s_waitcnt lgkmcnt(1)
	v_pk_add_f32 v[6:7], v[6:7], v[8:9]
	ds_bpermute_b32 v11, v14, v5
	ds_bpermute_b32 v8, v14, v6
	;; [unrolled: 1-line block ×3, first 2 shown]
	v_cndmask_b32_e32 v14, v34, v36, vcc
	s_cmp_lg_u64 s[16:17], 0
	s_waitcnt lgkmcnt(2)
	v_pk_add_f32 v[4:5], v[4:5], v[10:11]
	ds_bpermute_b32 v10, v13, v4
	s_waitcnt lgkmcnt(1)
	v_pk_add_f32 v[6:7], v[6:7], v[8:9]
	ds_bpermute_b32 v11, v13, v5
	ds_bpermute_b32 v8, v13, v6
	;; [unrolled: 1-line block ×3, first 2 shown]
	v_lshlrev_b32_e32 v13, 2, v14
	s_cselect_b64 s[0:1], -1, 0
	s_waitcnt lgkmcnt(2)
	v_pk_add_f32 v[4:5], v[4:5], v[10:11]
	ds_bpermute_b32 v10, v13, v4
	s_waitcnt lgkmcnt(1)
	v_pk_add_f32 v[8:9], v[6:7], v[8:9]
	ds_bpermute_b32 v11, v13, v5
	ds_bpermute_b32 v14, v13, v8
	;; [unrolled: 1-line block ×3, first 2 shown]
	s_cmp_eq_u32 s7, 0
	s_cselect_b64 s[8:9], -1, 0
	s_and_b64 s[0:1], s[8:9], s[0:1]
	v_lshlrev_b32_e32 v12, 1, v32
	s_waitcnt lgkmcnt(2)
	v_pk_add_f32 v[6:7], v[4:5], v[10:11]
	s_waitcnt lgkmcnt(0)
	v_pk_add_f32 v[4:5], v[8:9], v[14:15]
	s_and_b64 vcc, exec, s[0:1]
	s_cbranch_vccz .LBB37_12
; %bb.11:
	s_ashr_i32 s29, s28, 31
	s_lshl_b64 s[0:1], s[28:29], 2
	s_add_u32 s0, s16, s0
	s_addc_u32 s1, s17, s1
	v_mov_b32_e32 v8, 0
	global_load_dwordx2 v[14:15], v8, s[0:1]
	v_max_f32_e32 v8, v1, v1
	v_max_f32_e32 v10, v0, v0
	;; [unrolled: 1-line block ×4, first 2 shown]
	s_mov_b32 s6, 0x3fb8aa3b
	s_mov_b32 s1, 0xc2ce8ed0
	s_mov_b32 s0, 0x42b17218
	v_mov_b32_e32 v13, 0x7f800000
	s_waitcnt vmcnt(0)
	v_max_f32_e32 v17, v15, v15
	v_max_f32_e32 v18, v14, v14
	;; [unrolled: 1-line block ×4, first 2 shown]
	v_pk_add_f32 v[0:1], v[0:1], v[8:9] neg_lo:[0,1] neg_hi:[0,1]
	v_max_f32_e32 v11, v11, v17
	v_max_f32_e32 v10, v16, v18
	v_mul_f32_e32 v18, 0x3fb8aa3b, v1
	v_pk_add_f32 v[2:3], v[2:3], v[10:11] neg_lo:[0,1] neg_hi:[0,1]
	v_mul_f32_e32 v19, 0x3fb8aa3b, v0
	v_fma_f32 v25, v1, s6, -v18
	v_rndne_f32_e32 v26, v18
	v_mul_f32_e32 v20, 0x3fb8aa3b, v3
	v_fma_f32 v27, v0, s6, -v19
	v_rndne_f32_e32 v34, v19
	v_fmac_f32_e32 v25, 0x32a5705f, v1
	v_sub_f32_e32 v18, v18, v26
	v_sub_f32_e32 v17, v15, v11
	;; [unrolled: 1-line block ×3, first 2 shown]
	v_mul_f32_e32 v21, 0x3fb8aa3b, v2
	v_fma_f32 v35, v3, s6, -v20
	v_rndne_f32_e32 v36, v20
	v_fmac_f32_e32 v27, 0x32a5705f, v0
	v_sub_f32_e32 v19, v19, v34
	v_add_f32_e32 v18, v18, v25
	v_mul_f32_e32 v22, 0x3fb8aa3b, v15
	v_fma_f32 v37, v2, s6, -v21
	v_rndne_f32_e32 v38, v21
	v_cvt_i32_f32_e32 v26, v26
	v_fmac_f32_e32 v35, 0x32a5705f, v3
	v_sub_f32_e32 v20, v20, v36
	v_add_f32_e32 v19, v19, v27
	v_exp_f32_e32 v18, v18
	v_fma_f32 v39, v15, s6, -v22
	v_rndne_f32_e32 v40, v22
	v_cvt_i32_f32_e32 v34, v34
	v_fmac_f32_e32 v37, 0x32a5705f, v2
	v_sub_f32_e32 v21, v21, v38
	v_add_f32_e32 v20, v20, v35
	v_exp_f32_e32 v19, v19
	v_cvt_i32_f32_e32 v36, v36
	v_fmac_f32_e32 v39, 0x32a5705f, v15
	v_sub_f32_e32 v22, v22, v40
	v_add_f32_e32 v21, v21, v37
	v_exp_f32_e32 v20, v20
	v_cvt_i32_f32_e32 v38, v38
	v_add_f32_e32 v22, v22, v39
	v_exp_f32_e32 v21, v21
	v_cvt_i32_f32_e32 v40, v40
	v_exp_f32_e32 v22, v22
	v_ldexp_f32 v18, v18, v26
	v_cmp_ngt_f32_e32 vcc, s1, v1
	v_ldexp_f32 v19, v19, v34
	v_cndmask_b32_e32 v18, 0, v18, vcc
	v_cmp_ngt_f32_e32 vcc, s1, v0
	v_ldexp_f32 v20, v20, v36
	v_cndmask_b32_e32 v19, 0, v19, vcc
	;; [unrolled: 3-line block ×4, first 2 shown]
	v_cmp_ngt_f32_e32 vcc, s1, v15
	v_cndmask_b32_e32 v22, 0, v22, vcc
	v_cmp_nlt_f32_e32 vcc, s0, v1
	v_cndmask_b32_e32 v1, v13, v18, vcc
	v_cmp_nlt_f32_e32 vcc, s0, v0
	;; [unrolled: 2-line block ×3, first 2 shown]
	v_cndmask_b32_e32 v2, v13, v21, vcc
	v_cvt_f16_f32_e32 v19, v1
	v_sub_f32_e32 v16, v14, v10
	v_sub_f32_e32 v14, v14, v8
	v_cvt_f16_f32_e32 v21, v2
	v_mul_f32_e32 v24, 0x3fb8aa3b, v14
	v_fma_f32 v41, v14, s6, -v24
	v_rndne_f32_e32 v42, v24
	v_fmac_f32_e32 v41, 0x32a5705f, v14
	v_sub_f32_e32 v24, v24, v42
	v_cmp_nlt_f32_e32 vcc, s0, v3
	v_pk_mul_f16 v63, v63, v19 op_sel_hi:[1,0]
	v_mul_f32_e32 v19, 0x3fb8aa3b, v17
	v_add_f32_e32 v24, v24, v41
	v_cndmask_b32_e32 v3, v13, v20, vcc
	v_pk_mul_f16 v62, v62, v21 op_sel_hi:[1,0]
	v_fma_f32 v20, v17, s6, -v19
	v_rndne_f32_e32 v21, v19
	v_cvt_i32_f32_e32 v42, v42
	v_exp_f32_e32 v24, v24
	v_cvt_f16_f32_e32 v18, v0
	v_fmac_f32_e32 v20, 0x32a5705f, v17
	v_sub_f32_e32 v19, v19, v21
	v_add_f32_e32 v19, v19, v20
	v_exp_f32_e32 v19, v19
	v_cvt_i32_f32_e32 v20, v21
	v_cmp_nlt_f32_e32 vcc, s0, v15
	v_pk_mul_f16 v64, v64, v18 op_sel_hi:[1,0]
	v_cndmask_b32_e32 v15, v13, v22, vcc
	v_ldexp_f32 v18, v24, v42
	v_cmp_ngt_f32_e32 vcc, s1, v14
	v_cndmask_b32_e32 v18, 0, v18, vcc
	v_cmp_nlt_f32_e32 vcc, s0, v14
	v_cndmask_b32_e32 v14, v13, v18, vcc
	v_ldexp_f32 v18, v19, v20
	v_mul_f32_e32 v19, 0x3fb8aa3b, v16
	v_fma_f32 v20, v16, s6, -v19
	v_rndne_f32_e32 v21, v19
	v_fmac_f32_e32 v20, 0x32a5705f, v16
	v_sub_f32_e32 v19, v19, v21
	v_add_f32_e32 v19, v19, v20
	v_exp_f32_e32 v19, v19
	v_cvt_i32_f32_e32 v20, v21
	v_cmp_ngt_f32_e32 vcc, s1, v17
	v_cndmask_b32_e32 v18, 0, v18, vcc
	v_cmp_nlt_f32_e32 vcc, s0, v17
	v_cndmask_b32_e32 v17, v13, v18, vcc
	v_ldexp_f32 v18, v19, v20
	v_cmp_ngt_f32_e32 vcc, s1, v16
	v_cvt_f16_f32_e32 v19, v3
	v_cndmask_b32_e32 v18, 0, v18, vcc
	v_cmp_nlt_f32_e32 vcc, s0, v16
	v_cndmask_b32_e32 v16, v13, v18, vcc
	v_pk_fma_f32 v[4:5], v[4:5], v[2:3], v[16:17]
	v_pk_fma_f32 v[6:7], v[6:7], v[0:1], v[14:15]
	v_pk_mov_b32 v[0:1], v[8:9], v[8:9] op_sel:[0,1]
	v_pk_mul_f16 v65, v65, v19 op_sel_hi:[1,0]
	v_pk_mov_b32 v[2:3], v[10:11], v[10:11] op_sel:[0,1]
.LBB37_12:
	v_cmp_gt_i32_e32 vcc, s2, v33
	s_and_saveexec_b64 s[0:1], vcc
	s_cbranch_execz .LBB37_31
; %bb.13:
	s_load_dword s6, s[4:5], 0xd4
	v_mov_b32_e32 v8, 1.0
	s_waitcnt lgkmcnt(0)
	s_cmp_lg_u32 s6, 1
	s_cselect_b64 s[4:5], -1, 0
	s_cmp_eq_u32 s6, 1
	s_cselect_b64 s[8:9], -1, 0
	s_and_b64 vcc, exec, s[4:5]
	s_cbranch_vccnz .LBB37_15
; %bb.14:
	v_div_scale_f32 v8, s[0:1], v6, v6, 1.0
	v_rcp_f32_e32 v9, v8
	v_div_scale_f32 v10, vcc, 1.0, v6, 1.0
	v_fma_f32 v11, -v8, v9, 1.0
	v_fmac_f32_e32 v9, v11, v9
	v_mul_f32_e32 v11, v10, v9
	v_fma_f32 v13, -v8, v11, v10
	v_fmac_f32_e32 v11, v13, v9
	v_fma_f32 v8, -v8, v11, v10
	v_div_fmas_f32 v8, v8, v9, v11
	v_div_fixup_f32 v8, v8, v6, 1.0
.LBB37_15:
	s_mul_i32 s10, s33, s2
	s_add_i32 s10, s10, s14
	v_add_u32_e32 v9, s10, v31
	v_mul_lo_u32 v9, v9, s3
	v_add_u32_e32 v10, s28, v9
	v_mul_lo_u32 v10, s6, v10
	v_add_u32_e32 v10, s7, v10
	v_cvt_f32_f16_sdwa v17, v64 dst_sel:DWORD dst_unused:UNUSED_PAD src0_sel:WORD_1
	v_cvt_f32_f16_e32 v16, v64
	v_lshl_add_u32 v14, v10, 6, v12
	v_mov_b32_e32 v15, 0
	v_lshlrev_b64 v[14:15], 2, v[14:15]
	v_cmp_eq_u32_e32 vcc, 0, v32
	v_mov_b32_e32 v11, s21
	v_add_co_u32_e64 v14, s[0:1], s20, v14
	v_addc_co_u32_e64 v15, s[0:1], v11, v15, s[0:1]
	v_pk_mul_f32 v[16:17], v[8:9], v[16:17] op_sel_hi:[0,1]
	s_and_b64 s[4:5], vcc, s[4:5]
	global_store_dwordx2 v[14:15], v[16:17], off
	s_and_saveexec_b64 s[0:1], s[4:5]
	s_cbranch_execz .LBB37_17
; %bb.16:
	v_ashrrev_i32_e32 v11, 31, v10
	v_lshlrev_b64 v[10:11], 3, v[10:11]
	v_mov_b32_e32 v8, s23
	v_add_co_u32_e32 v10, vcc, s22, v10
	v_addc_co_u32_e32 v11, vcc, v8, v11, vcc
	v_mov_b32_e32 v14, v0
	v_mov_b32_e32 v15, v6
	global_store_dwordx2 v[10:11], v[14:15], off
.LBB37_17:
	s_or_b64 exec, exec, s[0:1]
	v_cndmask_b32_e64 v0, 0, 1, s[8:9]
	v_cmp_ne_u32_e64 s[0:1], 1, v0
	s_andn2_b64 vcc, exec, s[8:9]
	v_mov_b32_e32 v0, 1.0
	s_cbranch_vccnz .LBB37_19
; %bb.18:
	v_div_scale_f32 v0, s[8:9], v7, v7, 1.0
	v_rcp_f32_e32 v6, v0
	v_div_scale_f32 v8, vcc, 1.0, v7, 1.0
	v_fma_f32 v10, -v0, v6, 1.0
	v_fmac_f32_e32 v6, v10, v6
	v_mul_f32_e32 v10, v8, v6
	v_fma_f32 v11, -v0, v10, v8
	v_fmac_f32_e32 v10, v11, v6
	v_fma_f32 v0, -v0, v10, v8
	v_div_fmas_f32 v0, v0, v6, v10
	v_div_fixup_f32 v0, v0, v7, 1.0
.LBB37_19:
	s_add_i32 s11, s28, 1
	v_add_u32_e32 v6, s11, v9
	v_mul_lo_u32 v6, s6, v6
	v_add_u32_e32 v8, s7, v6
	v_cvt_f32_f16_sdwa v15, v63 dst_sel:DWORD dst_unused:UNUSED_PAD src0_sel:WORD_1
	v_cvt_f32_f16_e32 v14, v63
	v_lshl_add_u32 v10, v8, 6, v12
	v_mov_b32_e32 v11, 0
	v_lshlrev_b64 v[10:11], 2, v[10:11]
	v_mov_b32_e32 v6, s21
	v_add_co_u32_e32 v10, vcc, s20, v10
	v_addc_co_u32_e32 v11, vcc, v6, v11, vcc
	v_pk_mul_f32 v[14:15], v[0:1], v[14:15] op_sel_hi:[0,1]
	global_store_dwordx2 v[10:11], v[14:15], off
	s_and_saveexec_b64 s[8:9], s[4:5]
	s_cbranch_execz .LBB37_21
; %bb.20:
	v_ashrrev_i32_e32 v9, 31, v8
	v_lshlrev_b64 v[8:9], 3, v[8:9]
	v_mov_b32_e32 v0, s23
	v_add_co_u32_e32 v8, vcc, s22, v8
	v_addc_co_u32_e32 v9, vcc, v0, v9, vcc
	v_mov_b32_e32 v6, v1
	global_store_dwordx2 v[8:9], v[6:7], off
.LBB37_21:
	s_or_b64 exec, exec, s[8:9]
	v_cmp_gt_i32_e32 vcc, s2, v30
	s_and_b64 exec, exec, vcc
	s_cbranch_execz .LBB37_31
; %bb.22:
	s_and_b64 vcc, exec, s[0:1]
	v_mov_b32_e32 v0, 1.0
	s_cbranch_vccnz .LBB37_24
; %bb.23:
	v_div_scale_f32 v0, s[8:9], v4, v4, 1.0
	v_rcp_f32_e32 v1, v0
	v_div_scale_f32 v6, vcc, 1.0, v4, 1.0
	v_fma_f32 v7, -v0, v1, 1.0
	v_fmac_f32_e32 v1, v7, v1
	v_mul_f32_e32 v7, v6, v1
	v_fma_f32 v8, -v0, v7, v6
	v_fmac_f32_e32 v7, v8, v1
	v_fma_f32 v0, -v0, v7, v6
	v_div_fmas_f32 v0, v0, v1, v7
	v_div_fixup_f32 v0, v0, v4, 1.0
.LBB37_24:
	v_add_u32_e32 v1, s10, v29
	v_mul_lo_u32 v1, v1, s3
	v_add_u32_e32 v1, s28, v1
	v_mul_lo_u32 v1, s6, v1
	v_add_u32_e32 v6, s7, v1
	v_cvt_f32_f16_sdwa v11, v62 dst_sel:DWORD dst_unused:UNUSED_PAD src0_sel:WORD_1
	v_cvt_f32_f16_e32 v10, v62
	v_lshl_add_u32 v8, v6, 6, v12
	v_mov_b32_e32 v9, 0
	v_lshlrev_b64 v[8:9], 2, v[8:9]
	v_mov_b32_e32 v1, s21
	v_add_co_u32_e32 v8, vcc, s20, v8
	v_addc_co_u32_e32 v9, vcc, v1, v9, vcc
	v_pk_mul_f32 v[0:1], v[0:1], v[10:11] op_sel_hi:[0,1]
	global_store_dwordx2 v[8:9], v[0:1], off
	s_and_saveexec_b64 s[8:9], s[4:5]
	s_cbranch_execz .LBB37_26
; %bb.25:
	v_ashrrev_i32_e32 v7, 31, v6
	v_lshlrev_b64 v[0:1], 3, v[6:7]
	v_mov_b32_e32 v6, s23
	v_add_co_u32_e32 v0, vcc, s22, v0
	v_addc_co_u32_e32 v1, vcc, v6, v1, vcc
	v_mov_b32_e32 v6, v2
	v_mov_b32_e32 v7, v4
	global_store_dwordx2 v[0:1], v[6:7], off
.LBB37_26:
	s_or_b64 exec, exec, s[8:9]
	v_cmp_gt_i32_e32 vcc, s2, v28
	s_and_b64 exec, exec, vcc
	s_cbranch_execz .LBB37_31
; %bb.27:
	s_and_b64 vcc, exec, s[0:1]
	v_mov_b32_e32 v0, 1.0
	s_cbranch_vccnz .LBB37_29
; %bb.28:
	v_div_scale_f32 v0, s[0:1], v5, v5, 1.0
	v_rcp_f32_e32 v1, v0
	v_div_scale_f32 v2, vcc, 1.0, v5, 1.0
	v_fma_f32 v4, -v0, v1, 1.0
	v_fmac_f32_e32 v1, v4, v1
	v_mul_f32_e32 v4, v2, v1
	v_fma_f32 v6, -v0, v4, v2
	v_fmac_f32_e32 v4, v6, v1
	v_fma_f32 v0, -v0, v4, v2
	v_div_fmas_f32 v0, v0, v1, v4
	v_div_fixup_f32 v0, v0, v5, 1.0
.LBB37_29:
	v_add_u32_e32 v1, s10, v23
	v_mul_lo_u32 v1, v1, s3
	v_add_u32_e32 v1, s11, v1
	v_mul_lo_u32 v1, s6, v1
	v_add_u32_e32 v6, s7, v1
	v_cvt_f32_f16_sdwa v11, v65 dst_sel:DWORD dst_unused:UNUSED_PAD src0_sel:WORD_1
	v_cvt_f32_f16_e32 v10, v65
	v_lshl_add_u32 v8, v6, 6, v12
	v_mov_b32_e32 v9, 0
	v_lshlrev_b64 v[8:9], 2, v[8:9]
	v_mov_b32_e32 v1, s21
	v_add_co_u32_e32 v8, vcc, s20, v8
	v_addc_co_u32_e32 v9, vcc, v1, v9, vcc
	v_pk_mul_f32 v[0:1], v[0:1], v[10:11] op_sel_hi:[0,1]
	global_store_dwordx2 v[8:9], v[0:1], off
	s_and_b64 exec, exec, s[4:5]
	s_cbranch_execz .LBB37_31
; %bb.30:
	v_ashrrev_i32_e32 v7, 31, v6
	v_lshlrev_b64 v[0:1], 3, v[6:7]
	v_mov_b32_e32 v2, s23
	v_add_co_u32_e32 v0, vcc, s22, v0
	v_addc_co_u32_e32 v1, vcc, v2, v1, vcc
	v_mov_b32_e32 v4, v3
	global_store_dwordx2 v[0:1], v[4:5], off
.LBB37_31:
	s_endpgm
	.section	.rodata,"a",@progbits
	.p2align	6, 0x0
	.amdhsa_kernel _ZL15flash_attn_tileILi64ELi64ELi16ELi2ELb0EEvPKcS1_S1_S1_S1_PKiPfP15HIP_vector_typeIfLj2EEffffjfiS5_IjLj3EEiiiiiiiiiiiliiliiiiil
		.amdhsa_group_segment_fixed_size 17408
		.amdhsa_private_segment_fixed_size 0
		.amdhsa_kernarg_size 464
		.amdhsa_user_sgpr_count 6
		.amdhsa_user_sgpr_private_segment_buffer 1
		.amdhsa_user_sgpr_dispatch_ptr 0
		.amdhsa_user_sgpr_queue_ptr 0
		.amdhsa_user_sgpr_kernarg_segment_ptr 1
		.amdhsa_user_sgpr_dispatch_id 0
		.amdhsa_user_sgpr_flat_scratch_init 0
		.amdhsa_user_sgpr_kernarg_preload_length 0
		.amdhsa_user_sgpr_kernarg_preload_offset 0
		.amdhsa_user_sgpr_private_segment_size 0
		.amdhsa_uses_dynamic_stack 0
		.amdhsa_system_sgpr_private_segment_wavefront_offset 0
		.amdhsa_system_sgpr_workgroup_id_x 1
		.amdhsa_system_sgpr_workgroup_id_y 1
		.amdhsa_system_sgpr_workgroup_id_z 1
		.amdhsa_system_sgpr_workgroup_info 0
		.amdhsa_system_vgpr_workitem_id 1
		.amdhsa_next_free_vgpr 90
		.amdhsa_next_free_sgpr 41
		.amdhsa_accum_offset 92
		.amdhsa_reserve_vcc 1
		.amdhsa_reserve_flat_scratch 0
		.amdhsa_float_round_mode_32 0
		.amdhsa_float_round_mode_16_64 0
		.amdhsa_float_denorm_mode_32 3
		.amdhsa_float_denorm_mode_16_64 3
		.amdhsa_dx10_clamp 1
		.amdhsa_ieee_mode 1
		.amdhsa_fp16_overflow 0
		.amdhsa_tg_split 0
		.amdhsa_exception_fp_ieee_invalid_op 0
		.amdhsa_exception_fp_denorm_src 0
		.amdhsa_exception_fp_ieee_div_zero 0
		.amdhsa_exception_fp_ieee_overflow 0
		.amdhsa_exception_fp_ieee_underflow 0
		.amdhsa_exception_fp_ieee_inexact 0
		.amdhsa_exception_int_div_zero 0
	.end_amdhsa_kernel
	.section	.text._ZL15flash_attn_tileILi64ELi64ELi16ELi2ELb0EEvPKcS1_S1_S1_S1_PKiPfP15HIP_vector_typeIfLj2EEffffjfiS5_IjLj3EEiiiiiiiiiiiliiliiiiil,"axG",@progbits,_ZL15flash_attn_tileILi64ELi64ELi16ELi2ELb0EEvPKcS1_S1_S1_S1_PKiPfP15HIP_vector_typeIfLj2EEffffjfiS5_IjLj3EEiiiiiiiiiiiliiliiiiil,comdat
.Lfunc_end37:
	.size	_ZL15flash_attn_tileILi64ELi64ELi16ELi2ELb0EEvPKcS1_S1_S1_S1_PKiPfP15HIP_vector_typeIfLj2EEffffjfiS5_IjLj3EEiiiiiiiiiiiliiliiiiil, .Lfunc_end37-_ZL15flash_attn_tileILi64ELi64ELi16ELi2ELb0EEvPKcS1_S1_S1_S1_PKiPfP15HIP_vector_typeIfLj2EEffffjfiS5_IjLj3EEiiiiiiiiiiiliiliiiiil
                                        ; -- End function
	.section	.AMDGPU.csdata,"",@progbits
; Kernel info:
; codeLenInByte = 11248
; NumSgprs: 45
; NumVgprs: 90
; NumAgprs: 0
; TotalNumVgprs: 90
; ScratchSize: 0
; MemoryBound: 0
; FloatMode: 240
; IeeeMode: 1
; LDSByteSize: 17408 bytes/workgroup (compile time only)
; SGPRBlocks: 5
; VGPRBlocks: 11
; NumSGPRsForWavesPerEU: 45
; NumVGPRsForWavesPerEU: 90
; AccumOffset: 92
; Occupancy: 3
; WaveLimiterHint : 1
; COMPUTE_PGM_RSRC2:SCRATCH_EN: 0
; COMPUTE_PGM_RSRC2:USER_SGPR: 6
; COMPUTE_PGM_RSRC2:TRAP_HANDLER: 0
; COMPUTE_PGM_RSRC2:TGID_X_EN: 1
; COMPUTE_PGM_RSRC2:TGID_Y_EN: 1
; COMPUTE_PGM_RSRC2:TGID_Z_EN: 1
; COMPUTE_PGM_RSRC2:TIDIG_COMP_CNT: 1
; COMPUTE_PGM_RSRC3_GFX90A:ACCUM_OFFSET: 22
; COMPUTE_PGM_RSRC3_GFX90A:TG_SPLIT: 0
	.section	.text._ZL33flash_attn_stream_k_fixup_uniformILi64ELi16ELi2EEvPfPK15HIP_vector_typeIfLj2EEiiiiiiS1_IjLj3EES5_S5_,"axG",@progbits,_ZL33flash_attn_stream_k_fixup_uniformILi64ELi16ELi2EEvPfPK15HIP_vector_typeIfLj2EEiiiiiiS1_IjLj3EES5_S5_,comdat
	.globl	_ZL33flash_attn_stream_k_fixup_uniformILi64ELi16ELi2EEvPfPK15HIP_vector_typeIfLj2EEiiiiiiS1_IjLj3EES5_S5_ ; -- Begin function _ZL33flash_attn_stream_k_fixup_uniformILi64ELi16ELi2EEvPfPK15HIP_vector_typeIfLj2EEiiiiiiS1_IjLj3EES5_S5_
	.p2align	8
	.type	_ZL33flash_attn_stream_k_fixup_uniformILi64ELi16ELi2EEvPfPK15HIP_vector_typeIfLj2EEiiiiiiS1_IjLj3EES5_S5_,@function
_ZL33flash_attn_stream_k_fixup_uniformILi64ELi16ELi2EEvPfPK15HIP_vector_typeIfLj2EEiiiiiiS1_IjLj3EES5_S5_: ; @_ZL33flash_attn_stream_k_fixup_uniformILi64ELi16ELi2EEvPfPK15HIP_vector_typeIfLj2EEiiiiiiS1_IjLj3EES5_S5_
; %bb.0:
	s_load_dwordx8 s[12:19], s[4:5], 0x1c
	s_load_dwordx2 s[10:11], s[4:5], 0x10
	s_load_dwordx4 s[0:3], s[4:5], 0x3c
	s_waitcnt lgkmcnt(0)
	s_mul_hi_u32 s9, s15, s6
	s_add_i32 s9, s6, s9
	s_lshr_b32 s9, s9, s16
	s_mul_i32 s15, s9, s17
	s_sub_i32 s15, s6, s15
	s_mul_hi_u32 s16, s15, s18
	s_add_i32 s16, s15, s16
	s_lshr_b32 s16, s16, s19
	s_mul_i32 s0, s16, s0
	s_sub_i32 s0, s15, s0
	;; [unrolled: 5-line block ×3, first 2 shown]
	s_lshl_b32 s0, s17, 4
	s_lshl_b32 s15, s1, 1
	s_add_i32 s0, s0, s7
	s_cmp_lt_i32 s0, s10
	s_cselect_b64 s[0:1], -1, 0
	s_add_i32 s2, s15, s8
	s_cmp_lt_i32 s2, s13
	s_cselect_b64 s[2:3], -1, 0
	s_and_b64 s[0:1], s[0:1], s[2:3]
	s_andn2_b64 vcc, exec, s[0:1]
	s_cbranch_vccnz .LBB38_6
; %bb.1:
	s_load_dwordx4 s[0:3], s[4:5], 0x0
	s_mul_i32 s4, s9, s10
	s_add_i32 s4, s4, s7
	s_mul_i32 s4, s4, s11
	s_mul_i32 s16, s16, s13
	s_add_i32 s4, s4, s8
	s_add_i32 s4, s4, s16
	s_mul_i32 s5, s11, s17
	s_add_i32 s4, s4, s15
	s_lshl_b32 s5, s5, 10
	s_lshl_b32 s4, s4, 6
	s_add_i32 s5, s5, s4
	v_or_b32_e32 v2, s5, v0
	v_ashrrev_i32_e32 v3, 31, v2
	v_lshlrev_b64 v[2:3], 2, v[2:3]
	s_waitcnt lgkmcnt(0)
	v_mov_b32_e32 v1, s1
	v_add_co_u32_e32 v2, vcc, s0, v2
	v_addc_co_u32_e32 v3, vcc, v1, v3, vcc
	global_load_dword v8, v[2:3], off
	s_mul_i32 s9, s6, s14
	s_lshl_b32 s4, s7, 1
	s_add_i32 s11, s9, s14
	s_add_i32 s0, s4, s8
	s_lshl_b32 s1, s11, 5
	s_add_i32 s0, s0, s1
	s_sub_i32 s0, s0, 32
	s_ashr_i32 s1, s0, 31
	s_lshl_b64 s[0:1], s[0:1], 3
	s_add_u32 s0, s2, s0
	s_addc_u32 s1, s3, s1
	s_load_dword s5, s[0:1], 0x4
	s_add_i32 s10, s11, -2
	s_cmp_lt_i32 s10, s9
	s_cbranch_scc1 .LBB38_4
; %bb.2:
	s_lshl_b32 s16, s12, 7
	s_ashr_i32 s17, s16, 31
	s_lshl_b64 s[16:17], s[16:17], 2
	s_add_u32 s10, s2, s16
	s_addc_u32 s13, s3, s17
	s_add_i32 s6, s6, 1
	s_load_dword s0, s[0:1], 0x0
	s_mul_i32 s1, s14, s6
	s_lshl_b32 s7, s7, 7
	s_lshl_b32 s14, s8, 6
	s_lshl_b32 s6, s1, 11
	s_add_i32 s7, s14, s7
	s_lshl_b32 s1, s1, 5
	s_add_i32 s7, s7, s6
	s_add_i32 s1, s8, s1
	s_lshl_b32 s6, s12, 5
	s_add_i32 s1, s1, s6
	v_or_b32_e32 v0, s7, v0
	s_add_i32 s1, s1, s4
	s_add_i32 s11, s11, -1
	v_add_u32_e32 v0, 0xfffff000, v0
	s_sub_i32 s4, s1, 64
	s_waitcnt lgkmcnt(0)
	v_mov_b32_e32 v7, s5
	v_mov_b32_e32 v6, s0
	;; [unrolled: 1-line block ×3, first 2 shown]
	s_mov_b32 s6, 0x3fb8aa3b
	s_mov_b32 s7, 0xc2ce8ed0
	;; [unrolled: 1-line block ×3, first 2 shown]
	v_mov_b32_e32 v5, 0x7f800000
	s_mov_b32 s12, 0xc1a00000
.LBB38_3:                               ; =>This Inner Loop Header: Depth=1
	v_ashrrev_i32_e32 v1, 31, v0
	v_lshlrev_b64 v[10:11], 2, v[0:1]
	v_add_co_u32_e32 v10, vcc, s10, v10
	v_addc_co_u32_e32 v11, vcc, v4, v11, vcc
	global_load_dword v1, v[10:11], off
	s_ashr_i32 s5, s4, 31
	s_lshl_b64 s[0:1], s[4:5], 3
	s_add_u32 s0, s2, s0
	s_addc_u32 s1, s3, s1
	s_load_dwordx2 s[14:15], s[0:1], 0x0
	s_waitcnt vmcnt(1)
	v_mov_b32_e32 v9, v8
	v_max_f32_e32 v8, v6, v6
	v_mov_b32_e32 v10, v7
	s_add_i32 s11, s11, -1
	s_waitcnt lgkmcnt(0)
	v_max_f32_e64 v7, s14, s14
	v_max_f32_e32 v7, v8, v7
	v_sub_f32_e32 v11, s14, v7
	v_sub_f32_e32 v8, v6, v7
	v_mul_f32_e32 v12, 0x3fb8aa3b, v11
	v_mov_b32_e32 v6, v7
	v_mul_f32_e32 v7, 0x3fb8aa3b, v8
	v_fma_f32 v15, v11, s6, -v12
	v_rndne_f32_e32 v16, v12
	v_fma_f32 v13, v8, s6, -v7
	v_rndne_f32_e32 v14, v7
	v_fmac_f32_e32 v15, 0x32a5705f, v11
	v_sub_f32_e32 v12, v12, v16
	v_fmac_f32_e32 v13, 0x32a5705f, v8
	v_sub_f32_e32 v7, v7, v14
	v_add_f32_e32 v12, v12, v15
	v_cvt_i32_f32_e32 v16, v16
	v_add_f32_e32 v7, v7, v13
	v_exp_f32_e32 v12, v12
	v_cvt_i32_f32_e32 v14, v14
	v_exp_f32_e32 v7, v7
	v_cmp_ngt_f32_e32 vcc, s7, v11
	v_ldexp_f32 v12, v12, v16
	v_cmp_ngt_f32_e64 s[0:1], s7, v8
	v_ldexp_f32 v7, v7, v14
	v_cndmask_b32_e32 v12, 0, v12, vcc
	v_cmp_nlt_f32_e32 vcc, s8, v11
	v_cndmask_b32_e64 v7, 0, v7, s[0:1]
	v_cmp_nlt_f32_e64 s[0:1], s8, v8
	v_cndmask_b32_e32 v12, v5, v12, vcc
	v_cmp_le_f32_e32 vcc, s12, v11
	v_cndmask_b32_e64 v7, v5, v7, s[0:1]
	v_cmp_le_f32_e64 s[0:1], s12, v8
	v_cndmask_b32_e32 v8, 0, v12, vcc
	s_sub_i32 s4, s4, 32
	v_cndmask_b32_e64 v11, 0, v7, s[0:1]
	v_mul_f32_e32 v7, s15, v8
	v_add_u32_e32 v0, 0xfffff800, v0
	s_cmp_le_i32 s11, s9
	v_fmac_f32_e32 v7, v10, v11
	s_waitcnt vmcnt(0)
	v_mul_f32_e32 v8, v1, v8
	v_fmac_f32_e32 v8, v9, v11
	s_cbranch_scc0 .LBB38_3
	s_branch .LBB38_5
.LBB38_4:
	s_waitcnt lgkmcnt(0)
	v_mov_b32_e32 v7, s5
.LBB38_5:
	s_waitcnt vmcnt(0)
	v_div_scale_f32 v0, s[0:1], v7, v7, v8
	v_rcp_f32_e32 v1, v0
	v_div_scale_f32 v4, vcc, v8, v7, v8
	v_fma_f32 v5, -v0, v1, 1.0
	v_fmac_f32_e32 v1, v5, v1
	v_mul_f32_e32 v5, v4, v1
	v_fma_f32 v6, -v0, v5, v4
	v_fmac_f32_e32 v5, v6, v1
	v_fma_f32 v0, -v0, v5, v4
	v_div_fmas_f32 v0, v0, v1, v5
	v_div_fixup_f32 v0, v0, v7, v8
	global_store_dword v[2:3], v0, off
.LBB38_6:
	s_endpgm
	.section	.rodata,"a",@progbits
	.p2align	6, 0x0
	.amdhsa_kernel _ZL33flash_attn_stream_k_fixup_uniformILi64ELi16ELi2EEvPfPK15HIP_vector_typeIfLj2EEiiiiiiS1_IjLj3EES5_S5_
		.amdhsa_group_segment_fixed_size 0
		.amdhsa_private_segment_fixed_size 0
		.amdhsa_kernarg_size 76
		.amdhsa_user_sgpr_count 6
		.amdhsa_user_sgpr_private_segment_buffer 1
		.amdhsa_user_sgpr_dispatch_ptr 0
		.amdhsa_user_sgpr_queue_ptr 0
		.amdhsa_user_sgpr_kernarg_segment_ptr 1
		.amdhsa_user_sgpr_dispatch_id 0
		.amdhsa_user_sgpr_flat_scratch_init 0
		.amdhsa_user_sgpr_kernarg_preload_length 0
		.amdhsa_user_sgpr_kernarg_preload_offset 0
		.amdhsa_user_sgpr_private_segment_size 0
		.amdhsa_uses_dynamic_stack 0
		.amdhsa_system_sgpr_private_segment_wavefront_offset 0
		.amdhsa_system_sgpr_workgroup_id_x 1
		.amdhsa_system_sgpr_workgroup_id_y 1
		.amdhsa_system_sgpr_workgroup_id_z 1
		.amdhsa_system_sgpr_workgroup_info 0
		.amdhsa_system_vgpr_workitem_id 0
		.amdhsa_next_free_vgpr 17
		.amdhsa_next_free_sgpr 20
		.amdhsa_accum_offset 20
		.amdhsa_reserve_vcc 1
		.amdhsa_reserve_flat_scratch 0
		.amdhsa_float_round_mode_32 0
		.amdhsa_float_round_mode_16_64 0
		.amdhsa_float_denorm_mode_32 3
		.amdhsa_float_denorm_mode_16_64 3
		.amdhsa_dx10_clamp 1
		.amdhsa_ieee_mode 1
		.amdhsa_fp16_overflow 0
		.amdhsa_tg_split 0
		.amdhsa_exception_fp_ieee_invalid_op 0
		.amdhsa_exception_fp_denorm_src 0
		.amdhsa_exception_fp_ieee_div_zero 0
		.amdhsa_exception_fp_ieee_overflow 0
		.amdhsa_exception_fp_ieee_underflow 0
		.amdhsa_exception_fp_ieee_inexact 0
		.amdhsa_exception_int_div_zero 0
	.end_amdhsa_kernel
	.section	.text._ZL33flash_attn_stream_k_fixup_uniformILi64ELi16ELi2EEvPfPK15HIP_vector_typeIfLj2EEiiiiiiS1_IjLj3EES5_S5_,"axG",@progbits,_ZL33flash_attn_stream_k_fixup_uniformILi64ELi16ELi2EEvPfPK15HIP_vector_typeIfLj2EEiiiiiiS1_IjLj3EES5_S5_,comdat
.Lfunc_end38:
	.size	_ZL33flash_attn_stream_k_fixup_uniformILi64ELi16ELi2EEvPfPK15HIP_vector_typeIfLj2EEiiiiiiS1_IjLj3EES5_S5_, .Lfunc_end38-_ZL33flash_attn_stream_k_fixup_uniformILi64ELi16ELi2EEvPfPK15HIP_vector_typeIfLj2EEiiiiiiS1_IjLj3EES5_S5_
                                        ; -- End function
	.section	.AMDGPU.csdata,"",@progbits
; Kernel info:
; codeLenInByte = 856
; NumSgprs: 24
; NumVgprs: 17
; NumAgprs: 0
; TotalNumVgprs: 17
; ScratchSize: 0
; MemoryBound: 0
; FloatMode: 240
; IeeeMode: 1
; LDSByteSize: 0 bytes/workgroup (compile time only)
; SGPRBlocks: 2
; VGPRBlocks: 2
; NumSGPRsForWavesPerEU: 24
; NumVGPRsForWavesPerEU: 17
; AccumOffset: 20
; Occupancy: 8
; WaveLimiterHint : 0
; COMPUTE_PGM_RSRC2:SCRATCH_EN: 0
; COMPUTE_PGM_RSRC2:USER_SGPR: 6
; COMPUTE_PGM_RSRC2:TRAP_HANDLER: 0
; COMPUTE_PGM_RSRC2:TGID_X_EN: 1
; COMPUTE_PGM_RSRC2:TGID_Y_EN: 1
; COMPUTE_PGM_RSRC2:TGID_Z_EN: 1
; COMPUTE_PGM_RSRC2:TIDIG_COMP_CNT: 0
; COMPUTE_PGM_RSRC3_GFX90A:ACCUM_OFFSET: 4
; COMPUTE_PGM_RSRC3_GFX90A:TG_SPLIT: 0
	.section	.text._ZL33flash_attn_stream_k_fixup_generalILi64ELi16ELi2EEvPfPK15HIP_vector_typeIfLj2EEiiiiS1_IjLj3EES5_S5_S5_,"axG",@progbits,_ZL33flash_attn_stream_k_fixup_generalILi64ELi16ELi2EEvPfPK15HIP_vector_typeIfLj2EEiiiiS1_IjLj3EES5_S5_S5_,comdat
	.globl	_ZL33flash_attn_stream_k_fixup_generalILi64ELi16ELi2EEvPfPK15HIP_vector_typeIfLj2EEiiiiS1_IjLj3EES5_S5_S5_ ; -- Begin function _ZL33flash_attn_stream_k_fixup_generalILi64ELi16ELi2EEvPfPK15HIP_vector_typeIfLj2EEiiiiS1_IjLj3EES5_S5_S5_
	.p2align	8
	.type	_ZL33flash_attn_stream_k_fixup_generalILi64ELi16ELi2EEvPfPK15HIP_vector_typeIfLj2EEiiiiS1_IjLj3EES5_S5_S5_,@function
_ZL33flash_attn_stream_k_fixup_generalILi64ELi16ELi2EEvPfPK15HIP_vector_typeIfLj2EEiiiiS1_IjLj3EES5_S5_S5_: ; @_ZL33flash_attn_stream_k_fixup_generalILi64ELi16ELi2EEvPfPK15HIP_vector_typeIfLj2EEiiiiS1_IjLj3EES5_S5_S5_
; %bb.0:
	s_load_dwordx4 s[12:15], s[4:5], 0x10
	s_load_dword s9, s[4:5], 0x50
	s_mov_b32 s2, 0
	s_waitcnt lgkmcnt(0)
	s_mul_hi_i32 s3, s15, s6
	s_cmp_lg_u64 s[2:3], 0
	s_mul_i32 s2, s15, s6
	s_cbranch_scc0 .LBB39_21
; %bb.1:
	v_cvt_f32_u32_e32 v1, s9
	v_cvt_f32_ubyte0_e32 v2, 0
	s_sub_u32 s10, 0, s9
	s_subb_u32 s11, 0, 0
	v_madmk_f32 v1, v2, 0x4f800000, v1
	v_rcp_f32_e32 v1, v1
	v_mul_f32_e32 v1, 0x5f7ffffc, v1
	v_mul_f32_e32 v2, 0x2f800000, v1
	v_trunc_f32_e32 v2, v2
	v_madmk_f32 v1, v2, 0xcf800000, v1
	v_cvt_u32_f32_e32 v2, v2
	v_cvt_u32_f32_e32 v1, v1
	v_readfirstlane_b32 s16, v2
	v_readfirstlane_b32 s17, v1
	s_mul_i32 s18, s10, s16
	s_mul_hi_u32 s20, s10, s17
	s_mul_i32 s19, s11, s17
	s_add_i32 s18, s20, s18
	s_add_i32 s18, s18, s19
	s_mul_i32 s21, s10, s17
	s_mul_hi_u32 s19, s17, s18
	s_mul_i32 s20, s17, s18
	s_mul_hi_u32 s17, s17, s21
	s_add_u32 s17, s17, s20
	s_addc_u32 s19, 0, s19
	s_mul_hi_u32 s22, s16, s21
	s_mul_i32 s21, s16, s21
	s_add_u32 s17, s17, s21
	s_mul_hi_u32 s20, s16, s18
	s_addc_u32 s17, s19, s22
	s_addc_u32 s19, s20, 0
	s_mul_i32 s18, s16, s18
	s_add_u32 s17, s17, s18
	s_addc_u32 s18, 0, s19
	v_add_co_u32_e32 v1, vcc, s17, v1
	s_cmp_lg_u64 vcc, 0
	s_addc_u32 s16, s16, s18
	v_readfirstlane_b32 s18, v1
	s_mul_i32 s17, s10, s16
	s_mul_hi_u32 s19, s10, s18
	s_add_i32 s17, s19, s17
	s_mul_i32 s11, s11, s18
	s_add_i32 s17, s17, s11
	s_mul_i32 s10, s10, s18
	s_mul_hi_u32 s19, s16, s10
	s_mul_i32 s20, s16, s10
	s_mul_i32 s22, s18, s17
	s_mul_hi_u32 s10, s18, s10
	s_mul_hi_u32 s21, s18, s17
	s_add_u32 s10, s10, s22
	s_addc_u32 s18, 0, s21
	s_add_u32 s10, s10, s20
	s_mul_hi_u32 s11, s16, s17
	s_addc_u32 s10, s18, s19
	s_addc_u32 s11, s11, 0
	s_mul_i32 s17, s16, s17
	s_add_u32 s10, s10, s17
	s_addc_u32 s11, 0, s11
	v_add_co_u32_e32 v1, vcc, s10, v1
	s_cmp_lg_u64 vcc, 0
	s_addc_u32 s18, s16, s11
	s_ashr_i32 s10, s3, 31
	s_add_u32 s16, s2, s10
	s_mov_b32 s11, s10
	s_addc_u32 s17, s3, s10
	s_xor_b64 s[16:17], s[16:17], s[10:11]
	v_readfirstlane_b32 s20, v1
	s_mul_i32 s19, s16, s18
	s_mul_hi_u32 s21, s16, s20
	s_mul_hi_u32 s3, s16, s18
	s_add_u32 s19, s21, s19
	s_addc_u32 s3, 0, s3
	s_mul_hi_u32 s22, s17, s20
	s_mul_i32 s20, s17, s20
	s_add_u32 s19, s19, s20
	s_mul_hi_u32 s21, s17, s18
	s_addc_u32 s3, s3, s22
	s_addc_u32 s19, s21, 0
	s_mul_i32 s18, s17, s18
	s_add_u32 s3, s3, s18
	s_addc_u32 s18, 0, s19
	s_add_u32 s19, s3, 1
	s_addc_u32 s20, s18, 0
	s_add_u32 s21, s3, 2
	s_mul_i32 s23, s9, s18
	s_mul_hi_u32 s24, s9, s3
	s_addc_u32 s22, s18, 0
	s_add_i32 s24, s24, s23
	s_mul_i32 s23, s9, s3
	v_mov_b32_e32 v1, s23
	v_sub_co_u32_e32 v1, vcc, s16, v1
	s_cmp_lg_u64 vcc, 0
	s_subb_u32 s16, s17, s24
	v_subrev_co_u32_e32 v2, vcc, s9, v1
	s_cmp_lg_u64 vcc, 0
	s_subb_u32 s17, s16, 0
	v_readfirstlane_b32 s23, v2
	s_cmp_ge_u32 s23, s9
	s_cselect_b32 s23, -1, 0
	s_cmp_eq_u32 s17, 0
	s_cselect_b32 s17, s23, -1
	s_cmp_lg_u32 s17, 0
	s_cselect_b32 s17, s22, s20
	v_readfirstlane_b32 s20, v1
	s_cselect_b32 s19, s21, s19
	s_cmp_ge_u32 s20, s9
	s_cselect_b32 s20, -1, 0
	s_cmp_eq_u32 s16, 0
	s_cselect_b32 s16, s20, -1
	s_cmp_lg_u32 s16, 0
	s_cselect_b32 s17, s17, s18
	s_cselect_b32 s16, s19, s3
	s_xor_b64 s[16:17], s[16:17], s[10:11]
	s_sub_u32 s20, s16, s10
	s_load_dwordx4 s[16:19], s[4:5], 0x44
	s_cbranch_execnz .LBB39_3
.LBB39_2:
	v_cvt_f32_u32_e32 v1, s9
	s_sub_i32 s0, 0, s9
	v_rcp_iflag_f32_e32 v1, v1
	v_mul_f32_e32 v1, 0x4f7ffffe, v1
	v_cvt_u32_f32_e32 v1, v1
	v_readfirstlane_b32 s1, v1
	s_mul_i32 s0, s0, s1
	s_mul_hi_u32 s0, s1, s0
	s_add_i32 s1, s1, s0
	s_mul_hi_u32 s0, s2, s1
	s_mul_i32 s3, s0, s9
	s_sub_i32 s2, s2, s3
	s_add_i32 s1, s0, 1
	s_sub_i32 s3, s2, s9
	s_cmp_ge_u32 s2, s9
	s_cselect_b32 s0, s1, s0
	s_cselect_b32 s2, s3, s2
	s_add_i32 s1, s0, 1
	s_cmp_ge_u32 s2, s9
	s_cselect_b32 s20, s1, s0
.LBB39_3:
	s_add_i32 s0, s6, 1
	s_mul_hi_i32 s3, s15, s0
	s_mov_b32 s2, 0
	s_cmp_lg_u64 s[2:3], 0
	s_mul_i32 s2, s15, s0
	s_cbranch_scc0 .LBB39_22
; %bb.4:
	v_cvt_f32_u32_e32 v1, s9
	v_cvt_f32_ubyte0_e32 v2, 0
	s_sub_u32 s10, 0, s9
	s_subb_u32 s11, 0, 0
	v_madmk_f32 v1, v2, 0x4f800000, v1
	v_rcp_f32_e32 v1, v1
	v_mul_f32_e32 v1, 0x5f7ffffc, v1
	v_mul_f32_e32 v2, 0x2f800000, v1
	v_trunc_f32_e32 v2, v2
	v_madmk_f32 v1, v2, 0xcf800000, v1
	v_cvt_u32_f32_e32 v2, v2
	v_cvt_u32_f32_e32 v1, v1
	s_waitcnt lgkmcnt(0)
	v_readfirstlane_b32 s19, v2
	v_readfirstlane_b32 s21, v1
	s_mul_i32 s22, s10, s19
	s_mul_hi_u32 s24, s10, s21
	s_mul_i32 s23, s11, s21
	s_add_i32 s22, s24, s22
	s_add_i32 s22, s22, s23
	s_mul_i32 s25, s10, s21
	s_mul_hi_u32 s23, s21, s22
	s_mul_i32 s24, s21, s22
	s_mul_hi_u32 s21, s21, s25
	s_add_u32 s21, s21, s24
	s_addc_u32 s23, 0, s23
	s_mul_hi_u32 s26, s19, s25
	s_mul_i32 s25, s19, s25
	s_add_u32 s21, s21, s25
	s_mul_hi_u32 s24, s19, s22
	s_addc_u32 s21, s23, s26
	s_addc_u32 s23, s24, 0
	s_mul_i32 s22, s19, s22
	s_add_u32 s21, s21, s22
	s_addc_u32 s22, 0, s23
	v_add_co_u32_e32 v1, vcc, s21, v1
	s_cmp_lg_u64 vcc, 0
	s_addc_u32 s19, s19, s22
	v_readfirstlane_b32 s22, v1
	s_mul_i32 s21, s10, s19
	s_mul_hi_u32 s23, s10, s22
	s_add_i32 s21, s23, s21
	s_mul_i32 s11, s11, s22
	s_add_i32 s21, s21, s11
	s_mul_i32 s10, s10, s22
	s_mul_hi_u32 s23, s19, s10
	s_mul_i32 s24, s19, s10
	s_mul_i32 s26, s22, s21
	s_mul_hi_u32 s10, s22, s10
	s_mul_hi_u32 s25, s22, s21
	s_add_u32 s10, s10, s26
	s_addc_u32 s22, 0, s25
	s_add_u32 s10, s10, s24
	s_mul_hi_u32 s11, s19, s21
	s_addc_u32 s10, s22, s23
	s_addc_u32 s11, s11, 0
	s_mul_i32 s21, s19, s21
	s_add_u32 s10, s10, s21
	s_addc_u32 s11, 0, s11
	v_add_co_u32_e32 v1, vcc, s10, v1
	s_cmp_lg_u64 vcc, 0
	s_addc_u32 s19, s19, s11
	s_ashr_i32 s10, s3, 31
	s_add_u32 s22, s2, s10
	s_mov_b32 s11, s10
	s_addc_u32 s23, s3, s10
	s_xor_b64 s[22:23], s[22:23], s[10:11]
	v_readfirstlane_b32 s21, v1
	s_mul_i32 s11, s22, s19
	s_mul_hi_u32 s24, s22, s21
	s_mul_hi_u32 s3, s22, s19
	s_add_u32 s11, s24, s11
	s_addc_u32 s3, 0, s3
	s_mul_hi_u32 s25, s23, s21
	s_mul_i32 s21, s23, s21
	s_add_u32 s11, s11, s21
	s_mul_hi_u32 s24, s23, s19
	s_addc_u32 s3, s3, s25
	s_addc_u32 s11, s24, 0
	s_mul_i32 s19, s23, s19
	s_add_u32 s3, s3, s19
	s_addc_u32 s11, 0, s11
	s_mul_i32 s11, s9, s11
	s_mul_hi_u32 s24, s9, s3
	s_add_i32 s24, s24, s11
	s_mul_i32 s11, s9, s3
	v_mov_b32_e32 v1, s11
	s_add_u32 s19, s3, 1
	s_add_u32 s21, s3, 2
	v_sub_co_u32_e32 v1, vcc, s22, v1
	s_cmp_lg_u64 vcc, 0
	s_subb_u32 s11, s23, s24
	v_subrev_co_u32_e32 v2, vcc, s9, v1
	s_cmp_lg_u64 vcc, 0
	s_subb_u32 s22, s11, 0
	v_cmp_le_u32_e32 vcc, s9, v2
	s_cmp_eq_u32 s22, 0
	v_cndmask_b32_e64 v2, 0, -1, vcc
	s_cselect_b64 vcc, -1, 0
	v_cndmask_b32_e32 v2, -1, v2, vcc
	v_mov_b32_e32 v3, s19
	v_mov_b32_e32 v4, s21
	v_cmp_ne_u32_e32 vcc, 0, v2
	v_cndmask_b32_e32 v2, v3, v4, vcc
	v_cmp_le_u32_e32 vcc, s9, v1
	s_cmp_eq_u32 s11, 0
	v_cndmask_b32_e64 v1, 0, -1, vcc
	s_cselect_b64 vcc, -1, 0
	v_cndmask_b32_e32 v1, -1, v1, vcc
	v_mov_b32_e32 v3, s3
	v_cmp_ne_u32_e32 vcc, 0, v1
	v_cndmask_b32_e32 v1, v3, v2, vcc
	v_xor_b32_e32 v1, s10, v1
	v_subrev_co_u32_e32 v2, vcc, s10, v1
	s_cbranch_execnz .LBB39_6
.LBB39_5:
	v_cvt_f32_u32_e32 v1, s9
	s_sub_i32 s0, 0, s9
	s_mov_b32 s1, 0
	v_rcp_iflag_f32_e32 v1, v1
	v_mul_f32_e32 v1, 0x4f7ffffe, v1
	v_cvt_u32_f32_e32 v1, v1
	v_readfirstlane_b32 s3, v1
	s_mul_i32 s0, s0, s3
	s_mul_hi_u32 s0, s3, s0
	s_add_i32 s3, s3, s0
	s_mul_hi_u32 s0, s2, s3
	s_mul_i32 s10, s0, s9
	s_sub_i32 s2, s2, s10
	s_add_i32 s3, s0, 1
	s_sub_i32 s10, s2, s9
	s_cmp_ge_u32 s2, s9
	s_cselect_b32 s0, s3, s0
	s_cselect_b32 s2, s10, s2
	s_add_i32 s3, s0, 1
	s_cmp_ge_u32 s2, s9
	s_cselect_b32 s0, s3, s0
	v_pk_mov_b32 v[2:3], s[0:1], s[0:1] op_sel:[0,1]
.LBB39_6:
	s_waitcnt lgkmcnt(0)
	s_mul_hi_u32 s0, s20, s16
	s_add_i32 s0, s0, s20
	v_mul_hi_u32 v1, v2, s16
	s_lshr_b32 s19, s0, s17
	v_add_u32_e32 v1, v1, v2
	s_mul_i32 s0, s19, s18
	v_lshrrev_b32_e32 v1, s17, v1
	s_cmp_eq_u32 s0, s20
	v_cmp_eq_u32_e64 s[0:1], s19, v1
	v_mul_lo_u32 v1, v1, s18
	v_cmp_eq_u32_e32 vcc, s20, v2
	s_cselect_b64 s[10:11], -1, 0
	v_cmp_ne_u32_e64 s[2:3], v1, v2
	s_and_b64 s[0:1], s[0:1], s[2:3]
	s_or_b64 s[2:3], vcc, s[10:11]
	s_or_b64 s[0:1], s[2:3], s[0:1]
	s_and_b64 vcc, exec, s[0:1]
	s_cbranch_vccnz .LBB39_24
; %bb.7:
	s_load_dwordx8 s[24:31], s[4:5], 0x20
	s_load_dword s0, s[4:5], 0x40
	s_mov_b32 s10, 0
	s_waitcnt lgkmcnt(0)
	s_mul_hi_u32 s1, s20, s24
	s_add_i32 s1, s1, s20
	s_lshr_b32 s11, s1, s25
	s_mul_i32 s1, s11, s26
	s_sub_i32 s1, s20, s1
	s_mul_hi_u32 s2, s1, s27
	s_add_i32 s2, s1, s2
	s_lshr_b32 s24, s2, s28
	s_mul_i32 s2, s24, s29
	s_sub_i32 s1, s1, s2
	;; [unrolled: 5-line block ×3, first 2 shown]
	s_mul_hi_u32 s1, s0, s16
	s_add_i32 s0, s0, s1
	s_lshr_b32 s26, s0, s17
	s_lshl_b32 s0, s26, 4
	s_lshl_b32 s25, s2, 1
	s_add_i32 s0, s0, s7
	s_cmp_lt_i32 s0, s12
	s_cselect_b64 s[0:1], -1, 0
	s_add_i32 s2, s25, s8
	s_cmp_lt_i32 s2, s14
	s_cselect_b64 s[2:3], -1, 0
	s_and_b64 s[0:1], s[0:1], s[2:3]
	s_andn2_b64 vcc, exec, s[0:1]
	s_cbranch_vccnz .LBB39_24
; %bb.8:
	s_load_dwordx4 s[0:3], s[4:5], 0x0
	s_lshl_b32 s21, s7, 1
	s_lshl_b32 s4, s9, 7
	s_mov_b32 s5, s10
	s_add_i32 s21, s21, s8
	s_lshl_b64 s[4:5], s[4:5], 2
	s_waitcnt lgkmcnt(0)
	s_add_u32 s22, s2, s4
	s_mul_i32 s4, s11, s12
	s_addc_u32 s23, s3, s5
	s_add_i32 s4, s4, s7
	s_mul_i32 s4, s4, s13
	s_mul_i32 s24, s24, s14
	s_add_i32 s4, s4, s8
	s_add_i32 s4, s4, s24
	s_mul_i32 s5, s13, s26
	s_add_i32 s4, s4, s25
	s_lshl_b32 s5, s5, 10
	s_lshl_b32 s4, s4, 6
	s_add_i32 s5, s5, s4
	v_or_b32_e32 v2, s5, v0
	v_ashrrev_i32_e32 v3, 31, v2
	v_lshlrev_b64 v[2:3], 2, v[2:3]
	v_mov_b32_e32 v1, s1
	v_add_co_u32_e32 v2, vcc, s0, v2
	v_addc_co_u32_e32 v3, vcc, v1, v3, vcc
	global_load_dword v5, v[2:3], off
	v_lshl_or_b32 v4, s21, 6, v0
	v_cvt_f32_u32_e32 v0, s9
	v_cvt_f32_ubyte0_e32 v1, 0
	s_lshl_b32 s0, s6, 5
	s_add_i32 s0, s21, s0
	v_mac_f32_e32 v0, 0x4f800000, v1
	v_rcp_f32_e32 v0, v0
	v_cvt_f32_u32_e32 v1, s9
	s_ashr_i32 s1, s0, 31
	s_lshl_b64 s[0:1], s[0:1], 3
	v_mul_f32_e32 v0, 0x5f7ffffc, v0
	v_rcp_iflag_f32_e32 v1, v1
	s_add_u32 s0, s2, s0
	v_mul_f32_e32 v9, 0x2f800000, v0
	s_addc_u32 s1, s3, s1
	v_trunc_f32_e32 v10, v9
	s_load_dwordx2 s[0:1], s[0:1], 0x0
	v_mac_f32_e32 v0, 0xcf800000, v10
	v_cvt_u32_f32_e32 v9, v0
	v_mul_f32_e32 v0, 0x4f7ffffe, v1
	v_cvt_u32_f32_e32 v10, v10
	v_cvt_u32_f32_e32 v11, v0
	s_add_i32 s8, s6, -1
	s_waitcnt lgkmcnt(0)
	v_mov_b32_e32 v6, s1
	v_mov_b32_e32 v7, s0
	;; [unrolled: 1-line block ×3, first 2 shown]
	s_mov_b32 s6, 0x3fb8aa3b
	s_mov_b32 s7, 0xc2ce8ed0
	;; [unrolled: 1-line block ×4, first 2 shown]
	v_mov_b32_e32 v12, 0x7f800000
	s_mul_hi_i32 s11, s8, s15
	s_cmp_lg_u64 s[10:11], 0
	s_mul_i32 s4, s8, s15
	s_cbranch_scc0 .LBB39_15
.LBB39_9:
	s_sub_u32 s0, 0, s9
	v_readfirstlane_b32 s5, v9
	v_readfirstlane_b32 s24, v10
	s_subb_u32 s1, 0, 0
	s_mul_hi_u32 s20, s0, s5
	s_mul_i32 s25, s0, s24
	s_mul_i32 s14, s1, s5
	s_add_i32 s20, s20, s25
	s_add_i32 s20, s20, s14
	s_mul_i32 s26, s0, s5
	s_mul_hi_u32 s14, s5, s20
	s_mul_i32 s25, s5, s20
	s_mul_hi_u32 s5, s5, s26
	s_add_u32 s5, s5, s25
	s_addc_u32 s14, 0, s14
	s_mul_hi_u32 s27, s24, s26
	s_mul_i32 s26, s24, s26
	s_add_u32 s5, s5, s26
	s_mul_hi_u32 s25, s24, s20
	s_addc_u32 s5, s14, s27
	s_addc_u32 s14, s25, 0
	s_mul_i32 s20, s24, s20
	s_add_u32 s5, s5, s20
	s_addc_u32 s14, 0, s14
	v_add_co_u32_e32 v0, vcc, s5, v9
	s_cmp_lg_u64 vcc, 0
	s_addc_u32 s5, s24, s14
	v_readfirstlane_b32 s20, v0
	s_mul_i32 s14, s0, s5
	s_mul_hi_u32 s24, s0, s20
	s_add_i32 s14, s24, s14
	s_mul_i32 s1, s1, s20
	s_add_i32 s14, s14, s1
	s_mul_i32 s0, s0, s20
	s_mul_hi_u32 s24, s5, s0
	s_mul_i32 s25, s5, s0
	s_mul_i32 s27, s20, s14
	s_mul_hi_u32 s0, s20, s0
	s_mul_hi_u32 s26, s20, s14
	s_add_u32 s0, s0, s27
	s_addc_u32 s20, 0, s26
	s_add_u32 s0, s0, s25
	s_mul_hi_u32 s1, s5, s14
	s_addc_u32 s0, s20, s24
	s_addc_u32 s1, s1, 0
	s_mul_i32 s14, s5, s14
	s_add_u32 s0, s0, s14
	s_addc_u32 s1, 0, s1
	v_add_co_u32_e32 v0, vcc, s0, v0
	s_cmp_lg_u64 vcc, 0
	s_addc_u32 s5, s5, s1
	s_ashr_i32 s0, s11, 31
	s_add_u32 s24, s4, s0
	s_mov_b32 s1, s0
	s_addc_u32 s25, s11, s0
	s_xor_b64 s[24:25], s[24:25], s[0:1]
	v_readfirstlane_b32 s14, v0
	s_mul_i32 s11, s24, s5
	s_mul_hi_u32 s20, s24, s14
	s_mul_hi_u32 s1, s24, s5
	s_add_u32 s11, s20, s11
	s_addc_u32 s1, 0, s1
	s_mul_hi_u32 s26, s25, s14
	s_mul_i32 s14, s25, s14
	s_add_u32 s11, s11, s14
	s_mul_hi_u32 s20, s25, s5
	s_addc_u32 s1, s1, s26
	s_addc_u32 s11, s20, 0
	s_mul_i32 s5, s25, s5
	s_add_u32 s1, s1, s5
	s_addc_u32 s5, 0, s11
	s_mul_i32 s5, s9, s5
	s_mul_hi_u32 s20, s9, s1
	s_add_i32 s20, s20, s5
	s_mul_i32 s5, s9, s1
	v_mov_b32_e32 v0, s5
	s_add_u32 s11, s1, 1
	s_add_u32 s14, s1, 2
	v_sub_co_u32_e32 v0, vcc, s24, v0
	s_cmp_lg_u64 vcc, 0
	s_subb_u32 s5, s25, s20
	v_subrev_co_u32_e32 v1, vcc, s9, v0
	s_cmp_lg_u64 vcc, 0
	s_subb_u32 s20, s5, 0
	v_cmp_le_u32_e32 vcc, s9, v1
	s_cmp_eq_u32 s20, 0
	v_cndmask_b32_e64 v1, 0, -1, vcc
	s_cselect_b64 vcc, -1, 0
	v_cndmask_b32_e32 v1, -1, v1, vcc
	v_mov_b32_e32 v13, s11
	v_mov_b32_e32 v14, s14
	v_cmp_ne_u32_e32 vcc, 0, v1
	v_cndmask_b32_e32 v1, v13, v14, vcc
	v_cmp_le_u32_e32 vcc, s9, v0
	s_cmp_eq_u32 s5, 0
	v_cndmask_b32_e64 v0, 0, -1, vcc
	s_cselect_b64 vcc, -1, 0
	v_cndmask_b32_e32 v0, -1, v0, vcc
	v_mov_b32_e32 v13, s1
	v_cmp_ne_u32_e32 vcc, 0, v0
	v_cndmask_b32_e32 v0, v13, v1, vcc
	v_xor_b32_e32 v0, s0, v0
	v_subrev_co_u32_e32 v0, vcc, s0, v0
	s_cbranch_execnz .LBB39_11
.LBB39_10:
	s_sub_i32 s0, 0, s9
	v_mul_lo_u32 v0, s0, v11
	v_mul_hi_u32 v0, v11, v0
	v_add_u32_e32 v0, v11, v0
	v_mul_hi_u32 v0, s4, v0
	v_mul_lo_u32 v13, v0, s9
	v_sub_u32_e32 v13, s4, v13
	v_add_u32_e32 v1, 1, v0
	v_subrev_u32_e32 v14, s9, v13
	v_cmp_le_u32_e32 vcc, s9, v13
	v_cndmask_b32_e32 v13, v13, v14, vcc
	v_cndmask_b32_e32 v0, v0, v1, vcc
	v_add_u32_e32 v1, 1, v0
	v_cmp_le_u32_e32 vcc, s9, v13
	v_cndmask_b32_e32 v0, v0, v1, vcc
.LBB39_11:
	v_cmp_ne_u32_e32 vcc, v8, v0
	s_cbranch_vccz .LBB39_14
; %bb.12:
	s_add_i32 s0, s8, s9
	s_lshl_b32 s0, s0, 5
	v_mul_hi_u32 v1, v0, s16
	s_add_i32 s0, s0, s21
	s_mov_b32 s1, s10
	v_add_u32_e32 v1, v1, v0
	s_lshl_b64 s[0:1], s[0:1], 3
	v_lshrrev_b32_e32 v1, s17, v1
	s_add_u32 s4, s2, s0
	v_mul_lo_u32 v13, v1, s18
	s_addc_u32 s5, s3, s1
	v_cmp_eq_u32_e32 vcc, v13, v0
	v_cmp_gt_u32_e64 s[0:1], s19, v1
	s_or_b64 s[0:1], s[0:1], vcc
	s_and_b64 vcc, exec, s[0:1]
	s_cbranch_vccnz .LBB39_16
; %bb.13:
	s_add_i32 s11, s8, -1
	s_mov_b64 s[0:1], 0
	s_branch .LBB39_17
.LBB39_14:
                                        ; implicit-def: $sgpr0_sgpr1
                                        ; implicit-def: $vgpr14
                                        ; implicit-def: $vgpr1
                                        ; implicit-def: $vgpr13
                                        ; implicit-def: $sgpr11
                                        ; implicit-def: $vgpr0
	s_branch .LBB39_18
.LBB39_15:
                                        ; implicit-def: $vgpr0_vgpr1
	s_branch .LBB39_10
.LBB39_16:
	s_mov_b64 s[0:1], -1
	s_mov_b32 s11, s8
	v_mov_b32_e32 v0, v8
.LBB39_17:
	v_lshl_add_u32 v14, s8, 11, v4
	v_ashrrev_i32_e32 v15, 31, v14
	v_lshlrev_b64 v[14:15], 2, v[14:15]
	v_mov_b32_e32 v1, s23
	v_add_co_u32_e32 v14, vcc, s22, v14
	v_addc_co_u32_e32 v15, vcc, v1, v15, vcc
	global_load_dword v14, v[14:15], off
	s_load_dwordx2 s[4:5], s[4:5], 0x0
	v_max_f32_e32 v1, v7, v7
	s_waitcnt lgkmcnt(0)
	v_max_f32_e64 v13, s4, s4
	v_max_f32_e32 v1, v1, v13
	v_sub_f32_e32 v13, v7, v1
	v_sub_f32_e32 v15, s4, v1
	v_mul_f32_e32 v16, 0x3fb8aa3b, v13
	v_mul_f32_e32 v17, 0x3fb8aa3b, v15
	v_fma_f32 v18, v13, s6, -v16
	v_rndne_f32_e32 v19, v16
	v_fma_f32 v20, v15, s6, -v17
	v_rndne_f32_e32 v21, v17
	v_fmac_f32_e32 v18, 0x32a5705f, v13
	v_sub_f32_e32 v16, v16, v19
	v_fmac_f32_e32 v20, 0x32a5705f, v15
	v_sub_f32_e32 v17, v17, v21
	v_add_f32_e32 v16, v16, v18
	v_cvt_i32_f32_e32 v19, v19
	v_add_f32_e32 v17, v17, v20
	v_exp_f32_e32 v16, v16
	v_cvt_i32_f32_e32 v21, v21
	v_exp_f32_e32 v17, v17
	v_cmp_ngt_f32_e32 vcc, s7, v13
	v_ldexp_f32 v16, v16, v19
	v_cndmask_b32_e32 v16, 0, v16, vcc
	v_ldexp_f32 v17, v17, v21
	v_cmp_ngt_f32_e32 vcc, s7, v15
	v_cndmask_b32_e32 v17, 0, v17, vcc
	v_cmp_nlt_f32_e32 vcc, s12, v13
	v_cndmask_b32_e32 v16, v12, v16, vcc
	v_cmp_nlt_f32_e32 vcc, s12, v15
	v_cndmask_b32_e32 v17, v12, v17, vcc
	v_cmp_le_f32_e32 vcc, s13, v13
	v_cndmask_b32_e32 v16, 0, v16, vcc
	v_cmp_le_f32_e32 vcc, s13, v15
	v_cndmask_b32_e32 v15, 0, v17, vcc
	v_mul_f32_e32 v13, s5, v15
	v_fmac_f32_e32 v13, v6, v16
	s_waitcnt vmcnt(0)
	v_mul_f32_e32 v14, v14, v15
	v_fmac_f32_e32 v14, v5, v16
	s_cbranch_execnz .LBB39_19
.LBB39_18:
	s_add_i32 s11, s8, -1
	s_mov_b64 s[0:1], 0
	v_mov_b32_e32 v0, v8
	v_mov_b32_e32 v13, v6
	;; [unrolled: 1-line block ×3, first 2 shown]
	s_waitcnt vmcnt(0)
	v_mov_b32_e32 v14, v5
.LBB39_19:
	s_andn2_b64 vcc, exec, s[0:1]
	s_cbranch_vccz .LBB39_23
; %bb.20:
	v_mov_b32_e32 v8, v0
	s_mov_b32 s8, s11
	v_mov_b32_e32 v6, v13
	v_mov_b32_e32 v7, v1
	s_waitcnt vmcnt(0)
	v_mov_b32_e32 v5, v14
	s_mul_hi_i32 s11, s8, s15
	s_cmp_lg_u64 s[10:11], 0
	s_mul_i32 s4, s8, s15
	s_cbranch_scc1 .LBB39_9
	s_branch .LBB39_15
.LBB39_21:
                                        ; implicit-def: $sgpr20_sgpr21
	s_load_dwordx4 s[16:19], s[4:5], 0x44
	s_branch .LBB39_2
.LBB39_22:
                                        ; implicit-def: $vgpr2_vgpr3
	s_branch .LBB39_5
.LBB39_23:
	v_div_scale_f32 v0, s[0:1], v13, v13, v14
	v_rcp_f32_e32 v1, v0
	v_div_scale_f32 v4, vcc, v14, v13, v14
	s_waitcnt vmcnt(0)
	v_fma_f32 v5, -v0, v1, 1.0
	v_fmac_f32_e32 v1, v5, v1
	v_mul_f32_e32 v5, v4, v1
	v_fma_f32 v6, -v0, v5, v4
	v_fmac_f32_e32 v5, v6, v1
	v_fma_f32 v0, -v0, v5, v4
	v_div_fmas_f32 v0, v0, v1, v5
	v_div_fixup_f32 v0, v0, v13, v14
	global_store_dword v[2:3], v0, off
.LBB39_24:
	s_endpgm
	.section	.rodata,"a",@progbits
	.p2align	6, 0x0
	.amdhsa_kernel _ZL33flash_attn_stream_k_fixup_generalILi64ELi16ELi2EEvPfPK15HIP_vector_typeIfLj2EEiiiiS1_IjLj3EES5_S5_S5_
		.amdhsa_group_segment_fixed_size 0
		.amdhsa_private_segment_fixed_size 0
		.amdhsa_kernarg_size 336
		.amdhsa_user_sgpr_count 6
		.amdhsa_user_sgpr_private_segment_buffer 1
		.amdhsa_user_sgpr_dispatch_ptr 0
		.amdhsa_user_sgpr_queue_ptr 0
		.amdhsa_user_sgpr_kernarg_segment_ptr 1
		.amdhsa_user_sgpr_dispatch_id 0
		.amdhsa_user_sgpr_flat_scratch_init 0
		.amdhsa_user_sgpr_kernarg_preload_length 0
		.amdhsa_user_sgpr_kernarg_preload_offset 0
		.amdhsa_user_sgpr_private_segment_size 0
		.amdhsa_uses_dynamic_stack 0
		.amdhsa_system_sgpr_private_segment_wavefront_offset 0
		.amdhsa_system_sgpr_workgroup_id_x 1
		.amdhsa_system_sgpr_workgroup_id_y 1
		.amdhsa_system_sgpr_workgroup_id_z 1
		.amdhsa_system_sgpr_workgroup_info 0
		.amdhsa_system_vgpr_workitem_id 0
		.amdhsa_next_free_vgpr 22
		.amdhsa_next_free_sgpr 32
		.amdhsa_accum_offset 24
		.amdhsa_reserve_vcc 1
		.amdhsa_reserve_flat_scratch 0
		.amdhsa_float_round_mode_32 0
		.amdhsa_float_round_mode_16_64 0
		.amdhsa_float_denorm_mode_32 3
		.amdhsa_float_denorm_mode_16_64 3
		.amdhsa_dx10_clamp 1
		.amdhsa_ieee_mode 1
		.amdhsa_fp16_overflow 0
		.amdhsa_tg_split 0
		.amdhsa_exception_fp_ieee_invalid_op 0
		.amdhsa_exception_fp_denorm_src 0
		.amdhsa_exception_fp_ieee_div_zero 0
		.amdhsa_exception_fp_ieee_overflow 0
		.amdhsa_exception_fp_ieee_underflow 0
		.amdhsa_exception_fp_ieee_inexact 0
		.amdhsa_exception_int_div_zero 0
	.end_amdhsa_kernel
	.section	.text._ZL33flash_attn_stream_k_fixup_generalILi64ELi16ELi2EEvPfPK15HIP_vector_typeIfLj2EEiiiiS1_IjLj3EES5_S5_S5_,"axG",@progbits,_ZL33flash_attn_stream_k_fixup_generalILi64ELi16ELi2EEvPfPK15HIP_vector_typeIfLj2EEiiiiS1_IjLj3EES5_S5_S5_,comdat
.Lfunc_end39:
	.size	_ZL33flash_attn_stream_k_fixup_generalILi64ELi16ELi2EEvPfPK15HIP_vector_typeIfLj2EEiiiiS1_IjLj3EES5_S5_S5_, .Lfunc_end39-_ZL33flash_attn_stream_k_fixup_generalILi64ELi16ELi2EEvPfPK15HIP_vector_typeIfLj2EEiiiiS1_IjLj3EES5_S5_S5_
                                        ; -- End function
	.section	.AMDGPU.csdata,"",@progbits
; Kernel info:
; codeLenInByte = 2824
; NumSgprs: 36
; NumVgprs: 22
; NumAgprs: 0
; TotalNumVgprs: 22
; ScratchSize: 0
; MemoryBound: 0
; FloatMode: 240
; IeeeMode: 1
; LDSByteSize: 0 bytes/workgroup (compile time only)
; SGPRBlocks: 4
; VGPRBlocks: 2
; NumSGPRsForWavesPerEU: 36
; NumVGPRsForWavesPerEU: 22
; AccumOffset: 24
; Occupancy: 8
; WaveLimiterHint : 0
; COMPUTE_PGM_RSRC2:SCRATCH_EN: 0
; COMPUTE_PGM_RSRC2:USER_SGPR: 6
; COMPUTE_PGM_RSRC2:TRAP_HANDLER: 0
; COMPUTE_PGM_RSRC2:TGID_X_EN: 1
; COMPUTE_PGM_RSRC2:TGID_Y_EN: 1
; COMPUTE_PGM_RSRC2:TGID_Z_EN: 1
; COMPUTE_PGM_RSRC2:TIDIG_COMP_CNT: 0
; COMPUTE_PGM_RSRC3_GFX90A:ACCUM_OFFSET: 5
; COMPUTE_PGM_RSRC3_GFX90A:TG_SPLIT: 0
	.section	.text._ZL15flash_attn_tileILi64ELi64ELi8ELi2ELb0EEvPKcS1_S1_S1_S1_PKiPfP15HIP_vector_typeIfLj2EEffffjfiS5_IjLj3EEiiiiiiiiiiiliiliiiiil,"axG",@progbits,_ZL15flash_attn_tileILi64ELi64ELi8ELi2ELb0EEvPKcS1_S1_S1_S1_PKiPfP15HIP_vector_typeIfLj2EEffffjfiS5_IjLj3EEiiiiiiiiiiiliiliiiiil,comdat
	.globl	_ZL15flash_attn_tileILi64ELi64ELi8ELi2ELb0EEvPKcS1_S1_S1_S1_PKiPfP15HIP_vector_typeIfLj2EEffffjfiS5_IjLj3EEiiiiiiiiiiiliiliiiiil ; -- Begin function _ZL15flash_attn_tileILi64ELi64ELi8ELi2ELb0EEvPKcS1_S1_S1_S1_PKiPfP15HIP_vector_typeIfLj2EEffffjfiS5_IjLj3EEiiiiiiiiiiiliiliiiiil
	.p2align	8
	.type	_ZL15flash_attn_tileILi64ELi64ELi8ELi2ELb0EEvPKcS1_S1_S1_S1_PKiPfP15HIP_vector_typeIfLj2EEffffjfiS5_IjLj3EEiiiiiiiiiiiliiliiiiil,@function
_ZL15flash_attn_tileILi64ELi64ELi8ELi2ELb0EEvPKcS1_S1_S1_S1_PKiPfP15HIP_vector_typeIfLj2EEffffjfiS5_IjLj3EEiiiiiiiiiiiliiliiiiil: ; @_ZL15flash_attn_tileILi64ELi64ELi8ELi2ELb0EEvPKcS1_S1_S1_S1_PKiPfP15HIP_vector_typeIfLj2EEffffjfiS5_IjLj3EEiiiiiiiiiiiliiliiiiil
; %bb.0:
	s_load_dwordx4 s[52:55], s[4:5], 0x5c
	s_load_dwordx2 s[58:59], s[4:5], 0x80
	s_load_dwordx16 s[36:51], s[4:5], 0x0
	s_mov_b64 s[60:61], 0
	s_waitcnt lgkmcnt(0)
	s_lshr_b32 s0, s55, 31
	s_add_i32 s0, s55, s0
	s_ashr_i32 s0, s0, 1
	v_cvt_f32_u32_e32 v1, s0
	s_sub_i32 s1, 0, s0
	v_rcp_iflag_f32_e32 v1, v1
	v_mul_f32_e32 v1, 0x4f7ffffe, v1
	v_cvt_u32_f32_e32 v1, v1
	v_readfirstlane_b32 s2, v1
	s_mul_i32 s1, s1, s2
	s_mul_hi_u32 s1, s2, s1
	s_add_i32 s2, s2, s1
	s_mul_hi_u32 s1, s8, s2
	s_mul_i32 s2, s1, s0
	s_sub_i32 s2, s8, s2
	s_add_i32 s3, s1, 1
	s_sub_i32 s9, s2, s0
	s_cmp_ge_u32 s2, s0
	s_cselect_b32 s1, s3, s1
	s_cselect_b32 s2, s9, s2
	s_add_i32 s3, s1, 1
	s_cmp_ge_u32 s2, s0
	s_cselect_b32 s33, s3, s1
	s_abs_i32 s0, s59
	v_cvt_f32_u32_e32 v1, s0
	s_lshl_b32 s1, s8, 1
	s_mul_i32 s8, s33, s55
	s_sub_i32 s9, 0, s0
	v_rcp_iflag_f32_e32 v1, v1
	s_sub_i32 s56, s1, s8
	s_abs_i32 s3, s55
	s_xor_b32 s2, s55, s59
	v_mul_f32_e32 v1, 0x4f7ffffe, v1
	v_cvt_u32_f32_e32 v1, v1
	s_ashr_i32 s2, s2, 31
	v_readfirstlane_b32 s1, v1
	s_mul_i32 s9, s9, s1
	s_mul_hi_u32 s8, s1, s9
	s_add_i32 s1, s1, s8
	s_mul_hi_u32 s1, s3, s1
	s_mul_i32 s8, s1, s0
	s_sub_i32 s3, s3, s8
	s_add_i32 s9, s1, 1
	s_sub_i32 s8, s3, s0
	s_cmp_ge_u32 s3, s0
	s_cselect_b32 s1, s9, s1
	s_cselect_b32 s3, s8, s3
	s_add_i32 s8, s1, 1
	s_cmp_ge_u32 s3, s0
	s_cselect_b32 s0, s8, s1
	s_xor_b32 s0, s0, s2
	s_sub_i32 s11, s0, s2
	s_abs_i32 s10, s11
	v_cvt_f32_u32_e32 v1, s10
	s_load_dwordx2 s[8:9], s[4:5], 0xb8
	s_cmp_eq_u64 s[42:43], 0
	v_rcp_iflag_f32_e32 v1, v1
	v_mul_f32_e32 v1, 0x4f7ffffe, v1
	v_cvt_u32_f32_e32 v1, v1
	v_readfirstlane_b32 s12, v1
	s_cbranch_scc1 .LBB40_2
; %bb.1:
	s_waitcnt lgkmcnt(0)
	s_abs_i32 s2, s8
	v_cvt_f32_u32_e32 v1, s2
	s_sub_i32 s13, 0, s2
	s_abs_i32 s8, s33
	s_ashr_i32 s3, s33, 31
	v_rcp_iflag_f32_e32 v1, v1
	s_load_dwordx2 s[0:1], s[4:5], 0xc8
	v_mul_f32_e32 v1, 0x4f7ffffe, v1
	v_cvt_u32_f32_e32 v1, v1
	v_readfirstlane_b32 s14, v1
	s_mul_i32 s13, s13, s14
	s_mul_hi_u32 s13, s14, s13
	s_add_i32 s14, s14, s13
	s_mul_hi_u32 s13, s8, s14
	s_mul_i32 s13, s13, s2
	s_sub_i32 s8, s8, s13
	s_sub_i32 s13, s8, s2
	s_cmp_ge_u32 s8, s2
	s_cselect_b32 s8, s13, s8
	s_sub_i32 s13, s8, s2
	s_cmp_ge_u32 s8, s2
	s_cselect_b32 s2, s13, s8
	s_xor_b32 s2, s2, s3
	s_sub_i32 s2, s2, s3
	s_ashr_i32 s3, s2, 31
	s_waitcnt lgkmcnt(0)
	s_mul_i32 s1, s2, s1
	s_mul_hi_u32 s8, s2, s0
	s_add_i32 s1, s8, s1
	s_mul_i32 s3, s3, s0
	s_add_i32 s1, s1, s3
	s_mul_i32 s2, s2, s0
	s_add_u32 s60, s42, s2
	s_addc_u32 s61, s43, s1
.LBB40_2:
	s_load_dwordx4 s[0:3], s[4:5], 0x70
	v_bfe_u32 v1, v0, 10, 10
	v_lshl_add_u32 v17, s6, 3, v1
	v_mul_hi_u32 v2, s52, v17
	v_add_u32_e32 v2, v17, v2
	s_waitcnt lgkmcnt(0)
	s_mul_i32 s2, s33, s2
	s_ashr_i32 s8, s2, 31
	s_mul_i32 s3, s56, s1
	s_add_u32 s2, s36, s2
	s_addc_u32 s8, s37, s8
	s_ashr_i32 s13, s3, 31
	s_add_u32 s14, s2, s3
	v_lshrrev_b32_e32 v2, s53, v2
	s_addc_u32 s8, s8, s13
	v_mul_lo_u32 v2, v2, s54
	s_ashr_i32 s15, s0, 31
	v_mov_b32_e32 v3, s0
	v_sub_u32_e32 v2, v17, v2
	v_alignbit_b32 v3, s15, v3, 2
	v_mad_u64_u32 v[4:5], s[2:3], v3, v2, 0
	v_mov_b32_e32 v6, v5
	s_lshr_b32 s0, s15, 2
	v_mad_u64_u32 v[6:7], s[2:3], s0, v2, v[6:7]
	v_mov_b32_e32 v5, v6
	v_lshlrev_b64 v[4:5], 2, v[4:5]
	v_and_b32_e32 v16, 0x3ff, v0
	v_mov_b32_e32 v0, s8
	v_add_co_u32_e32 v3, vcc, s14, v4
	v_addc_co_u32_e32 v0, vcc, v0, v5, vcc
	v_lshlrev_b32_e32 v4, 3, v16
	v_add_co_u32_e32 v4, vcc, v3, v4
	s_ashr_i32 s13, s1, 31
	v_addc_co_u32_e32 v5, vcc, 0, v0, vcc
	s_and_b32 s0, s1, -4
	global_load_dwordx2 v[6:7], v[4:5], off
	v_mov_b32_e32 v0, s13
	v_add_co_u32_e32 v4, vcc, s0, v4
	v_addc_co_u32_e32 v5, vcc, v5, v0, vcc
	global_load_dwordx2 v[4:5], v[4:5], off
	s_load_dword s0, s[4:5], 0x40
	v_lshlrev_b32_e32 v0, 6, v1
	v_add_lshl_u32 v0, v0, v16, 2
	v_add_u32_e32 v0, 0x5800, v0
	s_cmp_eq_u64 s[46:47], 0
	s_waitcnt vmcnt(1) lgkmcnt(0)
	v_fma_mixlo_f16 v3, v6, s0, 0
	v_fma_mixhi_f16 v3, v7, s0, 0
	s_waitcnt vmcnt(0)
	v_fma_mixlo_f16 v4, v4, s0, 0
	v_fma_mixhi_f16 v4, v5, s0, 0
	ds_write2_b32 v0, v3, v4 offset1:32
	s_waitcnt lgkmcnt(0)
	s_barrier
	s_cbranch_scc1 .LBB40_4
; %bb.3:
	s_load_dword s0, s[4:5], 0xd0
	s_mov_b32 s1, 0
	s_waitcnt lgkmcnt(0)
	s_mul_i32 s0, s0, s33
	s_add_i32 s0, s0, s6
	s_lshl_b64 s[0:1], s[0:1], 2
	s_add_u32 s0, s46, s0
	s_addc_u32 s1, s47, s1
	s_load_dword s58, s[0:1], 0x0
.LBB40_4:
	s_lshl_b32 s52, s7, 7
	s_waitcnt lgkmcnt(0)
	s_cmp_lt_i32 s52, s58
	v_mbcnt_lo_u32_b32 v0, -1, 0
	s_cbranch_scc1 .LBB40_6
; %bb.5:
	v_mbcnt_hi_u32_b32 v19, -1, v0
	v_and_b32_e32 v3, 0x60, v19
	s_mov_b32 s0, 0xfeffffff
	s_mov_b32 s6, 0
	v_add_u32_e32 v56, 32, v3
	v_xor_b32_e32 v62, 16, v19
	v_xor_b32_e32 v61, 8, v19
	v_xor_b32_e32 v60, 4, v19
	v_xor_b32_e32 v59, 2, v19
	v_xor_b32_e32 v58, 1, v19
	s_mov_b32 s1, s0
	s_mov_b64 s[2:3], 0
	s_branch .LBB40_7
.LBB40_6:
	s_mov_b64 s[2:3], -1
                                        ; implicit-def: $sgpr6
                                        ; implicit-def: $sgpr0_sgpr1
                                        ; implicit-def: $vgpr19
                                        ; implicit-def: $vgpr56
                                        ; implicit-def: $vgpr62
                                        ; implicit-def: $vgpr61
                                        ; implicit-def: $vgpr60
                                        ; implicit-def: $vgpr59
                                        ; implicit-def: $vgpr58
.LBB40_7:
	s_andn2_b64 vcc, exec, s[2:3]
	v_mov_b32_e32 v21, s6
	v_pk_mov_b32 v[40:41], s[0:1], s[0:1] op_sel:[0,1]
	v_mov_b32_e32 v90, s6
	v_mov_b32_e32 v20, s6
	;; [unrolled: 1-line block ×3, first 2 shown]
	s_cbranch_vccnz .LBB40_10
; %bb.8:
	s_sub_i32 s0, 0, s10
	s_mul_i32 s0, s0, s12
	s_mul_hi_u32 s0, s12, s0
	s_add_i32 s8, s12, s0
	s_load_dwordx2 s[12:13], s[4:5], 0x8c
	s_load_dwordx4 s[0:3], s[4:5], 0x98
	s_abs_i32 s6, s56
	s_mul_hi_u32 s8, s6, s8
	s_ashr_i32 s16, s56, 31
	s_waitcnt lgkmcnt(0)
	s_ashr_i32 s57, s12, 2
	s_ashr_i32 s53, s2, 2
	;; [unrolled: 1-line block ×4, first 2 shown]
	s_mul_i32 s1, s33, s1
	s_mul_hi_u32 s12, s33, s0
	s_add_i32 s1, s12, s1
	s_mul_i32 s12, s9, s0
	s_ashr_i32 s11, s11, 31
	s_add_i32 s1, s1, s12
	s_mul_i32 s0, s33, s0
	s_add_u32 s0, s38, s0
	s_mul_i32 s12, s8, s10
	s_addc_u32 s1, s39, s1
	s_sub_i32 s6, s6, s12
	s_xor_b32 s11, s16, s11
	s_add_i32 s12, s8, 1
	s_sub_i32 s16, s6, s10
	s_cmp_ge_u32 s6, s10
	s_cselect_b32 s8, s12, s8
	s_cselect_b32 s6, s16, s6
	s_add_i32 s12, s8, 1
	s_cmp_ge_u32 s6, s10
	s_cselect_b32 s6, s12, s8
	s_load_dwordx2 s[14:15], s[4:5], 0xa8
	s_xor_b32 s6, s6, s11
	s_sub_i32 s6, s6, s11
	s_mul_i32 s8, s6, s13
	s_ashr_i32 s10, s8, 31
	s_add_u32 s59, s0, s8
	s_addc_u32 s62, s1, s10
	s_waitcnt lgkmcnt(0)
	s_mul_i32 s0, s33, s15
	s_mul_hi_u32 s1, s33, s14
	s_add_i32 s0, s1, s0
	s_mul_i32 s9, s9, s14
	s_add_i32 s0, s0, s9
	s_mul_i32 s1, s33, s14
	s_add_u32 s1, s40, s1
	s_mul_i32 s6, s6, s3
	s_addc_u32 s0, s41, s0
	s_ashr_i32 s3, s6, 31
	v_lshlrev_b32_e32 v63, 2, v16
	s_add_u32 s63, s1, s6
	v_lshrrev_b32_e32 v3, 3, v16
	v_and_b32_e32 v4, 28, v63
	s_addc_u32 s64, s0, s3
	v_lshl_add_u32 v3, v1, 2, v3
	v_lshlrev_b32_e32 v5, 2, v4
	s_movk_i32 s0, 0x90
	v_mad_u32_u24 v64, v3, s0, v5
	v_mul_lo_u32 v6, s57, v3
	s_lshl_b32 s0, s57, 5
	v_add_u32_e32 v8, s0, v6
	v_add_u32_e32 v10, s0, v8
	;; [unrolled: 1-line block ×3, first 2 shown]
	v_mad_u64_u32 v[18:19], s[0:1], v2, s2, v[16:17]
	v_mov_b32_e32 v2, 0x4800
	v_mov_b32_e32 v14, 0x5800
	v_lshl_add_u32 v70, v1, 9, v2
	v_mul_lo_u32 v2, s53, v3
	s_lshl_b32 s0, s53, 5
	v_lshl_add_u32 v69, v1, 8, v14
	v_add_u32_e32 v14, s0, v2
	v_add_u32_e32 v20, s0, v14
	v_add_u32_e32 v36, s0, v20
	v_mbcnt_hi_u32_b32 v19, -1, v0
	v_mov_b32_e32 v57, 0
	v_ashrrev_i32_e32 v7, 31, v6
	v_ashrrev_i32_e32 v9, 31, v8
	;; [unrolled: 1-line block ×4, first 2 shown]
	v_lshl_or_b32 v71, v3, 7, v5
	v_ashrrev_i32_e32 v3, 31, v2
	v_ashrrev_i32_e32 v15, 31, v14
	;; [unrolled: 1-line block ×4, first 2 shown]
	s_add_u32 s46, s4, 0xd0
	v_mov_b32_e32 v38, 0xfeffffff
	v_and_b32_e32 v0, 0x60, v19
	v_add_u32_e32 v65, 0x1200, v64
	v_add_u32_e32 v66, 0x2400, v64
	;; [unrolled: 1-line block ×3, first 2 shown]
	v_mul_u32_u24_e32 v68, 0x90, v16
	v_add_u32_e32 v72, 0x1000, v71
	v_add_u32_e32 v73, 0x2000, v71
	;; [unrolled: 1-line block ×3, first 2 shown]
	s_addc_u32 s47, s5, 0
	v_lshlrev_b64 v[22:23], 2, v[6:7]
	v_lshlrev_b32_e32 v75, 2, v4
	v_lshlrev_b64 v[24:25], 2, v[8:9]
	v_lshlrev_b64 v[26:27], 2, v[10:11]
	;; [unrolled: 1-line block ×3, first 2 shown]
	v_add_u32_e32 v56, 32, v0
	v_xor_b32_e32 v62, 16, v19
	v_xor_b32_e32 v61, 8, v19
	;; [unrolled: 1-line block ×5, first 2 shown]
	v_mov_b32_e32 v76, s61
	s_mov_b32 s6, 0x40051340
	s_mov_b32 s61, 0x3fb8aa3b
	;; [unrolled: 1-line block ×4, first 2 shown]
	v_mov_b32_e32 v77, 0x7f800000
	v_add_u32_e32 v78, v70, v63
	v_lshlrev_b64 v[30:31], 2, v[2:3]
	v_lshlrev_b64 v[32:33], 2, v[14:15]
	;; [unrolled: 1-line block ×4, first 2 shown]
	v_add_u32_e32 v79, 0x400, v63
	v_add_u32_e32 v80, 0x800, v63
	;; [unrolled: 1-line block ×15, first 2 shown]
	v_mov_b32_e32 v90, 0
	v_mov_b32_e32 v39, v38
	v_mov_b32_e32 v20, 0
	v_mov_b32_e32 v21, v57
.LBB40_9:                               ; =>This Inner Loop Header: Depth=1
	s_mul_hi_i32 s13, s52, s57
	s_mul_i32 s12, s52, s57
	v_add_u32_e32 v0, s52, v18
	v_cmp_lt_i32_e64 s[0:1], v61, v56
	v_cmp_lt_i32_e64 s[10:11], v59, v56
	v_cndmask_b32_e64 v3, v19, v61, s[0:1]
	s_lshl_b64 s[0:1], s[12:13], 2
	v_ashrrev_i32_e32 v1, 31, v0
	v_cmp_lt_i32_e32 vcc, v62, v56
	v_cmp_lt_i32_e64 s[2:3], v60, v56
	v_cmp_lt_i32_e64 s[8:9], v58, v56
	v_cndmask_b32_e64 v5, v19, v59, s[10:11]
	s_add_u32 s10, s59, s0
	v_lshlrev_b64 v[0:1], 1, v[0:1]
	s_mul_hi_i32 s15, s52, s53
	s_mul_i32 s14, s52, s53
	v_cndmask_b32_e32 v2, v19, v62, vcc
	v_cndmask_b32_e64 v4, v19, v60, s[2:3]
	v_cndmask_b32_e64 v6, v19, v58, s[8:9]
	s_addc_u32 s12, s62, s1
	v_add_co_u32_e32 v0, vcc, s60, v0
	v_lshlrev_b32_e32 v95, 2, v2
	v_lshlrev_b32_e32 v108, 2, v3
	;; [unrolled: 1-line block ×5, first 2 shown]
	s_lshl_b64 s[18:19], s[14:15], 2
	v_add_co_u32_e64 v2, s[0:1], s10, v24
	v_add_co_u32_e64 v3, s[2:3], s10, v26
	;; [unrolled: 1-line block ×4, first 2 shown]
	v_addc_co_u32_e32 v1, vcc, v76, v1, vcc
	v_mov_b32_e32 v6, s12
	v_mov_b32_e32 v7, s12
	v_mov_b32_e32 v8, s12
	v_mov_b32_e32 v9, s12
	s_add_u32 s18, s63, s18
	v_add_co_u32_e32 v14, vcc, v2, v75
	v_add_co_u32_e64 v100, s[12:13], v3, v75
	v_add_co_u32_e64 v102, s[14:15], v4, v75
	v_add_co_u32_e64 v104, s[16:17], v5, v75
	v_addc_co_u32_e64 v2, s[10:11], v6, v23, s[10:11]
	v_addc_co_u32_e64 v3, s[0:1], v7, v25, s[0:1]
	;; [unrolled: 1-line block ×4, first 2 shown]
	v_add_co_u32_e64 v6, s[0:1], s18, v30
	v_add_co_u32_e64 v7, s[2:3], s18, v32
	;; [unrolled: 1-line block ×4, first 2 shown]
	v_addc_co_u32_e64 v105, s[16:17], 0, v2, s[16:17]
	v_addc_co_u32_e32 v15, vcc, 0, v3, vcc
	v_addc_co_u32_e64 v101, vcc, 0, v4, s[12:13]
	v_addc_co_u32_e64 v103, vcc, 0, v5, s[14:15]
	v_add_co_u32_e32 v48, vcc, v7, v75
	v_add_co_u32_e64 v52, s[12:13], v8, v75
	v_add_co_u32_e64 v50, s[14:15], v9, v75
	v_add_co_u32_e64 v54, s[16:17], v6, v75
	global_load_dwordx4 v[2:5], v[104:105], off
	global_load_dwordx4 v[6:9], v[14:15], off
	;; [unrolled: 1-line block ×4, first 2 shown]
	s_addc_u32 s19, s64, s19
	v_mov_b32_e32 v49, s19
	v_mov_b32_e32 v51, s19
	;; [unrolled: 1-line block ×4, first 2 shown]
	v_addc_co_u32_e64 v14, s[0:1], v49, v31, s[0:1]
	v_addc_co_u32_e64 v15, s[0:1], v51, v33, s[2:3]
	;; [unrolled: 1-line block ×4, first 2 shown]
	v_addc_co_u32_e32 v49, vcc, 0, v15, vcc
	v_addc_co_u32_e64 v53, vcc, 0, v51, s[12:13]
	v_addc_co_u32_e64 v51, vcc, 0, v100, s[14:15]
	s_waitcnt vmcnt(3)
	ds_write_b128 v64, v[2:5]
	s_waitcnt vmcnt(2)
	ds_write_b128 v65, v[6:9]
	;; [unrolled: 2-line block ×4, first 2 shown]
	s_waitcnt lgkmcnt(0)
	s_barrier
	ds_read_b128 v[2:5], v69
	ds_read_b128 v[6:9], v68
	ds_read_b128 v[10:13], v68 offset:4608
	ds_read_b128 v[96:99], v68 offset:9216
	ds_read_b128 v[100:103], v68 offset:13824
	ds_read_b128 v[104:107], v69 offset:128
	v_mov_b32_e32 v40, 0
	s_waitcnt lgkmcnt(4)
	;;#ASMSTART
	v_dot2_f32_f16 v40, v6, v2, v40
	;;#ASMEND
	;;#ASMSTART
	v_dot2_f32_f16 v40, v7, v3, v40
	;;#ASMEND
	v_mov_b32_e32 v42, 0
	;;#ASMSTART
	v_dot2_f32_f16 v40, v8, v4, v40
	;;#ASMEND
	;;#ASMSTART
	v_dot2_f32_f16 v40, v9, v5, v40
	;;#ASMEND
	s_waitcnt lgkmcnt(0)
	;;#ASMSTART
	v_dot2_f32_f16 v42, v6, v104, v42
	;;#ASMEND
	;;#ASMSTART
	v_dot2_f32_f16 v42, v7, v105, v42
	;;#ASMEND
	v_mov_b32_e32 v41, 0
	;;#ASMSTART
	v_dot2_f32_f16 v42, v8, v106, v42
	;;#ASMEND
	;;#ASMSTART
	v_dot2_f32_f16 v42, v9, v107, v42
	;;#ASMEND
	;;#ASMSTART
	v_dot2_f32_f16 v41, v10, v2, v41
	;;#ASMEND
	;;#ASMSTART
	v_dot2_f32_f16 v41, v11, v3, v41
	;;#ASMEND
	v_mov_b32_e32 v43, 0
	;;#ASMSTART
	v_dot2_f32_f16 v41, v12, v4, v41
	;;#ASMEND
	;;#ASMSTART
	v_dot2_f32_f16 v41, v13, v5, v41
	;;#ASMEND
	;; [unrolled: 13-line block ×6, first 2 shown]
	;;#ASMSTART
	v_dot2_f32_f16 v47, v100, v104, v47
	;;#ASMEND
	;;#ASMSTART
	v_dot2_f32_f16 v47, v101, v105, v47
	;;#ASMEND
	;; [unrolled: 3-line block ×4, first 2 shown]
	ds_read_b128 v[2:5], v69 offset:16
	ds_read_b128 v[6:9], v68 offset:16
	ds_read_b128 v[10:13], v68 offset:4624
	ds_read_b128 v[96:99], v68 offset:9232
	ds_read_b128 v[100:103], v68 offset:13840
	ds_read_b128 v[104:107], v69 offset:144
	s_waitcnt lgkmcnt(4)
	;;#ASMSTART
	v_dot2_f32_f16 v40, v6, v2, v40
	;;#ASMEND
	;;#ASMSTART
	v_dot2_f32_f16 v40, v7, v3, v40
	;;#ASMEND
	;; [unrolled: 3-line block ×4, first 2 shown]
	s_waitcnt lgkmcnt(0)
	;;#ASMSTART
	v_dot2_f32_f16 v42, v6, v104, v42
	;;#ASMEND
	;;#ASMSTART
	v_dot2_f32_f16 v42, v7, v105, v42
	;;#ASMEND
	;; [unrolled: 3-line block ×28, first 2 shown]
	ds_read_b128 v[2:5], v69 offset:32
	ds_read_b128 v[6:9], v68 offset:32
	;; [unrolled: 1-line block ×6, first 2 shown]
	s_waitcnt lgkmcnt(4)
	;;#ASMSTART
	v_dot2_f32_f16 v40, v6, v2, v40
	;;#ASMEND
	;;#ASMSTART
	v_dot2_f32_f16 v40, v7, v3, v40
	;;#ASMEND
	;; [unrolled: 3-line block ×4, first 2 shown]
	s_waitcnt lgkmcnt(0)
	;;#ASMSTART
	v_dot2_f32_f16 v42, v6, v104, v42
	;;#ASMEND
	;;#ASMSTART
	v_dot2_f32_f16 v42, v7, v105, v42
	;;#ASMEND
	;; [unrolled: 3-line block ×28, first 2 shown]
	ds_read_b128 v[2:5], v69 offset:48
	ds_read_b128 v[6:9], v68 offset:48
	;; [unrolled: 1-line block ×6, first 2 shown]
	s_waitcnt lgkmcnt(4)
	;;#ASMSTART
	v_dot2_f32_f16 v40, v6, v2, v40
	;;#ASMEND
	;;#ASMSTART
	v_dot2_f32_f16 v40, v7, v3, v40
	;;#ASMEND
	;; [unrolled: 3-line block ×4, first 2 shown]
	s_waitcnt lgkmcnt(0)
	;;#ASMSTART
	v_dot2_f32_f16 v42, v6, v104, v42
	;;#ASMEND
	;;#ASMSTART
	v_dot2_f32_f16 v42, v7, v105, v42
	;;#ASMEND
	;; [unrolled: 3-line block ×28, first 2 shown]
	ds_read_b128 v[2:5], v69 offset:64
	ds_read_b128 v[6:9], v68 offset:64
	;; [unrolled: 1-line block ×6, first 2 shown]
	s_waitcnt lgkmcnt(4)
	;;#ASMSTART
	v_dot2_f32_f16 v40, v6, v2, v40
	;;#ASMEND
	;;#ASMSTART
	v_dot2_f32_f16 v40, v7, v3, v40
	;;#ASMEND
	;; [unrolled: 3-line block ×4, first 2 shown]
	s_waitcnt lgkmcnt(0)
	;;#ASMSTART
	v_dot2_f32_f16 v42, v6, v104, v42
	;;#ASMEND
	;;#ASMSTART
	v_dot2_f32_f16 v42, v7, v105, v42
	;;#ASMEND
	;; [unrolled: 3-line block ×28, first 2 shown]
	ds_read_b128 v[2:5], v69 offset:80
	ds_read_b128 v[6:9], v68 offset:80
	;; [unrolled: 1-line block ×6, first 2 shown]
	s_waitcnt lgkmcnt(4)
	;;#ASMSTART
	v_dot2_f32_f16 v40, v6, v2, v40
	;;#ASMEND
	;;#ASMSTART
	v_dot2_f32_f16 v40, v7, v3, v40
	;;#ASMEND
	;; [unrolled: 3-line block ×4, first 2 shown]
	s_waitcnt lgkmcnt(0)
	;;#ASMSTART
	v_dot2_f32_f16 v42, v6, v104, v42
	;;#ASMEND
	;;#ASMSTART
	v_dot2_f32_f16 v42, v7, v105, v42
	;;#ASMEND
	;; [unrolled: 3-line block ×28, first 2 shown]
	ds_read_b128 v[2:5], v69 offset:96
	ds_read_b128 v[6:9], v68 offset:96
	;; [unrolled: 1-line block ×6, first 2 shown]
	s_waitcnt lgkmcnt(4)
	;;#ASMSTART
	v_dot2_f32_f16 v40, v6, v2, v40
	;;#ASMEND
	;;#ASMSTART
	v_dot2_f32_f16 v40, v7, v3, v40
	;;#ASMEND
	;; [unrolled: 3-line block ×4, first 2 shown]
	s_waitcnt lgkmcnt(0)
	;;#ASMSTART
	v_dot2_f32_f16 v42, v6, v104, v42
	;;#ASMEND
	;;#ASMSTART
	v_dot2_f32_f16 v42, v7, v105, v42
	;;#ASMEND
	;; [unrolled: 3-line block ×28, first 2 shown]
	ds_read_b128 v[2:5], v69 offset:112
	ds_read_b128 v[6:9], v68 offset:112
	;; [unrolled: 1-line block ×6, first 2 shown]
	s_waitcnt lgkmcnt(4)
	;;#ASMSTART
	v_dot2_f32_f16 v40, v6, v2, v40
	;;#ASMEND
	;;#ASMSTART
	v_dot2_f32_f16 v40, v7, v3, v40
	;;#ASMEND
	;;#ASMSTART
	v_dot2_f32_f16 v40, v8, v4, v40
	;;#ASMEND
	;;#ASMSTART
	v_dot2_f32_f16 v40, v9, v5, v40
	;;#ASMEND
	s_waitcnt lgkmcnt(0)
	;;#ASMSTART
	v_dot2_f32_f16 v42, v6, v104, v42
	;;#ASMEND
	;;#ASMSTART
	v_dot2_f32_f16 v42, v7, v105, v42
	;;#ASMEND
	;; [unrolled: 3-line block ×28, first 2 shown]
	flat_load_ushort v96, v[0:1] offset:64
	flat_load_ushort v97, v[0:1]
	flat_load_ushort v98, v[0:1] offset:128
	flat_load_ushort v99, v[0:1] offset:192
	v_addc_co_u32_e64 v55, s[0:1], 0, v14, s[16:17]
	s_waitcnt lgkmcnt(0)
	s_barrier
	global_load_dwordx4 v[0:3], v[54:55], off
	global_load_dwordx4 v[4:7], v[48:49], off
	;; [unrolled: 1-line block ×4, first 2 shown]
	s_waitcnt vmcnt(0)
	v_cvt_f32_f16_e32 v49, v96
	v_cvt_f32_f16_e32 v48, v97
	;; [unrolled: 1-line block ×4, first 2 shown]
	v_pk_add_f32 v[50:51], v[42:43], v[48:49]
	v_pk_add_f32 v[42:43], v[44:45], v[52:53] op_sel_hi:[1,0]
	v_pk_add_f32 v[44:45], v[46:47], v[54:55] op_sel_hi:[1,0]
	v_pk_add_f32 v[46:47], v[40:41], v[48:49]
	v_mov_b32_e32 v52, v46
	v_mov_b32_e32 v53, v50
	;; [unrolled: 1-line block ×4, first 2 shown]
	v_pk_add_f32 v[52:53], v[52:53], s[6:7] op_sel_hi:[1,0]
	v_pk_add_f32 v[54:55], v[54:55], s[6:7] op_sel_hi:[1,0]
	;; [unrolled: 1-line block ×4, first 2 shown]
	v_max3_f32 v52, v38, v52, v54
	v_max3_f32 v53, v39, v53, v55
	;; [unrolled: 1-line block ×4, first 2 shown]
	ds_bpermute_b32 v48, v95, v41
	ds_bpermute_b32 v49, v95, v40
	s_waitcnt lgkmcnt(1)
	v_max_f32_e32 v48, v48, v48
	s_waitcnt lgkmcnt(0)
	v_max_f32_e32 v49, v49, v49
	v_max_f32_e32 v41, v41, v48
	v_max_f32_e32 v40, v40, v49
	ds_bpermute_b32 v48, v108, v41
	ds_bpermute_b32 v49, v108, v40
	s_waitcnt lgkmcnt(1)
	v_max_f32_e32 v48, v48, v48
	s_waitcnt lgkmcnt(0)
	v_max_f32_e32 v49, v49, v49
	v_max_f32_e32 v41, v41, v48
	v_max_f32_e32 v40, v40, v49
	;; [unrolled: 8-line block ×5, first 2 shown]
	v_pk_add_f32 v[48:49], v[46:47], v[40:41] op_sel_hi:[1,0] neg_lo:[0,1] neg_hi:[0,1]
	v_pk_add_f32 v[46:47], v[42:43], v[40:41] neg_lo:[0,1] neg_hi:[0,1]
	v_mov_b32_e32 v52, v41
	v_mul_f32_e32 v53, 0x3fb8aa3b, v49
	v_pk_add_f32 v[44:45], v[44:45], v[40:41] neg_lo:[0,1] neg_hi:[0,1]
	v_pk_add_f32 v[42:43], v[38:39], v[40:41] neg_lo:[0,1] neg_hi:[0,1]
	v_mul_f32_e32 v54, 0x3fb8aa3b, v48
	v_mul_f32_e32 v55, 0x3fb8aa3b, v47
	;; [unrolled: 1-line block ×3, first 2 shown]
	v_pk_add_f32 v[50:51], v[50:51], v[52:53] op_sel_hi:[1,0] neg_lo:[0,1] neg_hi:[0,1]
	v_mul_f32_e32 v52, 0x3fb8aa3b, v45
	v_mul_f32_e32 v96, 0x3fb8aa3b, v44
	;; [unrolled: 1-line block ×3, first 2 shown]
	v_fma_f32 v99, v49, s61, -v53
	v_rndne_f32_e32 v100, v53
	v_fma_f32 v101, v48, s61, -v54
	v_rndne_f32_e32 v102, v54
	;; [unrolled: 2-line block ×4, first 2 shown]
	v_mul_f32_e32 v107, 0x3fb8aa3b, v51
	v_mul_f32_e32 v108, 0x3fb8aa3b, v50
	;; [unrolled: 1-line block ×3, first 2 shown]
	v_cmp_ngt_f32_e32 vcc, s65, v48
	v_cmp_ngt_f32_e64 s[0:1], s65, v47
	v_cmp_ngt_f32_e64 s[34:35], s65, v46
	;; [unrolled: 1-line block ×3, first 2 shown]
	v_cmp_nlt_f32_e64 s[14:15], s66, v48
	v_cmp_nlt_f32_e64 s[16:17], s66, v47
	;; [unrolled: 1-line block ×4, first 2 shown]
	v_fma_f32 v109, v45, s61, -v52
	v_rndne_f32_e32 v110, v52
	v_fma_f32 v111, v44, s61, -v96
	v_rndne_f32_e32 v112, v96
	;; [unrolled: 2-line block ×3, first 2 shown]
	v_fmac_f32_e32 v99, 0x32a5705f, v49
	v_sub_f32_e32 v49, v53, v100
	v_cvt_i32_f32_e32 v53, v100
	v_fmac_f32_e32 v101, 0x32a5705f, v48
	v_sub_f32_e32 v48, v54, v102
	v_cvt_i32_f32_e32 v54, v102
	;; [unrolled: 3-line block ×4, first 2 shown]
	v_fma_f32 v100, v51, s61, -v107
	v_rndne_f32_e32 v102, v107
	v_fma_f32 v104, v50, s61, -v108
	v_rndne_f32_e32 v106, v108
	v_cmp_ngt_f32_e64 s[2:3], s65, v45
	v_cmp_ngt_f32_e64 s[8:9], s65, v44
	;; [unrolled: 1-line block ×3, first 2 shown]
	v_cmp_nlt_f32_e64 s[20:21], s66, v45
	v_cmp_nlt_f32_e64 s[22:23], s66, v44
	;; [unrolled: 1-line block ×3, first 2 shown]
	v_fma_f32 v115, v42, s61, -v98
	v_rndne_f32_e32 v116, v98
	v_cmp_ngt_f32_e64 s[36:37], s65, v51
	v_cmp_ngt_f32_e64 s[38:39], s65, v50
	v_cmp_nlt_f32_e64 s[40:41], s66, v50
	v_cmp_nlt_f32_e64 s[42:43], s66, v51
	v_fmac_f32_e32 v109, 0x32a5705f, v45
	v_sub_f32_e32 v45, v52, v110
	v_fmac_f32_e32 v111, 0x32a5705f, v44
	v_sub_f32_e32 v44, v96, v112
	;; [unrolled: 2-line block ×5, first 2 shown]
	v_cmp_ngt_f32_e64 s[12:13], s65, v42
	v_cmp_nlt_f32_e64 s[28:29], s66, v42
	v_fmac_f32_e32 v115, 0x32a5705f, v42
	v_sub_f32_e32 v42, v98, v116
	v_add_f32_e32 v49, v49, v99
	v_add_f32_e32 v48, v48, v101
	;; [unrolled: 1-line block ×9, first 2 shown]
	v_cvt_i32_f32_e32 v52, v110
	v_cvt_i32_f32_e32 v96, v112
	;; [unrolled: 1-line block ×5, first 2 shown]
	v_add_f32_e32 v42, v42, v115
	v_exp_f32_e32 v49, v49
	v_exp_f32_e32 v48, v48
	;; [unrolled: 1-line block ×9, first 2 shown]
	v_cvt_i32_f32_e32 v98, v116
	v_exp_f32_e32 v42, v42
	v_ldexp_f32 v49, v49, v53
	v_ldexp_f32 v48, v48, v54
	v_ldexp_f32 v47, v47, v55
	v_ldexp_f32 v46, v46, v95
	v_ldexp_f32 v45, v45, v52
	v_ldexp_f32 v44, v44, v96
	v_ldexp_f32 v43, v43, v97
	v_ldexp_f32 v51, v51, v99
	v_ldexp_f32 v50, v50, v101
	v_ldexp_f32 v42, v42, v98
	v_cndmask_b32_e64 v49, 0, v49, s[26:27]
	v_cndmask_b32_e32 v48, 0, v48, vcc
	v_cndmask_b32_e64 v47, 0, v47, s[0:1]
	v_cndmask_b32_e64 v46, 0, v46, s[34:35]
	;; [unrolled: 1-line block ×18, first 2 shown]
	v_cvt_f16_f32_e32 v52, v44
	v_cvt_f16_f32_e32 v53, v42
	;; [unrolled: 1-line block ×8, first 2 shown]
	v_pk_add_f32 v[42:43], v[44:45], v[42:43]
	v_pk_add_f32 v[42:43], v[46:47], v[42:43]
	v_cvt_f16_f32_e32 v244, v50
	v_cvt_f16_f32_e32 v245, v51
	v_pk_add_f32 v[42:43], v[48:49], v[42:43]
	v_pack_b32_f16 v44, v55, v54
	v_pk_fma_f32 v[20:21], v[20:21], v[50:51], v[42:43]
	v_pack_b32_f16 v42, v95, v96
	v_pack_b32_f16 v43, v52, v97
	;; [unrolled: 1-line block ×3, first 2 shown]
	ds_write2_b32 v78, v44, v42 offset0:64 offset1:96
	ds_write2_b32 v78, v43, v45 offset1:32
	ds_write_b128 v71, v[0:3]
	ds_write_b128 v72, v[4:7]
	;; [unrolled: 1-line block ×4, first 2 shown]
	s_waitcnt lgkmcnt(0)
	s_barrier
	ds_read2_b32 v[54:55], v63 offset1:32
	ds_read2_b32 v[156:157], v63 offset0:64 offset1:96
	ds_read2_b32 v[158:159], v63 offset0:128 offset1:160
	ds_read_b128 v[0:3], v70
	ds_read_b128 v[4:7], v70 offset:16
	ds_read2_b32 v[160:161], v63 offset0:192 offset1:224
	ds_read2_b32 v[162:163], v79 offset1:32
	ds_read2_b32 v[164:165], v79 offset0:64 offset1:96
	ds_read2_b32 v[166:167], v79 offset0:128 offset1:160
	ds_read_b128 v[8:11], v70 offset:32
	ds_read_b128 v[12:15], v70 offset:48
	ds_read2_b32 v[168:169], v79 offset0:192 offset1:224
	ds_read2_b32 v[170:171], v80 offset1:32
	ds_read2_b32 v[172:173], v80 offset0:64 offset1:96
	ds_read2_b32 v[174:175], v80 offset0:128 offset1:160
	ds_read_b128 v[42:45], v70 offset:64
	;; [unrolled: 6-line block ×10, first 2 shown]
	ds_read_b128 v[152:155], v70 offset:336
	ds_read2_b32 v[240:241], v88 offset0:192 offset1:224
	ds_read2_b32 v[242:243], v89 offset1:32
	s_waitcnt lgkmcnt(14)
	v_pk_mul_f16 v95, v54, v0 op_sel_hi:[1,0]
	v_pk_mul_f16 v0, v54, v0 op_sel:[0,1]
	v_pk_fma_f16 v90, v244, v90, v95 op_sel_hi:[0,1,1]
	v_pk_fma_f16 v0, v57, v245, v0 op_sel_hi:[1,0,1]
	;; [unrolled: 1-line block ×3, first 2 shown]
	v_pk_fma_f16 v0, v55, v1, v0 op_sel:[0,1,0]
	v_pk_fma_f16 v1, v156, v2, v57 op_sel_hi:[1,0,1]
	v_pk_fma_f16 v0, v156, v2, v0 op_sel:[0,1,0]
	v_pk_fma_f16 v57, v157, v3, v1 op_sel_hi:[1,0,1]
	;; [unrolled: 2-line block ×68, first 2 shown]
	v_pk_fma_f16 v90, v223, v137, v90 op_sel:[0,1,0]
	s_waitcnt lgkmcnt(13)
	v_pk_fma_f16 v57, v224, v138, v57 op_sel_hi:[1,0,1]
	v_pk_fma_f16 v90, v224, v138, v90 op_sel:[0,1,0]
	v_pk_fma_f16 v57, v225, v139, v57 op_sel_hi:[1,0,1]
	v_pk_fma_f16 v90, v225, v139, v90 op_sel:[0,1,0]
	s_waitcnt lgkmcnt(9)
	v_pk_fma_f16 v57, v226, v140, v57 op_sel_hi:[1,0,1]
	v_pk_fma_f16 v90, v226, v140, v90 op_sel:[0,1,0]
	v_pk_fma_f16 v57, v227, v141, v57 op_sel_hi:[1,0,1]
	v_pk_fma_f16 v90, v227, v141, v90 op_sel:[0,1,0]
	;; [unrolled: 2-line block ×4, first 2 shown]
	s_waitcnt lgkmcnt(8)
	v_pk_fma_f16 v57, v230, v144, v57 op_sel_hi:[1,0,1]
	v_pk_fma_f16 v90, v230, v144, v90 op_sel:[0,1,0]
	v_pk_fma_f16 v57, v231, v145, v57 op_sel_hi:[1,0,1]
	v_pk_fma_f16 v90, v231, v145, v90 op_sel:[0,1,0]
	s_waitcnt lgkmcnt(7)
	v_pk_fma_f16 v57, v232, v146, v57 op_sel_hi:[1,0,1]
	v_pk_fma_f16 v90, v232, v146, v90 op_sel:[0,1,0]
	v_pk_fma_f16 v57, v233, v147, v57 op_sel_hi:[1,0,1]
	v_pk_fma_f16 v90, v233, v147, v90 op_sel:[0,1,0]
	;; [unrolled: 5-line block ×3, first 2 shown]
	v_pk_fma_f16 v57, v236, v150, v57 op_sel_hi:[1,0,1]
	v_pk_fma_f16 v90, v236, v150, v90 op_sel:[0,1,0]
	ds_read_b128 v[0:3], v70 offset:352
	ds_read_b128 v[156:159], v70 offset:368
	v_pk_fma_f16 v57, v237, v151, v57 op_sel_hi:[1,0,1]
	v_pk_fma_f16 v90, v237, v151, v90 op_sel:[0,1,0]
	s_waitcnt lgkmcnt(4)
	v_pk_fma_f16 v57, v238, v152, v57 op_sel_hi:[1,0,1]
	v_pk_fma_f16 v90, v238, v152, v90 op_sel:[0,1,0]
	ds_read2_b32 v[244:245], v89 offset0:64 offset1:96
	v_pk_fma_f16 v57, v239, v153, v57 op_sel_hi:[1,0,1]
	v_pk_fma_f16 v90, v239, v153, v90 op_sel:[0,1,0]
	s_waitcnt lgkmcnt(4)
	v_pk_fma_f16 v57, v240, v154, v57 op_sel_hi:[1,0,1]
	v_pk_fma_f16 v90, v240, v154, v90 op_sel:[0,1,0]
	ds_read2_b32 v[54:55], v89 offset0:128 offset1:160
	v_pk_fma_f16 v57, v241, v155, v57 op_sel_hi:[1,0,1]
	v_pk_fma_f16 v90, v241, v155, v90 op_sel:[0,1,0]
	s_waitcnt lgkmcnt(3)
	v_pk_fma_f16 v57, v242, v0, v57 op_sel_hi:[1,0,1]
	v_pk_fma_f16 v0, v242, v0, v90 op_sel:[0,1,0]
	v_pk_fma_f16 v57, v243, v1, v57 op_sel_hi:[1,0,1]
	v_pk_fma_f16 v0, v243, v1, v0 op_sel:[0,1,0]
	s_waitcnt lgkmcnt(1)
	v_pk_fma_f16 v1, v244, v2, v57 op_sel_hi:[1,0,1]
	v_pk_fma_f16 v0, v244, v2, v0 op_sel:[0,1,0]
	ds_read2_b32 v[160:161], v89 offset0:192 offset1:224
	ds_read2_b32 v[246:247], v91 offset1:32
	ds_read2_b32 v[248:249], v91 offset0:64 offset1:96
	ds_read_b128 v[4:7], v70 offset:384
	ds_read_b128 v[8:11], v70 offset:400
	v_pk_fma_f16 v1, v245, v3, v1 op_sel_hi:[1,0,1]
	v_pk_fma_f16 v0, v245, v3, v0 op_sel:[0,1,0]
	s_waitcnt lgkmcnt(5)
	v_pk_fma_f16 v1, v54, v156, v1 op_sel_hi:[1,0,1]
	v_pk_fma_f16 v0, v54, v156, v0 op_sel:[0,1,0]
	v_pk_fma_f16 v1, v55, v157, v1 op_sel_hi:[1,0,1]
	v_pk_fma_f16 v0, v55, v157, v0 op_sel:[0,1,0]
	s_waitcnt lgkmcnt(4)
	v_pk_fma_f16 v1, v160, v158, v1 op_sel_hi:[1,0,1]
	v_pk_fma_f16 v0, v160, v158, v0 op_sel:[0,1,0]
	ds_read2_b32 v[162:163], v91 offset0:128 offset1:160
	v_pk_fma_f16 v1, v161, v159, v1 op_sel_hi:[1,0,1]
	v_pk_fma_f16 v0, v161, v159, v0 op_sel:[0,1,0]
	s_waitcnt lgkmcnt(2)
	v_pk_fma_f16 v1, v246, v4, v1 op_sel_hi:[1,0,1]
	v_pk_fma_f16 v0, v246, v4, v0 op_sel:[0,1,0]
	v_pk_fma_f16 v1, v247, v5, v1 op_sel_hi:[1,0,1]
	v_pk_fma_f16 v0, v247, v5, v0 op_sel:[0,1,0]
	v_pk_fma_f16 v1, v248, v6, v1 op_sel_hi:[1,0,1]
	v_pk_fma_f16 v0, v248, v6, v0 op_sel:[0,1,0]
	ds_read2_b32 v[164:165], v91 offset0:192 offset1:224
	ds_read2_b32 v[166:167], v92 offset1:32
	ds_read2_b32 v[168:169], v92 offset0:64 offset1:96
	ds_read_b128 v[12:15], v70 offset:416
	ds_read_b128 v[42:45], v70 offset:432
	v_pk_fma_f16 v1, v249, v7, v1 op_sel_hi:[1,0,1]
	v_pk_fma_f16 v0, v249, v7, v0 op_sel:[0,1,0]
	s_waitcnt lgkmcnt(5)
	v_pk_fma_f16 v1, v162, v8, v1 op_sel_hi:[1,0,1]
	v_pk_fma_f16 v0, v162, v8, v0 op_sel:[0,1,0]
	v_pk_fma_f16 v1, v163, v9, v1 op_sel_hi:[1,0,1]
	v_pk_fma_f16 v0, v163, v9, v0 op_sel:[0,1,0]
	s_waitcnt lgkmcnt(4)
	v_pk_fma_f16 v1, v164, v10, v1 op_sel_hi:[1,0,1]
	v_pk_fma_f16 v0, v164, v10, v0 op_sel:[0,1,0]
	ds_read2_b32 v[170:171], v92 offset0:128 offset1:160
	v_pk_fma_f16 v1, v165, v11, v1 op_sel_hi:[1,0,1]
	v_pk_fma_f16 v0, v165, v11, v0 op_sel:[0,1,0]
	s_waitcnt lgkmcnt(2)
	v_pk_fma_f16 v1, v166, v12, v1 op_sel_hi:[1,0,1]
	v_pk_fma_f16 v0, v166, v12, v0 op_sel:[0,1,0]
	v_pk_fma_f16 v1, v167, v13, v1 op_sel_hi:[1,0,1]
	v_pk_fma_f16 v0, v167, v13, v0 op_sel:[0,1,0]
	;; [unrolled: 25-line block ×3, first 2 shown]
	v_pk_fma_f16 v1, v176, v48, v1 op_sel_hi:[1,0,1]
	v_pk_fma_f16 v0, v176, v48, v0 op_sel:[0,1,0]
	ds_read2_b32 v[180:181], v93 offset0:192 offset1:224
	ds_read2_b32 v[182:183], v94 offset1:32
	ds_read2_b32 v[184:185], v94 offset0:64 offset1:96
	ds_read_b128 v[96:99], v70 offset:480
	ds_read_b128 v[100:103], v70 offset:496
	v_pk_fma_f16 v1, v177, v49, v1 op_sel_hi:[1,0,1]
	v_pk_fma_f16 v0, v177, v49, v0 op_sel:[0,1,0]
	s_waitcnt lgkmcnt(5)
	v_pk_fma_f16 v1, v178, v50, v1 op_sel_hi:[1,0,1]
	v_pk_fma_f16 v0, v178, v50, v0 op_sel:[0,1,0]
	v_pk_fma_f16 v1, v179, v51, v1 op_sel_hi:[1,0,1]
	v_pk_fma_f16 v0, v179, v51, v0 op_sel:[0,1,0]
	s_waitcnt lgkmcnt(4)
	v_pk_fma_f16 v1, v180, v52, v1 op_sel_hi:[1,0,1]
	v_pk_fma_f16 v0, v180, v52, v0 op_sel:[0,1,0]
	ds_read2_b32 v[186:187], v94 offset0:128 offset1:160
	v_pk_fma_f16 v1, v181, v53, v1 op_sel_hi:[1,0,1]
	v_pk_fma_f16 v0, v181, v53, v0 op_sel:[0,1,0]
	ds_read2_b32 v[104:105], v94 offset0:192 offset1:224
	s_waitcnt lgkmcnt(0)
	s_barrier
	s_load_dword s0, s[46:47], 0x4
	v_pk_fma_f16 v1, v182, v96, v1 op_sel_hi:[1,0,1]
	v_pk_fma_f16 v0, v182, v96, v0 op_sel:[0,1,0]
	v_pk_fma_f16 v1, v183, v97, v1 op_sel_hi:[1,0,1]
	v_pk_fma_f16 v0, v183, v97, v0 op_sel:[0,1,0]
	;; [unrolled: 2-line block ×5, first 2 shown]
	s_waitcnt lgkmcnt(0)
	s_lshl_b32 s0, s0, 7
	v_pk_fma_f16 v1, v187, v101, v1 op_sel_hi:[1,0,1]
	v_pk_fma_f16 v0, v187, v101, v0 op_sel:[0,1,0]
	s_add_i32 s52, s0, s52
	v_pk_fma_f16 v1, v104, v102, v1 op_sel_hi:[1,0,1]
	v_pk_fma_f16 v0, v104, v102, v0 op_sel:[0,1,0]
	v_mov_b32_e32 v38, v40
	v_mov_b32_e32 v39, v41
	s_cmp_ge_i32 s52, s58
	v_pk_fma_f16 v90, v105, v103, v1 op_sel_hi:[1,0,1]
	v_pk_fma_f16 v57, v105, v103, v0 op_sel:[0,1,0]
	s_cbranch_scc0 .LBB40_9
.LBB40_10:
	v_cmp_lt_i32_e32 vcc, v62, v56
	v_cndmask_b32_e32 v0, v19, v62, vcc
	v_lshlrev_b32_e32 v1, 2, v0
	ds_bpermute_b32 v0, v1, v20
	ds_bpermute_b32 v1, v1, v21
	v_cmp_lt_i32_e32 vcc, v61, v56
	v_cndmask_b32_e32 v2, v19, v61, vcc
	v_lshlrev_b32_e32 v3, 2, v2
	v_cmp_lt_i32_e32 vcc, v60, v56
	s_waitcnt lgkmcnt(0)
	v_pk_add_f32 v[0:1], v[20:21], v[0:1]
	ds_bpermute_b32 v2, v3, v0
	ds_bpermute_b32 v3, v3, v1
	v_cndmask_b32_e32 v4, v19, v60, vcc
	v_lshlrev_b32_e32 v4, 2, v4
	v_cmp_lt_i32_e32 vcc, v59, v56
	s_cmp_lg_u64 s[44:45], 0
	s_waitcnt lgkmcnt(0)
	v_pk_add_f32 v[0:1], v[0:1], v[2:3]
	ds_bpermute_b32 v2, v4, v0
	ds_bpermute_b32 v3, v4, v1
	v_cndmask_b32_e32 v4, v19, v59, vcc
	v_lshlrev_b32_e32 v4, 2, v4
	v_cmp_lt_i32_e32 vcc, v58, v56
	s_cselect_b64 s[0:1], -1, 0
	s_waitcnt lgkmcnt(0)
	v_pk_add_f32 v[0:1], v[0:1], v[2:3]
	ds_bpermute_b32 v2, v4, v0
	ds_bpermute_b32 v3, v4, v1
	v_cndmask_b32_e32 v4, v19, v58, vcc
	v_lshlrev_b32_e32 v4, 2, v4
	s_cmp_eq_u32 s7, 0
	s_cselect_b64 s[2:3], -1, 0
	s_waitcnt lgkmcnt(0)
	v_pk_add_f32 v[0:1], v[0:1], v[2:3]
	ds_bpermute_b32 v2, v4, v0
	ds_bpermute_b32 v3, v4, v1
	s_and_b64 s[0:1], s[2:3], s[0:1]
	v_lshlrev_b32_e32 v5, 1, v16
	s_and_b64 vcc, exec, s[0:1]
	s_waitcnt lgkmcnt(0)
	v_pk_add_f32 v[0:1], v[0:1], v[2:3]
	s_cbranch_vccz .LBB40_12
; %bb.11:
	s_ashr_i32 s57, s56, 31
	s_lshl_b64 s[0:1], s[56:57], 2
	s_add_u32 s0, s44, s0
	s_addc_u32 s1, s45, s1
	v_mov_b32_e32 v2, 0
	global_load_dwordx2 v[2:3], v2, s[0:1]
	v_max_f32_e32 v4, v41, v41
	v_max_f32_e32 v6, v40, v40
	s_mov_b32 s0, 0x3fb8aa3b
	s_mov_b32 s1, 0xc2ce8ed0
	;; [unrolled: 1-line block ×3, first 2 shown]
	v_mov_b32_e32 v10, 0x7f800000
	s_waitcnt vmcnt(0)
	v_max_f32_e32 v7, v3, v3
	v_max_f32_e32 v8, v2, v2
	;; [unrolled: 1-line block ×4, first 2 shown]
	v_pk_add_f32 v[8:9], v[40:41], v[6:7] neg_lo:[0,1] neg_hi:[0,1]
	v_mul_f32_e32 v4, 0x3fb8aa3b, v9
	v_pk_add_f32 v[2:3], v[2:3], v[6:7] neg_lo:[0,1] neg_hi:[0,1]
	v_mul_f32_e32 v11, 0x3fb8aa3b, v8
	v_fma_f32 v14, v9, s0, -v4
	v_rndne_f32_e32 v15, v4
	v_mul_f32_e32 v12, 0x3fb8aa3b, v3
	v_fma_f32 v18, v8, s0, -v11
	v_rndne_f32_e32 v19, v11
	v_fmac_f32_e32 v14, 0x32a5705f, v9
	v_sub_f32_e32 v4, v4, v15
	v_mul_f32_e32 v13, 0x3fb8aa3b, v2
	v_fma_f32 v20, v3, s0, -v12
	v_rndne_f32_e32 v21, v12
	v_fmac_f32_e32 v18, 0x32a5705f, v8
	v_sub_f32_e32 v11, v11, v19
	v_add_f32_e32 v4, v4, v14
	v_fma_f32 v22, v2, s0, -v13
	v_rndne_f32_e32 v23, v13
	v_cvt_i32_f32_e32 v15, v15
	v_fmac_f32_e32 v20, 0x32a5705f, v3
	v_sub_f32_e32 v12, v12, v21
	v_add_f32_e32 v11, v11, v18
	v_exp_f32_e32 v4, v4
	v_cvt_i32_f32_e32 v19, v19
	v_fmac_f32_e32 v22, 0x32a5705f, v2
	v_sub_f32_e32 v13, v13, v23
	v_add_f32_e32 v12, v12, v20
	v_exp_f32_e32 v11, v11
	v_cvt_i32_f32_e32 v21, v21
	v_add_f32_e32 v13, v13, v22
	v_exp_f32_e32 v12, v12
	v_cvt_i32_f32_e32 v23, v23
	v_exp_f32_e32 v13, v13
	v_ldexp_f32 v4, v4, v15
	v_cmp_ngt_f32_e32 vcc, s1, v9
	v_ldexp_f32 v11, v11, v19
	v_cndmask_b32_e32 v4, 0, v4, vcc
	v_cmp_ngt_f32_e32 vcc, s1, v8
	v_ldexp_f32 v12, v12, v21
	v_cndmask_b32_e32 v11, 0, v11, vcc
	;; [unrolled: 3-line block ×3, first 2 shown]
	v_cmp_ngt_f32_e32 vcc, s1, v2
	v_cndmask_b32_e32 v13, 0, v13, vcc
	v_cmp_nlt_f32_e32 vcc, s2, v9
	v_cndmask_b32_e32 v9, v10, v4, vcc
	v_cmp_nlt_f32_e32 vcc, s2, v8
	v_cndmask_b32_e32 v8, v10, v11, vcc
	v_cvt_f16_f32_e32 v4, v8
	v_cvt_f16_f32_e32 v11, v9
	v_cmp_nlt_f32_e32 vcc, s2, v3
	v_cndmask_b32_e32 v3, v10, v12, vcc
	v_cmp_nlt_f32_e32 vcc, s2, v2
	v_cndmask_b32_e32 v2, v10, v13, vcc
	v_pk_fma_f32 v[0:1], v[0:1], v[8:9], v[2:3]
	v_pk_mul_f16 v90, v90, v4 op_sel_hi:[1,0]
	v_pk_mul_f16 v57, v57, v11 op_sel_hi:[1,0]
	v_pk_mov_b32 v[40:41], v[6:7], v[6:7] op_sel:[0,1]
.LBB40_12:
	v_cmp_gt_i32_e32 vcc, s54, v17
	s_and_saveexec_b64 s[0:1], vcc
	s_cbranch_execz .LBB40_21
; %bb.13:
	s_load_dword s6, s[4:5], 0xd4
	v_mov_b32_e32 v4, 1.0
	s_waitcnt lgkmcnt(0)
	s_cmp_lg_u32 s6, 1
	s_cselect_b64 s[0:1], -1, 0
	s_cmp_eq_u32 s6, 1
	s_cselect_b64 s[2:3], -1, 0
	s_and_b64 vcc, exec, s[0:1]
	s_cbranch_vccnz .LBB40_15
; %bb.14:
	v_div_scale_f32 v2, s[4:5], v0, v0, 1.0
	v_rcp_f32_e32 v3, v2
	v_div_scale_f32 v4, vcc, 1.0, v0, 1.0
	v_fma_f32 v6, -v2, v3, 1.0
	v_fmac_f32_e32 v3, v6, v3
	v_mul_f32_e32 v6, v4, v3
	v_fma_f32 v7, -v2, v6, v4
	v_fmac_f32_e32 v6, v7, v3
	v_fma_f32 v2, -v2, v6, v4
	v_div_fmas_f32 v2, v2, v3, v6
	v_div_fixup_f32 v4, v2, v0, 1.0
.LBB40_15:
	s_mul_i32 s33, s33, s54
	v_add_u32_e32 v2, s33, v17
	v_mul_lo_u32 v2, v2, s55
	v_add_u32_e32 v2, s56, v2
	v_mul_lo_u32 v2, s6, v2
	v_add_u32_e32 v2, s7, v2
	v_cvt_f32_f16_sdwa v9, v90 dst_sel:DWORD dst_unused:UNUSED_PAD src0_sel:WORD_1
	v_cvt_f32_f16_e32 v8, v90
	v_lshl_add_u32 v6, v2, 6, v5
	v_mov_b32_e32 v7, 0
	v_cmp_eq_u32_e32 vcc, 0, v16
	v_lshlrev_b64 v[6:7], 2, v[6:7]
	s_and_b64 s[0:1], vcc, s[0:1]
	v_mov_b32_e32 v3, s49
	v_add_co_u32_e32 v6, vcc, s48, v6
	v_addc_co_u32_e32 v7, vcc, v3, v7, vcc
	v_pk_mul_f32 v[8:9], v[4:5], v[8:9] op_sel_hi:[0,1]
	global_store_dwordx2 v[6:7], v[8:9], off
	s_and_saveexec_b64 s[4:5], s[0:1]
	s_cbranch_execz .LBB40_17
; %bb.16:
	v_ashrrev_i32_e32 v3, 31, v2
	v_lshlrev_b64 v[6:7], 3, v[2:3]
	v_mov_b32_e32 v3, s51
	v_add_co_u32_e32 v6, vcc, s50, v6
	v_addc_co_u32_e32 v7, vcc, v3, v7, vcc
	v_mov_b32_e32 v8, v40
	v_mov_b32_e32 v9, v0
	global_store_dwordx2 v[6:7], v[8:9], off
.LBB40_17:
	s_or_b64 exec, exec, s[4:5]
	s_andn2_b64 vcc, exec, s[2:3]
	v_mov_b32_e32 v0, 1.0
	s_cbranch_vccnz .LBB40_19
; %bb.18:
	v_div_scale_f32 v0, s[2:3], v1, v1, 1.0
	v_rcp_f32_e32 v3, v0
	v_div_scale_f32 v4, vcc, 1.0, v1, 1.0
	v_fma_f32 v6, -v0, v3, 1.0
	v_fmac_f32_e32 v3, v6, v3
	v_mul_f32_e32 v6, v4, v3
	v_fma_f32 v7, -v0, v6, v4
	v_fmac_f32_e32 v6, v7, v3
	v_fma_f32 v0, -v0, v6, v4
	v_div_fmas_f32 v0, v0, v3, v6
	v_div_fixup_f32 v0, v0, v1, 1.0
.LBB40_19:
	v_add_u32_e32 v2, s6, v2
	v_cvt_f32_f16_sdwa v7, v57 dst_sel:DWORD dst_unused:UNUSED_PAD src0_sel:WORD_1
	v_cvt_f32_f16_e32 v6, v57
	v_lshl_add_u32 v4, v2, 6, v5
	v_mov_b32_e32 v5, 0
	v_lshlrev_b64 v[4:5], 2, v[4:5]
	v_mov_b32_e32 v3, s49
	v_add_co_u32_e32 v4, vcc, s48, v4
	v_addc_co_u32_e32 v5, vcc, v3, v5, vcc
	v_pk_mul_f32 v[6:7], v[0:1], v[6:7] op_sel_hi:[0,1]
	global_store_dwordx2 v[4:5], v[6:7], off
	s_and_b64 exec, exec, s[0:1]
	s_cbranch_execz .LBB40_21
; %bb.20:
	v_ashrrev_i32_e32 v3, 31, v2
	v_lshlrev_b64 v[2:3], 3, v[2:3]
	v_mov_b32_e32 v0, s51
	v_add_co_u32_e32 v2, vcc, s50, v2
	v_addc_co_u32_e32 v3, vcc, v0, v3, vcc
	v_mov_b32_e32 v0, v41
	global_store_dwordx2 v[2:3], v[0:1], off
.LBB40_21:
	s_endpgm
	.section	.rodata,"a",@progbits
	.p2align	6, 0x0
	.amdhsa_kernel _ZL15flash_attn_tileILi64ELi64ELi8ELi2ELb0EEvPKcS1_S1_S1_S1_PKiPfP15HIP_vector_typeIfLj2EEffffjfiS5_IjLj3EEiiiiiiiiiiiliiliiiiil
		.amdhsa_group_segment_fixed_size 24576
		.amdhsa_private_segment_fixed_size 0
		.amdhsa_kernarg_size 464
		.amdhsa_user_sgpr_count 6
		.amdhsa_user_sgpr_private_segment_buffer 1
		.amdhsa_user_sgpr_dispatch_ptr 0
		.amdhsa_user_sgpr_queue_ptr 0
		.amdhsa_user_sgpr_kernarg_segment_ptr 1
		.amdhsa_user_sgpr_dispatch_id 0
		.amdhsa_user_sgpr_flat_scratch_init 0
		.amdhsa_user_sgpr_kernarg_preload_length 0
		.amdhsa_user_sgpr_kernarg_preload_offset 0
		.amdhsa_user_sgpr_private_segment_size 0
		.amdhsa_uses_dynamic_stack 0
		.amdhsa_system_sgpr_private_segment_wavefront_offset 0
		.amdhsa_system_sgpr_workgroup_id_x 1
		.amdhsa_system_sgpr_workgroup_id_y 1
		.amdhsa_system_sgpr_workgroup_id_z 1
		.amdhsa_system_sgpr_workgroup_info 0
		.amdhsa_system_vgpr_workitem_id 1
		.amdhsa_next_free_vgpr 250
		.amdhsa_next_free_sgpr 67
		.amdhsa_accum_offset 252
		.amdhsa_reserve_vcc 1
		.amdhsa_reserve_flat_scratch 0
		.amdhsa_float_round_mode_32 0
		.amdhsa_float_round_mode_16_64 0
		.amdhsa_float_denorm_mode_32 3
		.amdhsa_float_denorm_mode_16_64 3
		.amdhsa_dx10_clamp 1
		.amdhsa_ieee_mode 1
		.amdhsa_fp16_overflow 0
		.amdhsa_tg_split 0
		.amdhsa_exception_fp_ieee_invalid_op 0
		.amdhsa_exception_fp_denorm_src 0
		.amdhsa_exception_fp_ieee_div_zero 0
		.amdhsa_exception_fp_ieee_overflow 0
		.amdhsa_exception_fp_ieee_underflow 0
		.amdhsa_exception_fp_ieee_inexact 0
		.amdhsa_exception_int_div_zero 0
	.end_amdhsa_kernel
	.section	.text._ZL15flash_attn_tileILi64ELi64ELi8ELi2ELb0EEvPKcS1_S1_S1_S1_PKiPfP15HIP_vector_typeIfLj2EEffffjfiS5_IjLj3EEiiiiiiiiiiiliiliiiiil,"axG",@progbits,_ZL15flash_attn_tileILi64ELi64ELi8ELi2ELb0EEvPKcS1_S1_S1_S1_PKiPfP15HIP_vector_typeIfLj2EEffffjfiS5_IjLj3EEiiiiiiiiiiiliiliiiiil,comdat
.Lfunc_end40:
	.size	_ZL15flash_attn_tileILi64ELi64ELi8ELi2ELb0EEvPKcS1_S1_S1_S1_PKiPfP15HIP_vector_typeIfLj2EEffffjfiS5_IjLj3EEiiiiiiiiiiiliiliiiiil, .Lfunc_end40-_ZL15flash_attn_tileILi64ELi64ELi8ELi2ELb0EEvPKcS1_S1_S1_S1_PKiPfP15HIP_vector_typeIfLj2EEffffjfiS5_IjLj3EEiiiiiiiiiiiliiliiiiil
                                        ; -- End function
	.section	.AMDGPU.csdata,"",@progbits
; Kernel info:
; codeLenInByte = 10236
; NumSgprs: 71
; NumVgprs: 250
; NumAgprs: 0
; TotalNumVgprs: 250
; ScratchSize: 0
; MemoryBound: 0
; FloatMode: 240
; IeeeMode: 1
; LDSByteSize: 24576 bytes/workgroup (compile time only)
; SGPRBlocks: 8
; VGPRBlocks: 31
; NumSGPRsForWavesPerEU: 71
; NumVGPRsForWavesPerEU: 250
; AccumOffset: 252
; Occupancy: 2
; WaveLimiterHint : 1
; COMPUTE_PGM_RSRC2:SCRATCH_EN: 0
; COMPUTE_PGM_RSRC2:USER_SGPR: 6
; COMPUTE_PGM_RSRC2:TRAP_HANDLER: 0
; COMPUTE_PGM_RSRC2:TGID_X_EN: 1
; COMPUTE_PGM_RSRC2:TGID_Y_EN: 1
; COMPUTE_PGM_RSRC2:TGID_Z_EN: 1
; COMPUTE_PGM_RSRC2:TIDIG_COMP_CNT: 1
; COMPUTE_PGM_RSRC3_GFX90A:ACCUM_OFFSET: 62
; COMPUTE_PGM_RSRC3_GFX90A:TG_SPLIT: 0
	.section	.text._ZL33flash_attn_stream_k_fixup_uniformILi64ELi8ELi2EEvPfPK15HIP_vector_typeIfLj2EEiiiiiiS1_IjLj3EES5_S5_,"axG",@progbits,_ZL33flash_attn_stream_k_fixup_uniformILi64ELi8ELi2EEvPfPK15HIP_vector_typeIfLj2EEiiiiiiS1_IjLj3EES5_S5_,comdat
	.globl	_ZL33flash_attn_stream_k_fixup_uniformILi64ELi8ELi2EEvPfPK15HIP_vector_typeIfLj2EEiiiiiiS1_IjLj3EES5_S5_ ; -- Begin function _ZL33flash_attn_stream_k_fixup_uniformILi64ELi8ELi2EEvPfPK15HIP_vector_typeIfLj2EEiiiiiiS1_IjLj3EES5_S5_
	.p2align	8
	.type	_ZL33flash_attn_stream_k_fixup_uniformILi64ELi8ELi2EEvPfPK15HIP_vector_typeIfLj2EEiiiiiiS1_IjLj3EES5_S5_,@function
_ZL33flash_attn_stream_k_fixup_uniformILi64ELi8ELi2EEvPfPK15HIP_vector_typeIfLj2EEiiiiiiS1_IjLj3EES5_S5_: ; @_ZL33flash_attn_stream_k_fixup_uniformILi64ELi8ELi2EEvPfPK15HIP_vector_typeIfLj2EEiiiiiiS1_IjLj3EES5_S5_
; %bb.0:
	s_load_dwordx8 s[12:19], s[4:5], 0x1c
	s_load_dwordx2 s[10:11], s[4:5], 0x10
	s_load_dwordx4 s[0:3], s[4:5], 0x3c
	s_waitcnt lgkmcnt(0)
	s_mul_hi_u32 s9, s15, s6
	s_add_i32 s9, s6, s9
	s_lshr_b32 s9, s9, s16
	s_mul_i32 s15, s9, s17
	s_sub_i32 s15, s6, s15
	s_mul_hi_u32 s16, s15, s18
	s_add_i32 s16, s15, s16
	s_lshr_b32 s16, s16, s19
	s_mul_i32 s0, s16, s0
	s_sub_i32 s0, s15, s0
	;; [unrolled: 5-line block ×3, first 2 shown]
	s_lshl_b32 s0, s17, 3
	s_lshl_b32 s15, s1, 1
	s_add_i32 s0, s0, s7
	s_cmp_lt_i32 s0, s10
	s_cselect_b64 s[0:1], -1, 0
	s_add_i32 s2, s15, s8
	s_cmp_lt_i32 s2, s13
	s_cselect_b64 s[2:3], -1, 0
	s_and_b64 s[0:1], s[0:1], s[2:3]
	s_andn2_b64 vcc, exec, s[0:1]
	s_cbranch_vccnz .LBB41_6
; %bb.1:
	s_load_dwordx4 s[0:3], s[4:5], 0x0
	s_mul_i32 s4, s9, s10
	s_add_i32 s4, s4, s7
	s_mul_i32 s4, s4, s11
	s_mul_i32 s16, s16, s13
	s_add_i32 s4, s4, s8
	s_add_i32 s4, s4, s16
	s_mul_i32 s5, s11, s17
	s_add_i32 s4, s4, s15
	s_lshl_b32 s5, s5, 9
	s_lshl_b32 s4, s4, 6
	s_add_i32 s5, s5, s4
	v_or_b32_e32 v2, s5, v0
	v_ashrrev_i32_e32 v3, 31, v2
	v_lshlrev_b64 v[2:3], 2, v[2:3]
	s_waitcnt lgkmcnt(0)
	v_mov_b32_e32 v1, s1
	v_add_co_u32_e32 v2, vcc, s0, v2
	v_addc_co_u32_e32 v3, vcc, v1, v3, vcc
	global_load_dword v8, v[2:3], off
	s_mul_i32 s9, s6, s14
	s_lshl_b32 s4, s7, 1
	s_add_i32 s11, s9, s14
	s_add_i32 s0, s4, s8
	s_lshl_b32 s1, s11, 4
	s_add_i32 s0, s0, s1
	s_add_i32 s0, s0, -16
	s_ashr_i32 s1, s0, 31
	s_lshl_b64 s[0:1], s[0:1], 3
	s_add_u32 s0, s2, s0
	s_addc_u32 s1, s3, s1
	s_load_dword s5, s[0:1], 0x4
	s_add_i32 s10, s11, -2
	s_cmp_lt_i32 s10, s9
	s_cbranch_scc1 .LBB41_4
; %bb.2:
	s_lshl_b32 s16, s12, 6
	s_ashr_i32 s17, s16, 31
	s_lshl_b64 s[16:17], s[16:17], 2
	s_add_u32 s10, s2, s16
	s_addc_u32 s13, s3, s17
	s_add_i32 s6, s6, 1
	s_load_dword s0, s[0:1], 0x0
	s_mul_i32 s1, s14, s6
	s_lshl_b32 s7, s7, 7
	s_lshl_b32 s14, s8, 6
	;; [unrolled: 1-line block ×3, first 2 shown]
	s_add_i32 s7, s14, s7
	s_lshl_b32 s1, s1, 4
	s_add_i32 s7, s7, s6
	s_add_i32 s1, s8, s1
	s_lshl_b32 s6, s12, 4
	s_add_i32 s1, s1, s6
	v_or_b32_e32 v0, s7, v0
	s_add_i32 s1, s1, s4
	s_add_i32 s11, s11, -1
	v_add_u32_e32 v0, 0xfffff800, v0
	s_sub_i32 s4, s1, 32
	s_waitcnt lgkmcnt(0)
	v_mov_b32_e32 v7, s5
	v_mov_b32_e32 v6, s0
	;; [unrolled: 1-line block ×3, first 2 shown]
	s_mov_b32 s6, 0x3fb8aa3b
	s_mov_b32 s7, 0xc2ce8ed0
	;; [unrolled: 1-line block ×3, first 2 shown]
	v_mov_b32_e32 v5, 0x7f800000
	s_mov_b32 s12, 0xc1a00000
.LBB41_3:                               ; =>This Inner Loop Header: Depth=1
	v_ashrrev_i32_e32 v1, 31, v0
	v_lshlrev_b64 v[10:11], 2, v[0:1]
	v_add_co_u32_e32 v10, vcc, s10, v10
	v_addc_co_u32_e32 v11, vcc, v4, v11, vcc
	global_load_dword v1, v[10:11], off
	s_ashr_i32 s5, s4, 31
	s_lshl_b64 s[0:1], s[4:5], 3
	s_add_u32 s0, s2, s0
	s_addc_u32 s1, s3, s1
	s_load_dwordx2 s[14:15], s[0:1], 0x0
	s_waitcnt vmcnt(1)
	v_mov_b32_e32 v9, v8
	v_max_f32_e32 v8, v6, v6
	v_mov_b32_e32 v10, v7
	s_add_i32 s11, s11, -1
	s_waitcnt lgkmcnt(0)
	v_max_f32_e64 v7, s14, s14
	v_max_f32_e32 v7, v8, v7
	v_sub_f32_e32 v11, s14, v7
	v_sub_f32_e32 v8, v6, v7
	v_mul_f32_e32 v12, 0x3fb8aa3b, v11
	v_mov_b32_e32 v6, v7
	v_mul_f32_e32 v7, 0x3fb8aa3b, v8
	v_fma_f32 v15, v11, s6, -v12
	v_rndne_f32_e32 v16, v12
	v_fma_f32 v13, v8, s6, -v7
	v_rndne_f32_e32 v14, v7
	v_fmac_f32_e32 v15, 0x32a5705f, v11
	v_sub_f32_e32 v12, v12, v16
	v_fmac_f32_e32 v13, 0x32a5705f, v8
	v_sub_f32_e32 v7, v7, v14
	v_add_f32_e32 v12, v12, v15
	v_cvt_i32_f32_e32 v16, v16
	v_add_f32_e32 v7, v7, v13
	v_exp_f32_e32 v12, v12
	v_cvt_i32_f32_e32 v14, v14
	v_exp_f32_e32 v7, v7
	v_cmp_ngt_f32_e32 vcc, s7, v11
	v_ldexp_f32 v12, v12, v16
	v_cmp_ngt_f32_e64 s[0:1], s7, v8
	v_ldexp_f32 v7, v7, v14
	v_cndmask_b32_e32 v12, 0, v12, vcc
	v_cmp_nlt_f32_e32 vcc, s8, v11
	v_cndmask_b32_e64 v7, 0, v7, s[0:1]
	v_cmp_nlt_f32_e64 s[0:1], s8, v8
	v_cndmask_b32_e32 v12, v5, v12, vcc
	v_cmp_le_f32_e32 vcc, s12, v11
	v_cndmask_b32_e64 v7, v5, v7, s[0:1]
	v_cmp_le_f32_e64 s[0:1], s12, v8
	v_cndmask_b32_e32 v8, 0, v12, vcc
	s_add_i32 s4, s4, -16
	v_cndmask_b32_e64 v11, 0, v7, s[0:1]
	v_mul_f32_e32 v7, s15, v8
	v_add_u32_e32 v0, 0xfffffc00, v0
	s_cmp_le_i32 s11, s9
	v_fmac_f32_e32 v7, v10, v11
	s_waitcnt vmcnt(0)
	v_mul_f32_e32 v8, v1, v8
	v_fmac_f32_e32 v8, v9, v11
	s_cbranch_scc0 .LBB41_3
	s_branch .LBB41_5
.LBB41_4:
	s_waitcnt lgkmcnt(0)
	v_mov_b32_e32 v7, s5
.LBB41_5:
	s_waitcnt vmcnt(0)
	v_div_scale_f32 v0, s[0:1], v7, v7, v8
	v_rcp_f32_e32 v1, v0
	v_div_scale_f32 v4, vcc, v8, v7, v8
	v_fma_f32 v5, -v0, v1, 1.0
	v_fmac_f32_e32 v1, v5, v1
	v_mul_f32_e32 v5, v4, v1
	v_fma_f32 v6, -v0, v5, v4
	v_fmac_f32_e32 v5, v6, v1
	v_fma_f32 v0, -v0, v5, v4
	v_div_fmas_f32 v0, v0, v1, v5
	v_div_fixup_f32 v0, v0, v7, v8
	global_store_dword v[2:3], v0, off
.LBB41_6:
	s_endpgm
	.section	.rodata,"a",@progbits
	.p2align	6, 0x0
	.amdhsa_kernel _ZL33flash_attn_stream_k_fixup_uniformILi64ELi8ELi2EEvPfPK15HIP_vector_typeIfLj2EEiiiiiiS1_IjLj3EES5_S5_
		.amdhsa_group_segment_fixed_size 0
		.amdhsa_private_segment_fixed_size 0
		.amdhsa_kernarg_size 76
		.amdhsa_user_sgpr_count 6
		.amdhsa_user_sgpr_private_segment_buffer 1
		.amdhsa_user_sgpr_dispatch_ptr 0
		.amdhsa_user_sgpr_queue_ptr 0
		.amdhsa_user_sgpr_kernarg_segment_ptr 1
		.amdhsa_user_sgpr_dispatch_id 0
		.amdhsa_user_sgpr_flat_scratch_init 0
		.amdhsa_user_sgpr_kernarg_preload_length 0
		.amdhsa_user_sgpr_kernarg_preload_offset 0
		.amdhsa_user_sgpr_private_segment_size 0
		.amdhsa_uses_dynamic_stack 0
		.amdhsa_system_sgpr_private_segment_wavefront_offset 0
		.amdhsa_system_sgpr_workgroup_id_x 1
		.amdhsa_system_sgpr_workgroup_id_y 1
		.amdhsa_system_sgpr_workgroup_id_z 1
		.amdhsa_system_sgpr_workgroup_info 0
		.amdhsa_system_vgpr_workitem_id 0
		.amdhsa_next_free_vgpr 17
		.amdhsa_next_free_sgpr 20
		.amdhsa_accum_offset 20
		.amdhsa_reserve_vcc 1
		.amdhsa_reserve_flat_scratch 0
		.amdhsa_float_round_mode_32 0
		.amdhsa_float_round_mode_16_64 0
		.amdhsa_float_denorm_mode_32 3
		.amdhsa_float_denorm_mode_16_64 3
		.amdhsa_dx10_clamp 1
		.amdhsa_ieee_mode 1
		.amdhsa_fp16_overflow 0
		.amdhsa_tg_split 0
		.amdhsa_exception_fp_ieee_invalid_op 0
		.amdhsa_exception_fp_denorm_src 0
		.amdhsa_exception_fp_ieee_div_zero 0
		.amdhsa_exception_fp_ieee_overflow 0
		.amdhsa_exception_fp_ieee_underflow 0
		.amdhsa_exception_fp_ieee_inexact 0
		.amdhsa_exception_int_div_zero 0
	.end_amdhsa_kernel
	.section	.text._ZL33flash_attn_stream_k_fixup_uniformILi64ELi8ELi2EEvPfPK15HIP_vector_typeIfLj2EEiiiiiiS1_IjLj3EES5_S5_,"axG",@progbits,_ZL33flash_attn_stream_k_fixup_uniformILi64ELi8ELi2EEvPfPK15HIP_vector_typeIfLj2EEiiiiiiS1_IjLj3EES5_S5_,comdat
.Lfunc_end41:
	.size	_ZL33flash_attn_stream_k_fixup_uniformILi64ELi8ELi2EEvPfPK15HIP_vector_typeIfLj2EEiiiiiiS1_IjLj3EES5_S5_, .Lfunc_end41-_ZL33flash_attn_stream_k_fixup_uniformILi64ELi8ELi2EEvPfPK15HIP_vector_typeIfLj2EEiiiiiiS1_IjLj3EES5_S5_
                                        ; -- End function
	.section	.AMDGPU.csdata,"",@progbits
; Kernel info:
; codeLenInByte = 856
; NumSgprs: 24
; NumVgprs: 17
; NumAgprs: 0
; TotalNumVgprs: 17
; ScratchSize: 0
; MemoryBound: 0
; FloatMode: 240
; IeeeMode: 1
; LDSByteSize: 0 bytes/workgroup (compile time only)
; SGPRBlocks: 2
; VGPRBlocks: 2
; NumSGPRsForWavesPerEU: 24
; NumVGPRsForWavesPerEU: 17
; AccumOffset: 20
; Occupancy: 8
; WaveLimiterHint : 0
; COMPUTE_PGM_RSRC2:SCRATCH_EN: 0
; COMPUTE_PGM_RSRC2:USER_SGPR: 6
; COMPUTE_PGM_RSRC2:TRAP_HANDLER: 0
; COMPUTE_PGM_RSRC2:TGID_X_EN: 1
; COMPUTE_PGM_RSRC2:TGID_Y_EN: 1
; COMPUTE_PGM_RSRC2:TGID_Z_EN: 1
; COMPUTE_PGM_RSRC2:TIDIG_COMP_CNT: 0
; COMPUTE_PGM_RSRC3_GFX90A:ACCUM_OFFSET: 4
; COMPUTE_PGM_RSRC3_GFX90A:TG_SPLIT: 0
	.section	.text._ZL33flash_attn_stream_k_fixup_generalILi64ELi8ELi2EEvPfPK15HIP_vector_typeIfLj2EEiiiiS1_IjLj3EES5_S5_S5_,"axG",@progbits,_ZL33flash_attn_stream_k_fixup_generalILi64ELi8ELi2EEvPfPK15HIP_vector_typeIfLj2EEiiiiS1_IjLj3EES5_S5_S5_,comdat
	.globl	_ZL33flash_attn_stream_k_fixup_generalILi64ELi8ELi2EEvPfPK15HIP_vector_typeIfLj2EEiiiiS1_IjLj3EES5_S5_S5_ ; -- Begin function _ZL33flash_attn_stream_k_fixup_generalILi64ELi8ELi2EEvPfPK15HIP_vector_typeIfLj2EEiiiiS1_IjLj3EES5_S5_S5_
	.p2align	8
	.type	_ZL33flash_attn_stream_k_fixup_generalILi64ELi8ELi2EEvPfPK15HIP_vector_typeIfLj2EEiiiiS1_IjLj3EES5_S5_S5_,@function
_ZL33flash_attn_stream_k_fixup_generalILi64ELi8ELi2EEvPfPK15HIP_vector_typeIfLj2EEiiiiS1_IjLj3EES5_S5_S5_: ; @_ZL33flash_attn_stream_k_fixup_generalILi64ELi8ELi2EEvPfPK15HIP_vector_typeIfLj2EEiiiiS1_IjLj3EES5_S5_S5_
; %bb.0:
	s_load_dwordx4 s[12:15], s[4:5], 0x10
	s_load_dword s9, s[4:5], 0x50
	s_mov_b32 s2, 0
	s_waitcnt lgkmcnt(0)
	s_mul_hi_i32 s3, s15, s6
	s_cmp_lg_u64 s[2:3], 0
	s_mul_i32 s2, s15, s6
	s_cbranch_scc0 .LBB42_21
; %bb.1:
	v_cvt_f32_u32_e32 v1, s9
	v_cvt_f32_ubyte0_e32 v2, 0
	s_sub_u32 s10, 0, s9
	s_subb_u32 s11, 0, 0
	v_madmk_f32 v1, v2, 0x4f800000, v1
	v_rcp_f32_e32 v1, v1
	v_mul_f32_e32 v1, 0x5f7ffffc, v1
	v_mul_f32_e32 v2, 0x2f800000, v1
	v_trunc_f32_e32 v2, v2
	v_madmk_f32 v1, v2, 0xcf800000, v1
	v_cvt_u32_f32_e32 v2, v2
	v_cvt_u32_f32_e32 v1, v1
	v_readfirstlane_b32 s16, v2
	v_readfirstlane_b32 s17, v1
	s_mul_i32 s18, s10, s16
	s_mul_hi_u32 s20, s10, s17
	s_mul_i32 s19, s11, s17
	s_add_i32 s18, s20, s18
	s_add_i32 s18, s18, s19
	s_mul_i32 s21, s10, s17
	s_mul_hi_u32 s19, s17, s18
	s_mul_i32 s20, s17, s18
	s_mul_hi_u32 s17, s17, s21
	s_add_u32 s17, s17, s20
	s_addc_u32 s19, 0, s19
	s_mul_hi_u32 s22, s16, s21
	s_mul_i32 s21, s16, s21
	s_add_u32 s17, s17, s21
	s_mul_hi_u32 s20, s16, s18
	s_addc_u32 s17, s19, s22
	s_addc_u32 s19, s20, 0
	s_mul_i32 s18, s16, s18
	s_add_u32 s17, s17, s18
	s_addc_u32 s18, 0, s19
	v_add_co_u32_e32 v1, vcc, s17, v1
	s_cmp_lg_u64 vcc, 0
	s_addc_u32 s16, s16, s18
	v_readfirstlane_b32 s18, v1
	s_mul_i32 s17, s10, s16
	s_mul_hi_u32 s19, s10, s18
	s_add_i32 s17, s19, s17
	s_mul_i32 s11, s11, s18
	s_add_i32 s17, s17, s11
	s_mul_i32 s10, s10, s18
	s_mul_hi_u32 s19, s16, s10
	s_mul_i32 s20, s16, s10
	s_mul_i32 s22, s18, s17
	s_mul_hi_u32 s10, s18, s10
	s_mul_hi_u32 s21, s18, s17
	s_add_u32 s10, s10, s22
	s_addc_u32 s18, 0, s21
	s_add_u32 s10, s10, s20
	s_mul_hi_u32 s11, s16, s17
	s_addc_u32 s10, s18, s19
	s_addc_u32 s11, s11, 0
	s_mul_i32 s17, s16, s17
	s_add_u32 s10, s10, s17
	s_addc_u32 s11, 0, s11
	v_add_co_u32_e32 v1, vcc, s10, v1
	s_cmp_lg_u64 vcc, 0
	s_addc_u32 s18, s16, s11
	s_ashr_i32 s10, s3, 31
	s_add_u32 s16, s2, s10
	s_mov_b32 s11, s10
	s_addc_u32 s17, s3, s10
	s_xor_b64 s[16:17], s[16:17], s[10:11]
	v_readfirstlane_b32 s20, v1
	s_mul_i32 s19, s16, s18
	s_mul_hi_u32 s21, s16, s20
	s_mul_hi_u32 s3, s16, s18
	s_add_u32 s19, s21, s19
	s_addc_u32 s3, 0, s3
	s_mul_hi_u32 s22, s17, s20
	s_mul_i32 s20, s17, s20
	s_add_u32 s19, s19, s20
	s_mul_hi_u32 s21, s17, s18
	s_addc_u32 s3, s3, s22
	s_addc_u32 s19, s21, 0
	s_mul_i32 s18, s17, s18
	s_add_u32 s3, s3, s18
	s_addc_u32 s18, 0, s19
	s_add_u32 s19, s3, 1
	s_addc_u32 s20, s18, 0
	s_add_u32 s21, s3, 2
	s_mul_i32 s23, s9, s18
	s_mul_hi_u32 s24, s9, s3
	s_addc_u32 s22, s18, 0
	s_add_i32 s24, s24, s23
	s_mul_i32 s23, s9, s3
	v_mov_b32_e32 v1, s23
	v_sub_co_u32_e32 v1, vcc, s16, v1
	s_cmp_lg_u64 vcc, 0
	s_subb_u32 s16, s17, s24
	v_subrev_co_u32_e32 v2, vcc, s9, v1
	s_cmp_lg_u64 vcc, 0
	s_subb_u32 s17, s16, 0
	v_readfirstlane_b32 s23, v2
	s_cmp_ge_u32 s23, s9
	s_cselect_b32 s23, -1, 0
	s_cmp_eq_u32 s17, 0
	s_cselect_b32 s17, s23, -1
	s_cmp_lg_u32 s17, 0
	s_cselect_b32 s17, s22, s20
	v_readfirstlane_b32 s20, v1
	s_cselect_b32 s19, s21, s19
	s_cmp_ge_u32 s20, s9
	s_cselect_b32 s20, -1, 0
	s_cmp_eq_u32 s16, 0
	s_cselect_b32 s16, s20, -1
	s_cmp_lg_u32 s16, 0
	s_cselect_b32 s17, s17, s18
	s_cselect_b32 s16, s19, s3
	s_xor_b64 s[16:17], s[16:17], s[10:11]
	s_sub_u32 s20, s16, s10
	s_load_dwordx4 s[16:19], s[4:5], 0x44
	s_cbranch_execnz .LBB42_3
.LBB42_2:
	v_cvt_f32_u32_e32 v1, s9
	s_sub_i32 s0, 0, s9
	v_rcp_iflag_f32_e32 v1, v1
	v_mul_f32_e32 v1, 0x4f7ffffe, v1
	v_cvt_u32_f32_e32 v1, v1
	v_readfirstlane_b32 s1, v1
	s_mul_i32 s0, s0, s1
	s_mul_hi_u32 s0, s1, s0
	s_add_i32 s1, s1, s0
	s_mul_hi_u32 s0, s2, s1
	s_mul_i32 s3, s0, s9
	s_sub_i32 s2, s2, s3
	s_add_i32 s1, s0, 1
	s_sub_i32 s3, s2, s9
	s_cmp_ge_u32 s2, s9
	s_cselect_b32 s0, s1, s0
	s_cselect_b32 s2, s3, s2
	s_add_i32 s1, s0, 1
	s_cmp_ge_u32 s2, s9
	s_cselect_b32 s20, s1, s0
.LBB42_3:
	s_add_i32 s0, s6, 1
	s_mul_hi_i32 s3, s15, s0
	s_mov_b32 s2, 0
	s_cmp_lg_u64 s[2:3], 0
	s_mul_i32 s2, s15, s0
	s_cbranch_scc0 .LBB42_22
; %bb.4:
	v_cvt_f32_u32_e32 v1, s9
	v_cvt_f32_ubyte0_e32 v2, 0
	s_sub_u32 s10, 0, s9
	s_subb_u32 s11, 0, 0
	v_madmk_f32 v1, v2, 0x4f800000, v1
	v_rcp_f32_e32 v1, v1
	v_mul_f32_e32 v1, 0x5f7ffffc, v1
	v_mul_f32_e32 v2, 0x2f800000, v1
	v_trunc_f32_e32 v2, v2
	v_madmk_f32 v1, v2, 0xcf800000, v1
	v_cvt_u32_f32_e32 v2, v2
	v_cvt_u32_f32_e32 v1, v1
	s_waitcnt lgkmcnt(0)
	v_readfirstlane_b32 s19, v2
	v_readfirstlane_b32 s21, v1
	s_mul_i32 s22, s10, s19
	s_mul_hi_u32 s24, s10, s21
	s_mul_i32 s23, s11, s21
	s_add_i32 s22, s24, s22
	s_add_i32 s22, s22, s23
	s_mul_i32 s25, s10, s21
	s_mul_hi_u32 s23, s21, s22
	s_mul_i32 s24, s21, s22
	s_mul_hi_u32 s21, s21, s25
	s_add_u32 s21, s21, s24
	s_addc_u32 s23, 0, s23
	s_mul_hi_u32 s26, s19, s25
	s_mul_i32 s25, s19, s25
	s_add_u32 s21, s21, s25
	s_mul_hi_u32 s24, s19, s22
	s_addc_u32 s21, s23, s26
	s_addc_u32 s23, s24, 0
	s_mul_i32 s22, s19, s22
	s_add_u32 s21, s21, s22
	s_addc_u32 s22, 0, s23
	v_add_co_u32_e32 v1, vcc, s21, v1
	s_cmp_lg_u64 vcc, 0
	s_addc_u32 s19, s19, s22
	v_readfirstlane_b32 s22, v1
	s_mul_i32 s21, s10, s19
	s_mul_hi_u32 s23, s10, s22
	s_add_i32 s21, s23, s21
	s_mul_i32 s11, s11, s22
	s_add_i32 s21, s21, s11
	s_mul_i32 s10, s10, s22
	s_mul_hi_u32 s23, s19, s10
	s_mul_i32 s24, s19, s10
	s_mul_i32 s26, s22, s21
	s_mul_hi_u32 s10, s22, s10
	s_mul_hi_u32 s25, s22, s21
	s_add_u32 s10, s10, s26
	s_addc_u32 s22, 0, s25
	s_add_u32 s10, s10, s24
	s_mul_hi_u32 s11, s19, s21
	s_addc_u32 s10, s22, s23
	s_addc_u32 s11, s11, 0
	s_mul_i32 s21, s19, s21
	s_add_u32 s10, s10, s21
	s_addc_u32 s11, 0, s11
	v_add_co_u32_e32 v1, vcc, s10, v1
	s_cmp_lg_u64 vcc, 0
	s_addc_u32 s19, s19, s11
	s_ashr_i32 s10, s3, 31
	s_add_u32 s22, s2, s10
	s_mov_b32 s11, s10
	s_addc_u32 s23, s3, s10
	s_xor_b64 s[22:23], s[22:23], s[10:11]
	v_readfirstlane_b32 s21, v1
	s_mul_i32 s11, s22, s19
	s_mul_hi_u32 s24, s22, s21
	s_mul_hi_u32 s3, s22, s19
	s_add_u32 s11, s24, s11
	s_addc_u32 s3, 0, s3
	s_mul_hi_u32 s25, s23, s21
	s_mul_i32 s21, s23, s21
	s_add_u32 s11, s11, s21
	s_mul_hi_u32 s24, s23, s19
	s_addc_u32 s3, s3, s25
	s_addc_u32 s11, s24, 0
	s_mul_i32 s19, s23, s19
	s_add_u32 s3, s3, s19
	s_addc_u32 s11, 0, s11
	s_mul_i32 s11, s9, s11
	s_mul_hi_u32 s24, s9, s3
	s_add_i32 s24, s24, s11
	s_mul_i32 s11, s9, s3
	v_mov_b32_e32 v1, s11
	s_add_u32 s19, s3, 1
	s_add_u32 s21, s3, 2
	v_sub_co_u32_e32 v1, vcc, s22, v1
	s_cmp_lg_u64 vcc, 0
	s_subb_u32 s11, s23, s24
	v_subrev_co_u32_e32 v2, vcc, s9, v1
	s_cmp_lg_u64 vcc, 0
	s_subb_u32 s22, s11, 0
	v_cmp_le_u32_e32 vcc, s9, v2
	s_cmp_eq_u32 s22, 0
	v_cndmask_b32_e64 v2, 0, -1, vcc
	s_cselect_b64 vcc, -1, 0
	v_cndmask_b32_e32 v2, -1, v2, vcc
	v_mov_b32_e32 v3, s19
	v_mov_b32_e32 v4, s21
	v_cmp_ne_u32_e32 vcc, 0, v2
	v_cndmask_b32_e32 v2, v3, v4, vcc
	v_cmp_le_u32_e32 vcc, s9, v1
	s_cmp_eq_u32 s11, 0
	v_cndmask_b32_e64 v1, 0, -1, vcc
	s_cselect_b64 vcc, -1, 0
	v_cndmask_b32_e32 v1, -1, v1, vcc
	v_mov_b32_e32 v3, s3
	v_cmp_ne_u32_e32 vcc, 0, v1
	v_cndmask_b32_e32 v1, v3, v2, vcc
	v_xor_b32_e32 v1, s10, v1
	v_subrev_co_u32_e32 v2, vcc, s10, v1
	s_cbranch_execnz .LBB42_6
.LBB42_5:
	v_cvt_f32_u32_e32 v1, s9
	s_sub_i32 s0, 0, s9
	s_mov_b32 s1, 0
	v_rcp_iflag_f32_e32 v1, v1
	v_mul_f32_e32 v1, 0x4f7ffffe, v1
	v_cvt_u32_f32_e32 v1, v1
	v_readfirstlane_b32 s3, v1
	s_mul_i32 s0, s0, s3
	s_mul_hi_u32 s0, s3, s0
	s_add_i32 s3, s3, s0
	s_mul_hi_u32 s0, s2, s3
	s_mul_i32 s10, s0, s9
	s_sub_i32 s2, s2, s10
	s_add_i32 s3, s0, 1
	s_sub_i32 s10, s2, s9
	s_cmp_ge_u32 s2, s9
	s_cselect_b32 s0, s3, s0
	s_cselect_b32 s2, s10, s2
	s_add_i32 s3, s0, 1
	s_cmp_ge_u32 s2, s9
	s_cselect_b32 s0, s3, s0
	v_pk_mov_b32 v[2:3], s[0:1], s[0:1] op_sel:[0,1]
.LBB42_6:
	s_waitcnt lgkmcnt(0)
	s_mul_hi_u32 s0, s20, s16
	s_add_i32 s0, s0, s20
	v_mul_hi_u32 v1, v2, s16
	s_lshr_b32 s19, s0, s17
	v_add_u32_e32 v1, v1, v2
	s_mul_i32 s0, s19, s18
	v_lshrrev_b32_e32 v1, s17, v1
	s_cmp_eq_u32 s0, s20
	v_cmp_eq_u32_e64 s[0:1], s19, v1
	v_mul_lo_u32 v1, v1, s18
	v_cmp_eq_u32_e32 vcc, s20, v2
	s_cselect_b64 s[10:11], -1, 0
	v_cmp_ne_u32_e64 s[2:3], v1, v2
	s_and_b64 s[0:1], s[0:1], s[2:3]
	s_or_b64 s[2:3], vcc, s[10:11]
	s_or_b64 s[0:1], s[2:3], s[0:1]
	s_and_b64 vcc, exec, s[0:1]
	s_cbranch_vccnz .LBB42_24
; %bb.7:
	s_load_dwordx8 s[24:31], s[4:5], 0x20
	s_load_dword s0, s[4:5], 0x40
	s_mov_b32 s10, 0
	s_waitcnt lgkmcnt(0)
	s_mul_hi_u32 s1, s20, s24
	s_add_i32 s1, s1, s20
	s_lshr_b32 s11, s1, s25
	s_mul_i32 s1, s11, s26
	s_sub_i32 s1, s20, s1
	s_mul_hi_u32 s2, s1, s27
	s_add_i32 s2, s1, s2
	s_lshr_b32 s24, s2, s28
	s_mul_i32 s2, s24, s29
	s_sub_i32 s1, s1, s2
	s_mul_hi_u32 s2, s1, s30
	s_add_i32 s2, s1, s2
	s_lshr_b32 s2, s2, s31
	s_mul_i32 s0, s2, s0
	s_sub_i32 s0, s1, s0
	s_mul_hi_u32 s1, s0, s16
	s_add_i32 s0, s0, s1
	s_lshr_b32 s26, s0, s17
	s_lshl_b32 s0, s26, 3
	s_lshl_b32 s25, s2, 1
	s_add_i32 s0, s0, s7
	s_cmp_lt_i32 s0, s12
	s_cselect_b64 s[0:1], -1, 0
	s_add_i32 s2, s25, s8
	s_cmp_lt_i32 s2, s14
	s_cselect_b64 s[2:3], -1, 0
	s_and_b64 s[0:1], s[0:1], s[2:3]
	s_andn2_b64 vcc, exec, s[0:1]
	s_cbranch_vccnz .LBB42_24
; %bb.8:
	s_load_dwordx4 s[0:3], s[4:5], 0x0
	s_lshl_b32 s21, s7, 1
	s_lshl_b32 s4, s9, 6
	s_mov_b32 s5, s10
	s_add_i32 s21, s21, s8
	s_lshl_b64 s[4:5], s[4:5], 2
	s_waitcnt lgkmcnt(0)
	s_add_u32 s22, s2, s4
	s_mul_i32 s4, s11, s12
	s_addc_u32 s23, s3, s5
	s_add_i32 s4, s4, s7
	s_mul_i32 s4, s4, s13
	s_mul_i32 s24, s24, s14
	s_add_i32 s4, s4, s8
	s_add_i32 s4, s4, s24
	s_mul_i32 s5, s13, s26
	s_add_i32 s4, s4, s25
	s_lshl_b32 s5, s5, 9
	s_lshl_b32 s4, s4, 6
	s_add_i32 s5, s5, s4
	v_or_b32_e32 v2, s5, v0
	v_ashrrev_i32_e32 v3, 31, v2
	v_lshlrev_b64 v[2:3], 2, v[2:3]
	v_mov_b32_e32 v1, s1
	v_add_co_u32_e32 v2, vcc, s0, v2
	v_addc_co_u32_e32 v3, vcc, v1, v3, vcc
	global_load_dword v5, v[2:3], off
	v_lshl_or_b32 v4, s21, 6, v0
	v_cvt_f32_u32_e32 v0, s9
	v_cvt_f32_ubyte0_e32 v1, 0
	s_lshl_b32 s0, s6, 4
	s_add_i32 s0, s21, s0
	v_mac_f32_e32 v0, 0x4f800000, v1
	v_rcp_f32_e32 v0, v0
	v_cvt_f32_u32_e32 v1, s9
	s_ashr_i32 s1, s0, 31
	s_lshl_b64 s[0:1], s[0:1], 3
	v_mul_f32_e32 v0, 0x5f7ffffc, v0
	v_rcp_iflag_f32_e32 v1, v1
	s_add_u32 s0, s2, s0
	v_mul_f32_e32 v9, 0x2f800000, v0
	s_addc_u32 s1, s3, s1
	v_trunc_f32_e32 v10, v9
	s_load_dwordx2 s[0:1], s[0:1], 0x0
	v_mac_f32_e32 v0, 0xcf800000, v10
	v_cvt_u32_f32_e32 v9, v0
	v_mul_f32_e32 v0, 0x4f7ffffe, v1
	v_cvt_u32_f32_e32 v10, v10
	v_cvt_u32_f32_e32 v11, v0
	s_add_i32 s8, s6, -1
	s_waitcnt lgkmcnt(0)
	v_mov_b32_e32 v6, s1
	v_mov_b32_e32 v7, s0
	;; [unrolled: 1-line block ×3, first 2 shown]
	s_mov_b32 s6, 0x3fb8aa3b
	s_mov_b32 s7, 0xc2ce8ed0
	;; [unrolled: 1-line block ×4, first 2 shown]
	v_mov_b32_e32 v12, 0x7f800000
	s_mul_hi_i32 s11, s8, s15
	s_cmp_lg_u64 s[10:11], 0
	s_mul_i32 s4, s8, s15
	s_cbranch_scc0 .LBB42_15
.LBB42_9:
	s_sub_u32 s0, 0, s9
	v_readfirstlane_b32 s5, v9
	v_readfirstlane_b32 s24, v10
	s_subb_u32 s1, 0, 0
	s_mul_hi_u32 s20, s0, s5
	s_mul_i32 s25, s0, s24
	s_mul_i32 s14, s1, s5
	s_add_i32 s20, s20, s25
	s_add_i32 s20, s20, s14
	s_mul_i32 s26, s0, s5
	s_mul_hi_u32 s14, s5, s20
	s_mul_i32 s25, s5, s20
	s_mul_hi_u32 s5, s5, s26
	s_add_u32 s5, s5, s25
	s_addc_u32 s14, 0, s14
	s_mul_hi_u32 s27, s24, s26
	s_mul_i32 s26, s24, s26
	s_add_u32 s5, s5, s26
	s_mul_hi_u32 s25, s24, s20
	s_addc_u32 s5, s14, s27
	s_addc_u32 s14, s25, 0
	s_mul_i32 s20, s24, s20
	s_add_u32 s5, s5, s20
	s_addc_u32 s14, 0, s14
	v_add_co_u32_e32 v0, vcc, s5, v9
	s_cmp_lg_u64 vcc, 0
	s_addc_u32 s5, s24, s14
	v_readfirstlane_b32 s20, v0
	s_mul_i32 s14, s0, s5
	s_mul_hi_u32 s24, s0, s20
	s_add_i32 s14, s24, s14
	s_mul_i32 s1, s1, s20
	s_add_i32 s14, s14, s1
	s_mul_i32 s0, s0, s20
	s_mul_hi_u32 s24, s5, s0
	s_mul_i32 s25, s5, s0
	s_mul_i32 s27, s20, s14
	s_mul_hi_u32 s0, s20, s0
	s_mul_hi_u32 s26, s20, s14
	s_add_u32 s0, s0, s27
	s_addc_u32 s20, 0, s26
	s_add_u32 s0, s0, s25
	s_mul_hi_u32 s1, s5, s14
	s_addc_u32 s0, s20, s24
	s_addc_u32 s1, s1, 0
	s_mul_i32 s14, s5, s14
	s_add_u32 s0, s0, s14
	s_addc_u32 s1, 0, s1
	v_add_co_u32_e32 v0, vcc, s0, v0
	s_cmp_lg_u64 vcc, 0
	s_addc_u32 s5, s5, s1
	s_ashr_i32 s0, s11, 31
	s_add_u32 s24, s4, s0
	s_mov_b32 s1, s0
	s_addc_u32 s25, s11, s0
	s_xor_b64 s[24:25], s[24:25], s[0:1]
	v_readfirstlane_b32 s14, v0
	s_mul_i32 s11, s24, s5
	s_mul_hi_u32 s20, s24, s14
	s_mul_hi_u32 s1, s24, s5
	s_add_u32 s11, s20, s11
	s_addc_u32 s1, 0, s1
	s_mul_hi_u32 s26, s25, s14
	s_mul_i32 s14, s25, s14
	s_add_u32 s11, s11, s14
	s_mul_hi_u32 s20, s25, s5
	s_addc_u32 s1, s1, s26
	s_addc_u32 s11, s20, 0
	s_mul_i32 s5, s25, s5
	s_add_u32 s1, s1, s5
	s_addc_u32 s5, 0, s11
	s_mul_i32 s5, s9, s5
	s_mul_hi_u32 s20, s9, s1
	s_add_i32 s20, s20, s5
	s_mul_i32 s5, s9, s1
	v_mov_b32_e32 v0, s5
	s_add_u32 s11, s1, 1
	s_add_u32 s14, s1, 2
	v_sub_co_u32_e32 v0, vcc, s24, v0
	s_cmp_lg_u64 vcc, 0
	s_subb_u32 s5, s25, s20
	v_subrev_co_u32_e32 v1, vcc, s9, v0
	s_cmp_lg_u64 vcc, 0
	s_subb_u32 s20, s5, 0
	v_cmp_le_u32_e32 vcc, s9, v1
	s_cmp_eq_u32 s20, 0
	v_cndmask_b32_e64 v1, 0, -1, vcc
	s_cselect_b64 vcc, -1, 0
	v_cndmask_b32_e32 v1, -1, v1, vcc
	v_mov_b32_e32 v13, s11
	v_mov_b32_e32 v14, s14
	v_cmp_ne_u32_e32 vcc, 0, v1
	v_cndmask_b32_e32 v1, v13, v14, vcc
	v_cmp_le_u32_e32 vcc, s9, v0
	s_cmp_eq_u32 s5, 0
	v_cndmask_b32_e64 v0, 0, -1, vcc
	s_cselect_b64 vcc, -1, 0
	v_cndmask_b32_e32 v0, -1, v0, vcc
	v_mov_b32_e32 v13, s1
	v_cmp_ne_u32_e32 vcc, 0, v0
	v_cndmask_b32_e32 v0, v13, v1, vcc
	v_xor_b32_e32 v0, s0, v0
	v_subrev_co_u32_e32 v0, vcc, s0, v0
	s_cbranch_execnz .LBB42_11
.LBB42_10:
	s_sub_i32 s0, 0, s9
	v_mul_lo_u32 v0, s0, v11
	v_mul_hi_u32 v0, v11, v0
	v_add_u32_e32 v0, v11, v0
	v_mul_hi_u32 v0, s4, v0
	v_mul_lo_u32 v13, v0, s9
	v_sub_u32_e32 v13, s4, v13
	v_add_u32_e32 v1, 1, v0
	v_subrev_u32_e32 v14, s9, v13
	v_cmp_le_u32_e32 vcc, s9, v13
	v_cndmask_b32_e32 v13, v13, v14, vcc
	v_cndmask_b32_e32 v0, v0, v1, vcc
	v_add_u32_e32 v1, 1, v0
	v_cmp_le_u32_e32 vcc, s9, v13
	v_cndmask_b32_e32 v0, v0, v1, vcc
.LBB42_11:
	v_cmp_ne_u32_e32 vcc, v8, v0
	s_cbranch_vccz .LBB42_14
; %bb.12:
	s_add_i32 s0, s8, s9
	s_lshl_b32 s0, s0, 4
	v_mul_hi_u32 v1, v0, s16
	s_add_i32 s0, s0, s21
	s_mov_b32 s1, s10
	v_add_u32_e32 v1, v1, v0
	s_lshl_b64 s[0:1], s[0:1], 3
	v_lshrrev_b32_e32 v1, s17, v1
	s_add_u32 s4, s2, s0
	v_mul_lo_u32 v13, v1, s18
	s_addc_u32 s5, s3, s1
	v_cmp_eq_u32_e32 vcc, v13, v0
	v_cmp_gt_u32_e64 s[0:1], s19, v1
	s_or_b64 s[0:1], s[0:1], vcc
	s_and_b64 vcc, exec, s[0:1]
	s_cbranch_vccnz .LBB42_16
; %bb.13:
	s_add_i32 s11, s8, -1
	s_mov_b64 s[0:1], 0
	s_branch .LBB42_17
.LBB42_14:
                                        ; implicit-def: $sgpr0_sgpr1
                                        ; implicit-def: $vgpr14
                                        ; implicit-def: $vgpr1
                                        ; implicit-def: $vgpr13
                                        ; implicit-def: $sgpr11
                                        ; implicit-def: $vgpr0
	s_branch .LBB42_18
.LBB42_15:
                                        ; implicit-def: $vgpr0_vgpr1
	s_branch .LBB42_10
.LBB42_16:
	s_mov_b64 s[0:1], -1
	s_mov_b32 s11, s8
	v_mov_b32_e32 v0, v8
.LBB42_17:
	v_lshl_add_u32 v14, s8, 10, v4
	v_ashrrev_i32_e32 v15, 31, v14
	v_lshlrev_b64 v[14:15], 2, v[14:15]
	v_mov_b32_e32 v1, s23
	v_add_co_u32_e32 v14, vcc, s22, v14
	v_addc_co_u32_e32 v15, vcc, v1, v15, vcc
	global_load_dword v14, v[14:15], off
	s_load_dwordx2 s[4:5], s[4:5], 0x0
	v_max_f32_e32 v1, v7, v7
	s_waitcnt lgkmcnt(0)
	v_max_f32_e64 v13, s4, s4
	v_max_f32_e32 v1, v1, v13
	v_sub_f32_e32 v13, v7, v1
	v_sub_f32_e32 v15, s4, v1
	v_mul_f32_e32 v16, 0x3fb8aa3b, v13
	v_mul_f32_e32 v17, 0x3fb8aa3b, v15
	v_fma_f32 v18, v13, s6, -v16
	v_rndne_f32_e32 v19, v16
	v_fma_f32 v20, v15, s6, -v17
	v_rndne_f32_e32 v21, v17
	v_fmac_f32_e32 v18, 0x32a5705f, v13
	v_sub_f32_e32 v16, v16, v19
	v_fmac_f32_e32 v20, 0x32a5705f, v15
	v_sub_f32_e32 v17, v17, v21
	v_add_f32_e32 v16, v16, v18
	v_cvt_i32_f32_e32 v19, v19
	v_add_f32_e32 v17, v17, v20
	v_exp_f32_e32 v16, v16
	v_cvt_i32_f32_e32 v21, v21
	v_exp_f32_e32 v17, v17
	v_cmp_ngt_f32_e32 vcc, s7, v13
	v_ldexp_f32 v16, v16, v19
	v_cndmask_b32_e32 v16, 0, v16, vcc
	v_ldexp_f32 v17, v17, v21
	v_cmp_ngt_f32_e32 vcc, s7, v15
	v_cndmask_b32_e32 v17, 0, v17, vcc
	v_cmp_nlt_f32_e32 vcc, s12, v13
	v_cndmask_b32_e32 v16, v12, v16, vcc
	v_cmp_nlt_f32_e32 vcc, s12, v15
	v_cndmask_b32_e32 v17, v12, v17, vcc
	v_cmp_le_f32_e32 vcc, s13, v13
	v_cndmask_b32_e32 v16, 0, v16, vcc
	v_cmp_le_f32_e32 vcc, s13, v15
	v_cndmask_b32_e32 v15, 0, v17, vcc
	v_mul_f32_e32 v13, s5, v15
	v_fmac_f32_e32 v13, v6, v16
	s_waitcnt vmcnt(0)
	v_mul_f32_e32 v14, v14, v15
	v_fmac_f32_e32 v14, v5, v16
	s_cbranch_execnz .LBB42_19
.LBB42_18:
	s_add_i32 s11, s8, -1
	s_mov_b64 s[0:1], 0
	v_mov_b32_e32 v0, v8
	v_mov_b32_e32 v13, v6
	;; [unrolled: 1-line block ×3, first 2 shown]
	s_waitcnt vmcnt(0)
	v_mov_b32_e32 v14, v5
.LBB42_19:
	s_andn2_b64 vcc, exec, s[0:1]
	s_cbranch_vccz .LBB42_23
; %bb.20:
	v_mov_b32_e32 v8, v0
	s_mov_b32 s8, s11
	v_mov_b32_e32 v6, v13
	v_mov_b32_e32 v7, v1
	s_waitcnt vmcnt(0)
	v_mov_b32_e32 v5, v14
	s_mul_hi_i32 s11, s8, s15
	s_cmp_lg_u64 s[10:11], 0
	s_mul_i32 s4, s8, s15
	s_cbranch_scc1 .LBB42_9
	s_branch .LBB42_15
.LBB42_21:
                                        ; implicit-def: $sgpr20_sgpr21
	s_load_dwordx4 s[16:19], s[4:5], 0x44
	s_branch .LBB42_2
.LBB42_22:
                                        ; implicit-def: $vgpr2_vgpr3
	s_branch .LBB42_5
.LBB42_23:
	v_div_scale_f32 v0, s[0:1], v13, v13, v14
	v_rcp_f32_e32 v1, v0
	v_div_scale_f32 v4, vcc, v14, v13, v14
	s_waitcnt vmcnt(0)
	v_fma_f32 v5, -v0, v1, 1.0
	v_fmac_f32_e32 v1, v5, v1
	v_mul_f32_e32 v5, v4, v1
	v_fma_f32 v6, -v0, v5, v4
	v_fmac_f32_e32 v5, v6, v1
	v_fma_f32 v0, -v0, v5, v4
	v_div_fmas_f32 v0, v0, v1, v5
	v_div_fixup_f32 v0, v0, v13, v14
	global_store_dword v[2:3], v0, off
.LBB42_24:
	s_endpgm
	.section	.rodata,"a",@progbits
	.p2align	6, 0x0
	.amdhsa_kernel _ZL33flash_attn_stream_k_fixup_generalILi64ELi8ELi2EEvPfPK15HIP_vector_typeIfLj2EEiiiiS1_IjLj3EES5_S5_S5_
		.amdhsa_group_segment_fixed_size 0
		.amdhsa_private_segment_fixed_size 0
		.amdhsa_kernarg_size 336
		.amdhsa_user_sgpr_count 6
		.amdhsa_user_sgpr_private_segment_buffer 1
		.amdhsa_user_sgpr_dispatch_ptr 0
		.amdhsa_user_sgpr_queue_ptr 0
		.amdhsa_user_sgpr_kernarg_segment_ptr 1
		.amdhsa_user_sgpr_dispatch_id 0
		.amdhsa_user_sgpr_flat_scratch_init 0
		.amdhsa_user_sgpr_kernarg_preload_length 0
		.amdhsa_user_sgpr_kernarg_preload_offset 0
		.amdhsa_user_sgpr_private_segment_size 0
		.amdhsa_uses_dynamic_stack 0
		.amdhsa_system_sgpr_private_segment_wavefront_offset 0
		.amdhsa_system_sgpr_workgroup_id_x 1
		.amdhsa_system_sgpr_workgroup_id_y 1
		.amdhsa_system_sgpr_workgroup_id_z 1
		.amdhsa_system_sgpr_workgroup_info 0
		.amdhsa_system_vgpr_workitem_id 0
		.amdhsa_next_free_vgpr 22
		.amdhsa_next_free_sgpr 32
		.amdhsa_accum_offset 24
		.amdhsa_reserve_vcc 1
		.amdhsa_reserve_flat_scratch 0
		.amdhsa_float_round_mode_32 0
		.amdhsa_float_round_mode_16_64 0
		.amdhsa_float_denorm_mode_32 3
		.amdhsa_float_denorm_mode_16_64 3
		.amdhsa_dx10_clamp 1
		.amdhsa_ieee_mode 1
		.amdhsa_fp16_overflow 0
		.amdhsa_tg_split 0
		.amdhsa_exception_fp_ieee_invalid_op 0
		.amdhsa_exception_fp_denorm_src 0
		.amdhsa_exception_fp_ieee_div_zero 0
		.amdhsa_exception_fp_ieee_overflow 0
		.amdhsa_exception_fp_ieee_underflow 0
		.amdhsa_exception_fp_ieee_inexact 0
		.amdhsa_exception_int_div_zero 0
	.end_amdhsa_kernel
	.section	.text._ZL33flash_attn_stream_k_fixup_generalILi64ELi8ELi2EEvPfPK15HIP_vector_typeIfLj2EEiiiiS1_IjLj3EES5_S5_S5_,"axG",@progbits,_ZL33flash_attn_stream_k_fixup_generalILi64ELi8ELi2EEvPfPK15HIP_vector_typeIfLj2EEiiiiS1_IjLj3EES5_S5_S5_,comdat
.Lfunc_end42:
	.size	_ZL33flash_attn_stream_k_fixup_generalILi64ELi8ELi2EEvPfPK15HIP_vector_typeIfLj2EEiiiiS1_IjLj3EES5_S5_S5_, .Lfunc_end42-_ZL33flash_attn_stream_k_fixup_generalILi64ELi8ELi2EEvPfPK15HIP_vector_typeIfLj2EEiiiiS1_IjLj3EES5_S5_S5_
                                        ; -- End function
	.section	.AMDGPU.csdata,"",@progbits
; Kernel info:
; codeLenInByte = 2824
; NumSgprs: 36
; NumVgprs: 22
; NumAgprs: 0
; TotalNumVgprs: 22
; ScratchSize: 0
; MemoryBound: 0
; FloatMode: 240
; IeeeMode: 1
; LDSByteSize: 0 bytes/workgroup (compile time only)
; SGPRBlocks: 4
; VGPRBlocks: 2
; NumSGPRsForWavesPerEU: 36
; NumVGPRsForWavesPerEU: 22
; AccumOffset: 24
; Occupancy: 8
; WaveLimiterHint : 0
; COMPUTE_PGM_RSRC2:SCRATCH_EN: 0
; COMPUTE_PGM_RSRC2:USER_SGPR: 6
; COMPUTE_PGM_RSRC2:TRAP_HANDLER: 0
; COMPUTE_PGM_RSRC2:TGID_X_EN: 1
; COMPUTE_PGM_RSRC2:TGID_Y_EN: 1
; COMPUTE_PGM_RSRC2:TGID_Z_EN: 1
; COMPUTE_PGM_RSRC2:TIDIG_COMP_CNT: 0
; COMPUTE_PGM_RSRC3_GFX90A:ACCUM_OFFSET: 5
; COMPUTE_PGM_RSRC3_GFX90A:TG_SPLIT: 0
	.section	.text._ZL15flash_attn_tileILi64ELi64ELi4ELi2ELb0EEvPKcS1_S1_S1_S1_PKiPfP15HIP_vector_typeIfLj2EEffffjfiS5_IjLj3EEiiiiiiiiiiiliiliiiiil,"axG",@progbits,_ZL15flash_attn_tileILi64ELi64ELi4ELi2ELb0EEvPKcS1_S1_S1_S1_PKiPfP15HIP_vector_typeIfLj2EEffffjfiS5_IjLj3EEiiiiiiiiiiiliiliiiiil,comdat
	.globl	_ZL15flash_attn_tileILi64ELi64ELi4ELi2ELb0EEvPKcS1_S1_S1_S1_PKiPfP15HIP_vector_typeIfLj2EEffffjfiS5_IjLj3EEiiiiiiiiiiiliiliiiiil ; -- Begin function _ZL15flash_attn_tileILi64ELi64ELi4ELi2ELb0EEvPKcS1_S1_S1_S1_PKiPfP15HIP_vector_typeIfLj2EEffffjfiS5_IjLj3EEiiiiiiiiiiiliiliiiiil
	.p2align	8
	.type	_ZL15flash_attn_tileILi64ELi64ELi4ELi2ELb0EEvPKcS1_S1_S1_S1_PKiPfP15HIP_vector_typeIfLj2EEffffjfiS5_IjLj3EEiiiiiiiiiiiliiliiiiil,@function
_ZL15flash_attn_tileILi64ELi64ELi4ELi2ELb0EEvPKcS1_S1_S1_S1_PKiPfP15HIP_vector_typeIfLj2EEffffjfiS5_IjLj3EEiiiiiiiiiiiliiliiiiil: ; @_ZL15flash_attn_tileILi64ELi64ELi4ELi2ELb0EEvPKcS1_S1_S1_S1_PKiPfP15HIP_vector_typeIfLj2EEffffjfiS5_IjLj3EEiiiiiiiiiiiliiliiiiil
; %bb.0:
	s_load_dwordx4 s[28:31], s[4:5], 0x5c
	s_load_dwordx2 s[36:37], s[4:5], 0x80
	s_load_dwordx16 s[12:27], s[4:5], 0x0
	s_mov_b64 s[38:39], 0
	s_waitcnt lgkmcnt(0)
	s_lshr_b32 s0, s31, 31
	s_add_i32 s0, s31, s0
	s_ashr_i32 s0, s0, 1
	v_cvt_f32_u32_e32 v1, s0
	s_sub_i32 s1, 0, s0
	v_rcp_iflag_f32_e32 v1, v1
	v_mul_f32_e32 v1, 0x4f7ffffe, v1
	v_cvt_u32_f32_e32 v1, v1
	v_readfirstlane_b32 s2, v1
	s_mul_i32 s1, s1, s2
	s_mul_hi_u32 s1, s2, s1
	s_add_i32 s2, s2, s1
	s_mul_hi_u32 s1, s8, s2
	s_mul_i32 s2, s1, s0
	s_sub_i32 s2, s8, s2
	s_add_i32 s3, s1, 1
	s_sub_i32 s9, s2, s0
	s_cmp_ge_u32 s2, s0
	s_cselect_b32 s1, s3, s1
	s_cselect_b32 s2, s9, s2
	s_add_i32 s3, s1, 1
	s_cmp_ge_u32 s2, s0
	s_cselect_b32 s33, s3, s1
	s_abs_i32 s0, s37
	v_cvt_f32_u32_e32 v1, s0
	s_lshl_b32 s1, s8, 1
	s_mul_i32 s8, s33, s31
	s_sub_i32 s9, 0, s0
	v_rcp_iflag_f32_e32 v1, v1
	s_sub_i32 s34, s1, s8
	s_abs_i32 s3, s31
	s_xor_b32 s2, s31, s37
	v_mul_f32_e32 v1, 0x4f7ffffe, v1
	v_cvt_u32_f32_e32 v1, v1
	s_ashr_i32 s2, s2, 31
	v_readfirstlane_b32 s1, v1
	s_mul_i32 s9, s9, s1
	s_mul_hi_u32 s8, s1, s9
	s_add_i32 s1, s1, s8
	s_mul_hi_u32 s1, s3, s1
	s_mul_i32 s8, s1, s0
	s_sub_i32 s3, s3, s8
	s_add_i32 s9, s1, 1
	s_sub_i32 s8, s3, s0
	s_cmp_ge_u32 s3, s0
	s_cselect_b32 s1, s9, s1
	s_cselect_b32 s3, s8, s3
	s_add_i32 s8, s1, 1
	s_cmp_ge_u32 s3, s0
	s_cselect_b32 s0, s8, s1
	s_xor_b32 s0, s0, s2
	s_sub_i32 s11, s0, s2
	s_abs_i32 s10, s11
	v_cvt_f32_u32_e32 v1, s10
	s_load_dwordx2 s[8:9], s[4:5], 0xb8
	s_cmp_eq_u64 s[18:19], 0
	v_rcp_iflag_f32_e32 v1, v1
	v_mul_f32_e32 v1, 0x4f7ffffe, v1
	v_cvt_u32_f32_e32 v1, v1
	v_readfirstlane_b32 s35, v1
	s_cbranch_scc1 .LBB43_2
; %bb.1:
	s_waitcnt lgkmcnt(0)
	s_abs_i32 s2, s8
	v_cvt_f32_u32_e32 v1, s2
	s_sub_i32 s37, 0, s2
	s_abs_i32 s8, s33
	s_ashr_i32 s3, s33, 31
	v_rcp_iflag_f32_e32 v1, v1
	s_load_dwordx2 s[0:1], s[4:5], 0xc8
	v_mul_f32_e32 v1, 0x4f7ffffe, v1
	v_cvt_u32_f32_e32 v1, v1
	v_readfirstlane_b32 s38, v1
	s_mul_i32 s37, s37, s38
	s_mul_hi_u32 s37, s38, s37
	s_add_i32 s38, s38, s37
	s_mul_hi_u32 s37, s8, s38
	s_mul_i32 s37, s37, s2
	s_sub_i32 s8, s8, s37
	s_sub_i32 s37, s8, s2
	s_cmp_ge_u32 s8, s2
	s_cselect_b32 s8, s37, s8
	s_sub_i32 s37, s8, s2
	s_cmp_ge_u32 s8, s2
	s_cselect_b32 s2, s37, s8
	s_xor_b32 s2, s2, s3
	s_sub_i32 s2, s2, s3
	s_ashr_i32 s3, s2, 31
	s_waitcnt lgkmcnt(0)
	s_mul_i32 s1, s2, s1
	s_mul_hi_u32 s8, s2, s0
	s_add_i32 s1, s8, s1
	s_mul_i32 s3, s3, s0
	s_add_i32 s1, s1, s3
	s_mul_i32 s2, s2, s0
	s_add_u32 s38, s18, s2
	s_addc_u32 s39, s19, s1
.LBB43_2:
	s_load_dwordx4 s[0:3], s[4:5], 0x70
	v_bfe_u32 v6, v0, 10, 10
	v_lshl_add_u32 v1, s6, 2, v6
	v_mul_hi_u32 v2, s28, v1
	v_add_u32_e32 v2, v1, v2
	s_waitcnt lgkmcnt(0)
	s_mul_i32 s2, s33, s2
	s_ashr_i32 s8, s2, 31
	s_mul_i32 s3, s34, s1
	s_add_u32 s2, s12, s2
	s_addc_u32 s8, s13, s8
	s_ashr_i32 s12, s3, 31
	v_lshrrev_b32_e32 v2, s29, v2
	s_add_u32 s13, s2, s3
	v_mul_lo_u32 v2, v2, s30
	s_addc_u32 s8, s8, s12
	v_sub_u32_e32 v4, v1, v2
	s_ashr_i32 s18, s0, 31
	v_mov_b32_e32 v2, s0
	v_alignbit_b32 v2, s18, v2, 2
	v_mad_u64_u32 v[2:3], s[2:3], v2, v4, 0
	v_mov_b32_e32 v8, v3
	s_lshr_b32 s0, s18, 2
	v_mad_u64_u32 v[8:9], s[2:3], s0, v4, v[8:9]
	v_mov_b32_e32 v3, v8
	v_lshlrev_b64 v[2:3], 2, v[2:3]
	v_and_b32_e32 v0, 0x3ff, v0
	v_mov_b32_e32 v5, s8
	v_add_co_u32_e32 v2, vcc, s13, v2
	v_addc_co_u32_e32 v3, vcc, v5, v3, vcc
	v_lshlrev_b32_e32 v5, 3, v0
	v_add_co_u32_e32 v2, vcc, v2, v5
	s_ashr_i32 s12, s1, 31
	v_addc_co_u32_e32 v3, vcc, 0, v3, vcc
	s_and_b32 s0, s1, -4
	global_load_dwordx2 v[8:9], v[2:3], off
	v_mov_b32_e32 v5, s12
	v_add_co_u32_e32 v2, vcc, s0, v2
	v_addc_co_u32_e32 v3, vcc, v3, v5, vcc
	global_load_dwordx2 v[2:3], v[2:3], off
	s_load_dword s0, s[4:5], 0x40
	v_lshlrev_b32_e32 v5, 6, v6
	v_add_lshl_u32 v5, v5, v0, 2
	v_add_u32_e32 v5, 0x1000, v5
	s_cmp_eq_u64 s[22:23], 0
	s_waitcnt vmcnt(1) lgkmcnt(0)
	v_fma_mixlo_f16 v7, v8, s0, 0
	v_fma_mixhi_f16 v7, v9, s0, 0
	s_waitcnt vmcnt(0)
	v_fma_mixlo_f16 v2, v2, s0, 0
	v_fma_mixhi_f16 v2, v3, s0, 0
	ds_write2_b32 v5, v7, v2 offset0:128 offset1:160
	s_waitcnt lgkmcnt(0)
	s_barrier
	s_cbranch_scc1 .LBB43_4
; %bb.3:
	s_load_dword s0, s[4:5], 0xd0
	s_mov_b32 s1, 0
	s_waitcnt lgkmcnt(0)
	s_mul_i32 s0, s0, s33
	s_add_i32 s0, s0, s6
	s_lshl_b64 s[0:1], s[0:1], 2
	s_add_u32 s0, s22, s0
	s_addc_u32 s1, s23, s1
	s_load_dword s36, s[0:1], 0x0
.LBB43_4:
	s_lshl_b32 s22, s7, 5
	s_waitcnt lgkmcnt(0)
	s_cmp_lt_i32 s22, s36
	v_mbcnt_lo_u32_b32 v10, -1, 0
	s_cbranch_scc1 .LBB43_6
; %bb.5:
	v_mbcnt_hi_u32_b32 v19, -1, v10
	v_and_b32_e32 v2, 0x60, v19
	s_mov_b32 s0, 0xfeffffff
	s_mov_b32 s6, 0
	v_add_u32_e32 v20, 32, v2
	v_xor_b32_e32 v25, 16, v19
	v_xor_b32_e32 v24, 8, v19
	;; [unrolled: 1-line block ×5, first 2 shown]
	s_mov_b32 s1, s0
	s_mov_b64 s[2:3], 0
	s_branch .LBB43_7
.LBB43_6:
	s_mov_b64 s[2:3], -1
                                        ; implicit-def: $sgpr6
                                        ; implicit-def: $sgpr0_sgpr1
                                        ; implicit-def: $vgpr19
                                        ; implicit-def: $vgpr20
                                        ; implicit-def: $vgpr25
                                        ; implicit-def: $vgpr24
                                        ; implicit-def: $vgpr23
                                        ; implicit-def: $vgpr22
                                        ; implicit-def: $vgpr21
.LBB43_7:
	s_andn2_b64 vcc, exec, s[2:3]
	v_mov_b32_e32 v3, s6
	v_pk_mov_b32 v[16:17], s[0:1], s[0:1] op_sel:[0,1]
	v_mov_b32_e32 v5, s6
	v_mov_b32_e32 v2, s6
	;; [unrolled: 1-line block ×3, first 2 shown]
	s_cbranch_vccnz .LBB43_10
; %bb.8:
	s_sub_i32 s0, 0, s10
	s_mul_i32 s0, s0, s35
	s_mul_hi_u32 s0, s35, s0
	s_add_i32 s35, s35, s0
	s_load_dwordx2 s[12:13], s[4:5], 0x8c
	s_load_dwordx4 s[0:3], s[4:5], 0x98
	s_abs_i32 s6, s34
	s_mul_hi_u32 s8, s6, s35
	s_ashr_i32 s29, s34, 31
	s_waitcnt lgkmcnt(0)
	s_ashr_i32 s28, s12, 2
	s_ashr_i32 s23, s2, 2
	;; [unrolled: 1-line block ×4, first 2 shown]
	s_mul_i32 s1, s33, s1
	s_mul_hi_u32 s12, s33, s0
	s_add_i32 s1, s12, s1
	s_mul_i32 s12, s9, s0
	s_ashr_i32 s11, s11, 31
	s_add_i32 s1, s1, s12
	s_mul_i32 s0, s33, s0
	s_add_u32 s0, s14, s0
	s_mul_i32 s12, s8, s10
	s_addc_u32 s1, s15, s1
	s_sub_i32 s6, s6, s12
	s_xor_b32 s11, s29, s11
	s_add_i32 s12, s8, 1
	s_sub_i32 s14, s6, s10
	s_cmp_ge_u32 s6, s10
	s_cselect_b32 s8, s12, s8
	s_cselect_b32 s6, s14, s6
	s_add_i32 s12, s8, 1
	s_cmp_ge_u32 s6, s10
	s_cselect_b32 s6, s12, s8
	s_load_dwordx2 s[18:19], s[4:5], 0xa8
	s_xor_b32 s6, s6, s11
	s_sub_i32 s6, s6, s11
	s_mul_i32 s8, s6, s13
	s_ashr_i32 s10, s8, 31
	s_add_u32 s29, s0, s8
	s_addc_u32 s35, s1, s10
	s_waitcnt lgkmcnt(0)
	s_mul_i32 s0, s33, s19
	s_mul_hi_u32 s1, s33, s18
	s_add_i32 s0, s1, s0
	s_mul_i32 s9, s9, s18
	s_add_i32 s0, s0, s9
	s_mul_i32 s1, s33, s18
	s_add_u32 s1, s16, s1
	s_mul_i32 s6, s6, s3
	s_addc_u32 s0, s17, s0
	s_ashr_i32 s3, s6, 31
	v_lshrrev_b32_e32 v2, 3, v0
	v_lshlrev_b32_e32 v26, 2, v0
	s_add_u32 s37, s1, s6
	v_lshl_add_u32 v3, v6, 2, v2
	v_and_b32_e32 v2, 28, v26
	s_addc_u32 s40, s0, s3
	v_lshlrev_b32_e32 v7, 2, v2
	s_movk_i32 s0, 0x90
	v_mov_b32_e32 v5, 0x1200
	v_mad_u32_u24 v27, v3, s0, v7
	v_mul_lo_u32 v8, s28, v3
	v_lshl_add_u32 v30, v6, 8, v5
	v_mad_u64_u32 v[4:5], s[0:1], v4, s2, v[0:1]
	v_mul_lo_u32 v16, s23, v3
	v_lshl_add_u32 v12, s28, 4, v8
	v_mov_b32_e32 v5, 0x1600
	v_lshl_add_u32 v38, s23, 4, v16
	v_mbcnt_hi_u32_b32 v19, -1, v10
	v_mov_b32_e32 v18, 0
	v_ashrrev_i32_e32 v9, 31, v8
	v_ashrrev_i32_e32 v13, 31, v12
	v_lshl_add_u32 v31, v6, 7, v5
	v_lshl_or_b32 v32, v3, 7, v7
	v_ashrrev_i32_e32 v17, 31, v16
	v_ashrrev_i32_e32 v39, 31, v38
	s_add_u32 s18, s4, 0xd0
	v_mov_b32_e32 v14, 0xfeffffff
	v_lshlrev_b32_e32 v34, 2, v2
	v_and_b32_e32 v2, 0x60, v19
	v_add_u32_e32 v28, 0x900, v27
	v_mul_u32_u24_e32 v29, 0x90, v0
	v_add_u32_e32 v33, 0x800, v32
	s_addc_u32 s19, s5, 0
	v_lshlrev_b64 v[6:7], 2, v[8:9]
	v_lshlrev_b64 v[8:9], 2, v[12:13]
	v_mov_b32_e32 v35, s39
	v_add_u32_e32 v20, 32, v2
	v_xor_b32_e32 v25, 16, v19
	v_xor_b32_e32 v24, 8, v19
	;; [unrolled: 1-line block ×5, first 2 shown]
	s_mov_b32 s6, 0x40051340
	s_mov_b32 s39, 0x3fb8aa3b
	s_mov_b32 s41, 0xc2ce8ed0
	s_mov_b32 s42, 0x42b17218
	v_mov_b32_e32 v36, 0x7f800000
	v_add_u32_e32 v37, v31, v26
	v_lshlrev_b64 v[10:11], 2, v[16:17]
	v_lshlrev_b64 v[12:13], 2, v[38:39]
	v_add_u32_e32 v38, 0x400, v26
	v_add_u32_e32 v39, 0x800, v26
	v_add_u32_e32 v40, 0xc00, v26
	v_mov_b32_e32 v5, 0
	v_mov_b32_e32 v15, v14
	;; [unrolled: 1-line block ×4, first 2 shown]
.LBB43_9:                               ; =>This Inner Loop Header: Depth=1
	s_mul_hi_i32 s13, s22, s28
	s_mul_i32 s12, s22, s28
	v_add_u32_e32 v42, s22, v4
	v_cmp_lt_i32_e64 s[0:1], v24, v20
	v_cmp_lt_i32_e64 s[2:3], v23, v20
	v_cndmask_b32_e64 v45, v19, v24, s[0:1]
	s_lshl_b64 s[0:1], s[12:13], 2
	v_ashrrev_i32_e32 v43, 31, v42
	v_cmp_lt_i32_e32 vcc, v25, v20
	v_cmp_lt_i32_e64 s[8:9], v21, v20
	v_cndmask_b32_e64 v46, v19, v23, s[2:3]
	s_add_u32 s2, s29, s0
	v_lshlrev_b64 v[42:43], 1, v[42:43]
	v_cmp_lt_i32_e64 s[10:11], v22, v20
	s_mul_hi_i32 s15, s22, s23
	s_mul_i32 s14, s22, s23
	v_cndmask_b32_e32 v44, v19, v25, vcc
	v_cndmask_b32_e64 v48, v19, v21, s[8:9]
	s_addc_u32 s8, s35, s1
	v_add_co_u32_e32 v54, vcc, s38, v42
	v_cndmask_b32_e64 v47, v19, v22, s[10:11]
	v_lshlrev_b32_e32 v61, 2, v44
	v_lshlrev_b32_e32 v62, 2, v45
	s_lshl_b64 s[10:11], s[14:15], 2
	v_add_co_u32_e64 v42, s[0:1], s2, v8
	v_add_co_u32_e64 v44, s[2:3], s2, v6
	v_addc_co_u32_e32 v55, vcc, v35, v43, vcc
	v_mov_b32_e32 v43, s8
	v_mov_b32_e32 v45, s8
	s_add_u32 s10, s37, s10
	v_add_co_u32_e32 v50, vcc, v42, v34
	v_add_co_u32_e64 v52, s[8:9], v44, v34
	v_addc_co_u32_e64 v42, s[2:3], v43, v7, s[2:3]
	v_addc_co_u32_e64 v43, s[0:1], v45, v9, s[0:1]
	v_add_co_u32_e64 v44, s[0:1], s10, v10
	v_add_co_u32_e64 v45, s[2:3], s10, v12
	v_addc_co_u32_e64 v53, s[8:9], 0, v42, s[8:9]
	v_addc_co_u32_e32 v51, vcc, 0, v43, vcc
	v_lshlrev_b32_e32 v63, 2, v46
	v_lshlrev_b32_e32 v64, 2, v47
	;; [unrolled: 1-line block ×3, first 2 shown]
	v_add_co_u32_e32 v56, vcc, v45, v34
	v_add_co_u32_e64 v58, s[8:9], v44, v34
	global_load_dwordx4 v[42:45], v[52:53], off
	global_load_dwordx4 v[46:49], v[50:51], off
	s_addc_u32 s11, s40, s11
	v_mov_b32_e32 v57, s11
	v_mov_b32_e32 v59, s11
	v_addc_co_u32_e64 v50, s[0:1], v57, v11, s[0:1]
	v_addc_co_u32_e64 v51, s[0:1], v59, v13, s[2:3]
	;; [unrolled: 1-line block ×3, first 2 shown]
	v_addc_co_u32_e32 v57, vcc, 0, v51, vcc
	v_mov_b32_e32 v16, 0
	v_mov_b32_e32 v17, 0
	v_max_f32_e32 v41, v15, v15
	v_max_f32_e32 v60, v14, v14
	s_waitcnt vmcnt(1)
	ds_write_b128 v27, v[42:45]
	s_waitcnt vmcnt(0)
	ds_write_b128 v28, v[46:49]
	s_waitcnt lgkmcnt(0)
	s_barrier
	ds_read_b128 v[42:45], v29
	ds_read_b128 v[46:49], v30
	ds_read_b128 v[50:53], v30 offset:128
	s_waitcnt lgkmcnt(1)
	;;#ASMSTART
	v_dot2_f32_f16 v16, v42, v46, v16
	;;#ASMEND
	;;#ASMSTART
	v_dot2_f32_f16 v16, v43, v47, v16
	;;#ASMEND
	;;#ASMSTART
	v_dot2_f32_f16 v16, v44, v48, v16
	;;#ASMEND
	;;#ASMSTART
	v_dot2_f32_f16 v16, v45, v49, v16
	;;#ASMEND
	s_waitcnt lgkmcnt(0)
	;;#ASMSTART
	v_dot2_f32_f16 v17, v42, v50, v17
	;;#ASMEND
	;;#ASMSTART
	v_dot2_f32_f16 v17, v43, v51, v17
	;;#ASMEND
	;;#ASMSTART
	v_dot2_f32_f16 v17, v44, v52, v17
	;;#ASMEND
	;;#ASMSTART
	v_dot2_f32_f16 v17, v45, v53, v17
	;;#ASMEND
	ds_read_b128 v[42:45], v29 offset:16
	ds_read_b128 v[46:49], v30 offset:16
	ds_read_b128 v[50:53], v30 offset:144
	s_waitcnt lgkmcnt(1)
	;;#ASMSTART
	v_dot2_f32_f16 v16, v42, v46, v16
	;;#ASMEND
	;;#ASMSTART
	v_dot2_f32_f16 v16, v43, v47, v16
	;;#ASMEND
	;;#ASMSTART
	v_dot2_f32_f16 v16, v44, v48, v16
	;;#ASMEND
	;;#ASMSTART
	v_dot2_f32_f16 v16, v45, v49, v16
	;;#ASMEND
	s_waitcnt lgkmcnt(0)
	;;#ASMSTART
	v_dot2_f32_f16 v17, v42, v50, v17
	;;#ASMEND
	;;#ASMSTART
	v_dot2_f32_f16 v17, v43, v51, v17
	;;#ASMEND
	;;#ASMSTART
	v_dot2_f32_f16 v17, v44, v52, v17
	;;#ASMEND
	;;#ASMSTART
	v_dot2_f32_f16 v17, v45, v53, v17
	;;#ASMEND
	ds_read_b128 v[42:45], v29 offset:32
	ds_read_b128 v[46:49], v30 offset:32
	;; [unrolled: 29-line block ×7, first 2 shown]
	ds_read_b128 v[50:53], v30 offset:240
	s_waitcnt lgkmcnt(1)
	;;#ASMSTART
	v_dot2_f32_f16 v16, v42, v46, v16
	;;#ASMEND
	;;#ASMSTART
	v_dot2_f32_f16 v16, v43, v47, v16
	;;#ASMEND
	;; [unrolled: 3-line block ×4, first 2 shown]
	s_waitcnt lgkmcnt(0)
	;;#ASMSTART
	v_dot2_f32_f16 v17, v42, v50, v17
	;;#ASMEND
	;;#ASMSTART
	v_dot2_f32_f16 v17, v43, v51, v17
	;;#ASMEND
	;; [unrolled: 3-line block ×4, first 2 shown]
	flat_load_ushort v50, v[54:55]
	s_waitcnt lgkmcnt(0)
	s_barrier
	global_load_dwordx4 v[42:45], v[58:59], off
	global_load_dwordx4 v[46:49], v[56:57], off
	s_waitcnt vmcnt(0)
	v_cvt_f32_f16_e32 v50, v50
	v_pk_add_f32 v[50:51], v[16:17], v[50:51] op_sel_hi:[1,0]
	v_pk_add_f32 v[16:17], v[50:51], s[6:7] op_sel_hi:[1,0]
	v_max_f32_e32 v17, v41, v17
	v_max_f32_e32 v16, v60, v16
	ds_bpermute_b32 v41, v61, v17
	ds_bpermute_b32 v52, v61, v16
	s_waitcnt lgkmcnt(1)
	v_max_f32_e32 v41, v41, v41
	s_waitcnt lgkmcnt(0)
	v_max_f32_e32 v52, v52, v52
	v_max_f32_e32 v17, v17, v41
	v_max_f32_e32 v16, v16, v52
	ds_bpermute_b32 v41, v62, v17
	ds_bpermute_b32 v52, v62, v16
	s_waitcnt lgkmcnt(1)
	v_max_f32_e32 v41, v41, v41
	s_waitcnt lgkmcnt(0)
	v_max_f32_e32 v52, v52, v52
	;; [unrolled: 8-line block ×5, first 2 shown]
	v_max_f32_e32 v17, v17, v41
	v_max_f32_e32 v16, v16, v52
	v_pk_add_f32 v[50:51], v[50:51], v[16:17] neg_lo:[0,1] neg_hi:[0,1]
	v_pk_add_f32 v[52:53], v[14:15], v[16:17] neg_lo:[0,1] neg_hi:[0,1]
	v_mul_f32_e32 v41, 0x3fb8aa3b, v51
	v_mul_f32_e32 v54, 0x3fb8aa3b, v50
	;; [unrolled: 1-line block ×3, first 2 shown]
	v_fma_f32 v57, v51, s39, -v41
	v_rndne_f32_e32 v58, v41
	v_fma_f32 v59, v50, s39, -v54
	v_rndne_f32_e32 v60, v54
	v_mul_f32_e32 v56, 0x3fb8aa3b, v52
	v_cmp_ngt_f32_e32 vcc, s41, v50
	v_cmp_nlt_f32_e64 s[10:11], s42, v50
	v_fma_f32 v61, v53, s39, -v55
	v_rndne_f32_e32 v62, v55
	v_fmac_f32_e32 v57, 0x32a5705f, v51
	v_sub_f32_e32 v41, v41, v58
	v_fmac_f32_e32 v59, 0x32a5705f, v50
	v_sub_f32_e32 v50, v54, v60
	v_cmp_ngt_f32_e64 s[0:1], s41, v53
	v_cmp_nlt_f32_e64 s[12:13], s42, v53
	v_fma_f32 v63, v52, s39, -v56
	v_rndne_f32_e32 v64, v56
	v_fmac_f32_e32 v61, 0x32a5705f, v53
	v_sub_f32_e32 v53, v55, v62
	v_add_f32_e32 v41, v41, v57
	v_add_f32_e32 v50, v50, v59
	v_cmp_ngt_f32_e64 s[2:3], s41, v52
	v_cmp_ngt_f32_e64 s[8:9], s41, v51
	v_cmp_nlt_f32_e64 s[14:15], s42, v52
	v_cmp_nlt_f32_e64 s[16:17], s42, v51
	v_cvt_i32_f32_e32 v51, v58
	v_cvt_i32_f32_e32 v54, v60
	v_fmac_f32_e32 v63, 0x32a5705f, v52
	v_sub_f32_e32 v52, v56, v64
	v_add_f32_e32 v53, v53, v61
	v_exp_f32_e32 v41, v41
	v_exp_f32_e32 v50, v50
	v_cvt_i32_f32_e32 v55, v62
	v_add_f32_e32 v52, v52, v63
	v_exp_f32_e32 v53, v53
	v_cvt_i32_f32_e32 v56, v64
	v_exp_f32_e32 v52, v52
	v_ldexp_f32 v41, v41, v51
	v_ldexp_f32 v50, v50, v54
	;; [unrolled: 1-line block ×3, first 2 shown]
	v_cndmask_b32_e64 v41, 0, v41, s[8:9]
	v_cndmask_b32_e32 v50, 0, v50, vcc
	v_ldexp_f32 v52, v52, v56
	v_cndmask_b32_e64 v53, 0, v51, s[0:1]
	v_cndmask_b32_e64 v51, v36, v41, s[16:17]
	;; [unrolled: 1-line block ×4, first 2 shown]
	v_cvt_f16_f32_e32 v41, v51
	v_cvt_f16_f32_e32 v54, v50
	v_cndmask_b32_e64 v52, v36, v52, s[14:15]
	v_cndmask_b32_e64 v53, v36, v53, s[12:13]
	v_cvt_f16_f32_e32 v64, v52
	v_cvt_f16_f32_e32 v65, v53
	v_pack_b32_f16 v41, v54, v41
	v_pk_fma_f32 v[2:3], v[2:3], v[52:53], v[50:51]
	ds_write_b32 v37, v41
	ds_write_b128 v32, v[42:45]
	ds_write_b128 v33, v[46:49]
	s_waitcnt lgkmcnt(0)
	s_barrier
	ds_read2_b32 v[62:63], v26 offset1:32
	ds_read_b128 v[42:45], v31
	ds_read_b128 v[46:49], v31 offset:16
	ds_read_b128 v[50:53], v31 offset:32
	;; [unrolled: 1-line block ×3, first 2 shown]
	ds_read2_b32 v[66:67], v26 offset0:64 offset1:96
	ds_read2_b32 v[68:69], v26 offset0:128 offset1:160
	;; [unrolled: 1-line block ×3, first 2 shown]
	ds_read2_b32 v[72:73], v38 offset1:32
	ds_read2_b32 v[74:75], v38 offset0:64 offset1:96
	ds_read2_b32 v[76:77], v38 offset0:128 offset1:160
	;; [unrolled: 1-line block ×3, first 2 shown]
	ds_read2_b32 v[80:81], v39 offset1:32
	ds_read2_b32 v[82:83], v39 offset0:64 offset1:96
	ds_read2_b32 v[84:85], v39 offset0:128 offset1:160
	ds_read_b128 v[58:61], v31 offset:64
	s_waitcnt lgkmcnt(14)
	v_pk_mul_f16 v41, v62, v42 op_sel_hi:[1,0]
	v_pk_fma_f16 v5, v64, v5, v41 op_sel_hi:[0,1,1]
	v_pk_mul_f16 v41, v62, v42 op_sel:[0,1]
	v_pk_fma_f16 v18, v18, v65, v41 op_sel_hi:[1,0,1]
	v_pk_fma_f16 v5, v63, v43, v5 op_sel_hi:[1,0,1]
	v_pk_fma_f16 v18, v63, v43, v18 op_sel:[0,1,0]
	s_waitcnt lgkmcnt(10)
	v_pk_fma_f16 v5, v66, v44, v5 op_sel_hi:[1,0,1]
	v_pk_fma_f16 v18, v66, v44, v18 op_sel:[0,1,0]
	v_pk_fma_f16 v5, v67, v45, v5 op_sel_hi:[1,0,1]
	v_pk_fma_f16 v18, v67, v45, v18 op_sel:[0,1,0]
	s_waitcnt lgkmcnt(9)
	v_pk_fma_f16 v5, v68, v46, v5 op_sel_hi:[1,0,1]
	v_pk_fma_f16 v18, v68, v46, v18 op_sel:[0,1,0]
	;; [unrolled: 5-line block ×7, first 2 shown]
	ds_read_b128 v[62:65], v31 offset:80
	v_pk_fma_f16 v5, v79, v57, v5 op_sel_hi:[1,0,1]
	v_pk_fma_f16 v18, v79, v57, v18 op_sel:[0,1,0]
	s_waitcnt lgkmcnt(1)
	v_pk_fma_f16 v5, v80, v58, v5 op_sel_hi:[1,0,1]
	v_pk_fma_f16 v18, v80, v58, v18 op_sel:[0,1,0]
	v_pk_fma_f16 v5, v81, v59, v5 op_sel_hi:[1,0,1]
	v_pk_fma_f16 v18, v81, v59, v18 op_sel:[0,1,0]
	;; [unrolled: 2-line block ×3, first 2 shown]
	ds_read2_b32 v[66:67], v39 offset0:192 offset1:224
	ds_read2_b32 v[86:87], v40 offset1:32
	ds_read2_b32 v[88:89], v40 offset0:64 offset1:96
	ds_read_b128 v[42:45], v31 offset:96
	ds_read_b128 v[46:49], v31 offset:112
	v_pk_fma_f16 v5, v83, v61, v5 op_sel_hi:[1,0,1]
	v_pk_fma_f16 v18, v83, v61, v18 op_sel:[0,1,0]
	s_waitcnt lgkmcnt(5)
	v_pk_fma_f16 v5, v84, v62, v5 op_sel_hi:[1,0,1]
	v_pk_fma_f16 v18, v84, v62, v18 op_sel:[0,1,0]
	v_pk_fma_f16 v5, v85, v63, v5 op_sel_hi:[1,0,1]
	v_pk_fma_f16 v18, v85, v63, v18 op_sel:[0,1,0]
	s_waitcnt lgkmcnt(4)
	v_pk_fma_f16 v5, v66, v64, v5 op_sel_hi:[1,0,1]
	v_pk_fma_f16 v18, v66, v64, v18 op_sel:[0,1,0]
	ds_read2_b32 v[68:69], v40 offset0:128 offset1:160
	v_pk_fma_f16 v5, v67, v65, v5 op_sel_hi:[1,0,1]
	v_pk_fma_f16 v18, v67, v65, v18 op_sel:[0,1,0]
	ds_read2_b32 v[50:51], v40 offset0:192 offset1:224
	s_waitcnt lgkmcnt(0)
	s_barrier
	s_load_dword s0, s[18:19], 0x4
	v_pk_fma_f16 v5, v86, v42, v5 op_sel_hi:[1,0,1]
	v_pk_fma_f16 v18, v86, v42, v18 op_sel:[0,1,0]
	v_pk_fma_f16 v5, v87, v43, v5 op_sel_hi:[1,0,1]
	v_pk_fma_f16 v18, v87, v43, v18 op_sel:[0,1,0]
	v_pk_fma_f16 v5, v88, v44, v5 op_sel_hi:[1,0,1]
	v_pk_fma_f16 v18, v88, v44, v18 op_sel:[0,1,0]
	v_pk_fma_f16 v5, v89, v45, v5 op_sel_hi:[1,0,1]
	v_pk_fma_f16 v18, v89, v45, v18 op_sel:[0,1,0]
	v_pk_fma_f16 v5, v68, v46, v5 op_sel_hi:[1,0,1]
	v_pk_fma_f16 v18, v68, v46, v18 op_sel:[0,1,0]
	s_waitcnt lgkmcnt(0)
	s_lshl_b32 s0, s0, 5
	v_pk_fma_f16 v5, v69, v47, v5 op_sel_hi:[1,0,1]
	v_pk_fma_f16 v18, v69, v47, v18 op_sel:[0,1,0]
	s_add_i32 s22, s0, s22
	v_pk_fma_f16 v5, v50, v48, v5 op_sel_hi:[1,0,1]
	v_pk_fma_f16 v18, v50, v48, v18 op_sel:[0,1,0]
	v_mov_b32_e32 v14, v16
	v_mov_b32_e32 v15, v17
	s_cmp_ge_i32 s22, s36
	v_pk_fma_f16 v5, v51, v49, v5 op_sel_hi:[1,0,1]
	v_pk_fma_f16 v18, v51, v49, v18 op_sel:[0,1,0]
	s_cbranch_scc0 .LBB43_9
.LBB43_10:
	v_cmp_lt_i32_e32 vcc, v25, v20
	v_cndmask_b32_e32 v4, v19, v25, vcc
	v_lshlrev_b32_e32 v4, 2, v4
	ds_bpermute_b32 v8, v4, v2
	ds_bpermute_b32 v9, v4, v3
	v_cmp_lt_i32_e32 vcc, v24, v20
	v_cndmask_b32_e32 v4, v19, v24, vcc
	v_lshlrev_b32_e32 v4, 2, v4
	v_cmp_lt_i32_e32 vcc, v23, v20
	s_waitcnt lgkmcnt(0)
	v_pk_add_f32 v[2:3], v[2:3], v[8:9]
	ds_bpermute_b32 v8, v4, v2
	ds_bpermute_b32 v9, v4, v3
	v_cndmask_b32_e32 v4, v19, v23, vcc
	v_lshlrev_b32_e32 v4, 2, v4
	v_cmp_lt_i32_e32 vcc, v22, v20
	s_cmp_lg_u64 s[20:21], 0
	s_waitcnt lgkmcnt(0)
	v_pk_add_f32 v[2:3], v[2:3], v[8:9]
	ds_bpermute_b32 v8, v4, v2
	ds_bpermute_b32 v9, v4, v3
	v_cndmask_b32_e32 v4, v19, v22, vcc
	v_lshlrev_b32_e32 v4, 2, v4
	v_cmp_lt_i32_e32 vcc, v21, v20
	s_cselect_b64 s[0:1], -1, 0
	s_waitcnt lgkmcnt(0)
	v_pk_add_f32 v[2:3], v[2:3], v[8:9]
	ds_bpermute_b32 v8, v4, v2
	ds_bpermute_b32 v9, v4, v3
	v_cndmask_b32_e32 v4, v19, v21, vcc
	v_lshlrev_b32_e32 v4, 2, v4
	s_cmp_eq_u32 s7, 0
	s_cselect_b64 s[2:3], -1, 0
	s_waitcnt lgkmcnt(0)
	v_pk_add_f32 v[2:3], v[2:3], v[8:9]
	ds_bpermute_b32 v8, v4, v2
	ds_bpermute_b32 v9, v4, v3
	s_and_b64 s[0:1], s[2:3], s[0:1]
	v_lshlrev_b32_e32 v6, 1, v0
	s_and_b64 vcc, exec, s[0:1]
	s_waitcnt lgkmcnt(0)
	v_pk_add_f32 v[2:3], v[2:3], v[8:9]
	s_cbranch_vccz .LBB43_12
; %bb.11:
	s_ashr_i32 s35, s34, 31
	s_lshl_b64 s[0:1], s[34:35], 2
	s_add_u32 s0, s20, s0
	s_addc_u32 s1, s21, s1
	v_mov_b32_e32 v4, 0
	global_load_dwordx2 v[8:9], v4, s[0:1]
	v_max_f32_e32 v4, v17, v17
	v_max_f32_e32 v7, v16, v16
	s_mov_b32 s0, 0x3fb8aa3b
	s_mov_b32 s1, 0xc2ce8ed0
	;; [unrolled: 1-line block ×3, first 2 shown]
	v_mov_b32_e32 v14, 0x7f800000
	s_waitcnt vmcnt(0)
	v_max_f32_e32 v10, v9, v9
	v_max_f32_e32 v12, v8, v8
	;; [unrolled: 1-line block ×4, first 2 shown]
	v_pk_add_f32 v[12:13], v[16:17], v[10:11] neg_lo:[0,1] neg_hi:[0,1]
	v_mul_f32_e32 v4, 0x3fb8aa3b, v13
	v_pk_add_f32 v[8:9], v[8:9], v[10:11] neg_lo:[0,1] neg_hi:[0,1]
	v_mul_f32_e32 v7, 0x3fb8aa3b, v12
	v_fma_f32 v17, v13, s0, -v4
	v_rndne_f32_e32 v19, v4
	v_mul_f32_e32 v15, 0x3fb8aa3b, v9
	v_fma_f32 v20, v12, s0, -v7
	v_rndne_f32_e32 v21, v7
	v_fmac_f32_e32 v17, 0x32a5705f, v13
	v_sub_f32_e32 v4, v4, v19
	v_mul_f32_e32 v16, 0x3fb8aa3b, v8
	v_fma_f32 v22, v9, s0, -v15
	v_rndne_f32_e32 v23, v15
	v_fmac_f32_e32 v20, 0x32a5705f, v12
	v_sub_f32_e32 v7, v7, v21
	v_add_f32_e32 v4, v4, v17
	v_fma_f32 v24, v8, s0, -v16
	v_rndne_f32_e32 v25, v16
	v_cvt_i32_f32_e32 v19, v19
	v_fmac_f32_e32 v22, 0x32a5705f, v9
	v_sub_f32_e32 v15, v15, v23
	v_add_f32_e32 v7, v7, v20
	v_exp_f32_e32 v4, v4
	v_cvt_i32_f32_e32 v21, v21
	v_fmac_f32_e32 v24, 0x32a5705f, v8
	v_sub_f32_e32 v16, v16, v25
	v_add_f32_e32 v15, v15, v22
	v_exp_f32_e32 v7, v7
	v_cvt_i32_f32_e32 v23, v23
	v_add_f32_e32 v16, v16, v24
	v_exp_f32_e32 v15, v15
	v_cvt_i32_f32_e32 v25, v25
	v_exp_f32_e32 v16, v16
	v_ldexp_f32 v4, v4, v19
	v_cmp_ngt_f32_e32 vcc, s1, v13
	v_ldexp_f32 v7, v7, v21
	v_cndmask_b32_e32 v4, 0, v4, vcc
	v_cmp_ngt_f32_e32 vcc, s1, v12
	v_ldexp_f32 v15, v15, v23
	v_cndmask_b32_e32 v7, 0, v7, vcc
	v_cmp_ngt_f32_e32 vcc, s1, v9
	v_ldexp_f32 v16, v16, v25
	v_cndmask_b32_e32 v15, 0, v15, vcc
	v_cmp_ngt_f32_e32 vcc, s1, v8
	v_cndmask_b32_e32 v16, 0, v16, vcc
	v_cmp_nlt_f32_e32 vcc, s2, v13
	v_cndmask_b32_e32 v13, v14, v4, vcc
	v_cmp_nlt_f32_e32 vcc, s2, v12
	v_cndmask_b32_e32 v12, v14, v7, vcc
	v_cvt_f16_f32_e32 v4, v12
	v_cvt_f16_f32_e32 v7, v13
	v_cmp_nlt_f32_e32 vcc, s2, v9
	v_cndmask_b32_e32 v9, v14, v15, vcc
	v_cmp_nlt_f32_e32 vcc, s2, v8
	v_cndmask_b32_e32 v8, v14, v16, vcc
	v_pk_fma_f32 v[2:3], v[2:3], v[12:13], v[8:9]
	v_pk_mul_f16 v5, v5, v4 op_sel_hi:[1,0]
	v_pk_mul_f16 v18, v18, v7 op_sel_hi:[1,0]
	v_pk_mov_b32 v[16:17], v[10:11], v[10:11] op_sel:[0,1]
.LBB43_12:
	v_cmp_gt_i32_e32 vcc, s30, v1
	s_and_saveexec_b64 s[0:1], vcc
	s_cbranch_execz .LBB43_21
; %bb.13:
	s_load_dword s6, s[4:5], 0xd4
	v_mov_b32_e32 v4, 1.0
	s_waitcnt lgkmcnt(0)
	s_cmp_lg_u32 s6, 1
	s_cselect_b64 s[0:1], -1, 0
	s_cmp_eq_u32 s6, 1
	s_cselect_b64 s[2:3], -1, 0
	s_and_b64 vcc, exec, s[0:1]
	s_cbranch_vccnz .LBB43_15
; %bb.14:
	v_div_scale_f32 v4, s[4:5], v2, v2, 1.0
	v_rcp_f32_e32 v7, v4
	v_div_scale_f32 v8, vcc, 1.0, v2, 1.0
	v_fma_f32 v9, -v4, v7, 1.0
	v_fmac_f32_e32 v7, v9, v7
	v_mul_f32_e32 v9, v8, v7
	v_fma_f32 v10, -v4, v9, v8
	v_fmac_f32_e32 v9, v10, v7
	v_fma_f32 v4, -v4, v9, v8
	v_div_fmas_f32 v4, v4, v7, v9
	v_div_fixup_f32 v4, v4, v2, 1.0
.LBB43_15:
	s_mul_i32 s33, s33, s30
	v_add_u32_e32 v1, s33, v1
	v_mul_lo_u32 v1, v1, s31
	v_add_u32_e32 v1, s34, v1
	v_cmp_eq_u32_e32 vcc, 0, v0
	v_mul_lo_u32 v0, s6, v1
	v_add_u32_e32 v0, s7, v0
	v_cvt_f32_f16_sdwa v11, v5 dst_sel:DWORD dst_unused:UNUSED_PAD src0_sel:WORD_1
	v_cvt_f32_f16_e32 v10, v5
	v_lshl_add_u32 v8, v0, 6, v6
	v_mov_b32_e32 v9, 0
	v_lshlrev_b64 v[8:9], 2, v[8:9]
	s_and_b64 s[0:1], vcc, s[0:1]
	v_mov_b32_e32 v1, s25
	v_add_co_u32_e32 v8, vcc, s24, v8
	v_addc_co_u32_e32 v9, vcc, v1, v9, vcc
	v_pk_mul_f32 v[4:5], v[4:5], v[10:11] op_sel_hi:[0,1]
	global_store_dwordx2 v[8:9], v[4:5], off
	s_and_saveexec_b64 s[4:5], s[0:1]
	s_cbranch_execz .LBB43_17
; %bb.16:
	v_ashrrev_i32_e32 v1, 31, v0
	v_lshlrev_b64 v[4:5], 3, v[0:1]
	v_mov_b32_e32 v1, s27
	v_add_co_u32_e32 v4, vcc, s26, v4
	v_addc_co_u32_e32 v5, vcc, v1, v5, vcc
	v_mov_b32_e32 v8, v16
	v_mov_b32_e32 v9, v2
	global_store_dwordx2 v[4:5], v[8:9], off
.LBB43_17:
	s_or_b64 exec, exec, s[4:5]
	s_andn2_b64 vcc, exec, s[2:3]
	v_mov_b32_e32 v2, 1.0
	s_cbranch_vccnz .LBB43_19
; %bb.18:
	v_div_scale_f32 v1, s[2:3], v3, v3, 1.0
	v_rcp_f32_e32 v2, v1
	v_div_scale_f32 v4, vcc, 1.0, v3, 1.0
	v_fma_f32 v5, -v1, v2, 1.0
	v_fmac_f32_e32 v2, v5, v2
	v_mul_f32_e32 v5, v4, v2
	v_fma_f32 v7, -v1, v5, v4
	v_fmac_f32_e32 v5, v7, v2
	v_fma_f32 v1, -v1, v5, v4
	v_div_fmas_f32 v1, v1, v2, v5
	v_div_fixup_f32 v2, v1, v3, 1.0
.LBB43_19:
	v_add_u32_e32 v0, s6, v0
	v_lshl_add_u32 v4, v0, 6, v6
	v_cvt_f32_f16_sdwa v7, v18 dst_sel:DWORD dst_unused:UNUSED_PAD src0_sel:WORD_1
	v_cvt_f32_f16_e32 v6, v18
	v_mov_b32_e32 v5, 0
	v_lshlrev_b64 v[4:5], 2, v[4:5]
	v_mov_b32_e32 v1, s25
	v_add_co_u32_e32 v4, vcc, s24, v4
	v_addc_co_u32_e32 v5, vcc, v1, v5, vcc
	v_pk_mul_f32 v[6:7], v[2:3], v[6:7] op_sel_hi:[0,1]
	global_store_dwordx2 v[4:5], v[6:7], off
	s_and_b64 exec, exec, s[0:1]
	s_cbranch_execz .LBB43_21
; %bb.20:
	v_ashrrev_i32_e32 v1, 31, v0
	v_lshlrev_b64 v[0:1], 3, v[0:1]
	v_mov_b32_e32 v2, s27
	v_add_co_u32_e32 v0, vcc, s26, v0
	v_addc_co_u32_e32 v1, vcc, v2, v1, vcc
	v_mov_b32_e32 v2, v17
	global_store_dwordx2 v[0:1], v[2:3], off
.LBB43_21:
	s_endpgm
	.section	.rodata,"a",@progbits
	.p2align	6, 0x0
	.amdhsa_kernel _ZL15flash_attn_tileILi64ELi64ELi4ELi2ELb0EEvPKcS1_S1_S1_S1_PKiPfP15HIP_vector_typeIfLj2EEffffjfiS5_IjLj3EEiiiiiiiiiiiliiliiiiil
		.amdhsa_group_segment_fixed_size 6144
		.amdhsa_private_segment_fixed_size 0
		.amdhsa_kernarg_size 464
		.amdhsa_user_sgpr_count 6
		.amdhsa_user_sgpr_private_segment_buffer 1
		.amdhsa_user_sgpr_dispatch_ptr 0
		.amdhsa_user_sgpr_queue_ptr 0
		.amdhsa_user_sgpr_kernarg_segment_ptr 1
		.amdhsa_user_sgpr_dispatch_id 0
		.amdhsa_user_sgpr_flat_scratch_init 0
		.amdhsa_user_sgpr_kernarg_preload_length 0
		.amdhsa_user_sgpr_kernarg_preload_offset 0
		.amdhsa_user_sgpr_private_segment_size 0
		.amdhsa_uses_dynamic_stack 0
		.amdhsa_system_sgpr_private_segment_wavefront_offset 0
		.amdhsa_system_sgpr_workgroup_id_x 1
		.amdhsa_system_sgpr_workgroup_id_y 1
		.amdhsa_system_sgpr_workgroup_id_z 1
		.amdhsa_system_sgpr_workgroup_info 0
		.amdhsa_system_vgpr_workitem_id 1
		.amdhsa_next_free_vgpr 90
		.amdhsa_next_free_sgpr 43
		.amdhsa_accum_offset 92
		.amdhsa_reserve_vcc 1
		.amdhsa_reserve_flat_scratch 0
		.amdhsa_float_round_mode_32 0
		.amdhsa_float_round_mode_16_64 0
		.amdhsa_float_denorm_mode_32 3
		.amdhsa_float_denorm_mode_16_64 3
		.amdhsa_dx10_clamp 1
		.amdhsa_ieee_mode 1
		.amdhsa_fp16_overflow 0
		.amdhsa_tg_split 0
		.amdhsa_exception_fp_ieee_invalid_op 0
		.amdhsa_exception_fp_denorm_src 0
		.amdhsa_exception_fp_ieee_div_zero 0
		.amdhsa_exception_fp_ieee_overflow 0
		.amdhsa_exception_fp_ieee_underflow 0
		.amdhsa_exception_fp_ieee_inexact 0
		.amdhsa_exception_int_div_zero 0
	.end_amdhsa_kernel
	.section	.text._ZL15flash_attn_tileILi64ELi64ELi4ELi2ELb0EEvPKcS1_S1_S1_S1_PKiPfP15HIP_vector_typeIfLj2EEffffjfiS5_IjLj3EEiiiiiiiiiiiliiliiiiil,"axG",@progbits,_ZL15flash_attn_tileILi64ELi64ELi4ELi2ELb0EEvPKcS1_S1_S1_S1_PKiPfP15HIP_vector_typeIfLj2EEffffjfiS5_IjLj3EEiiiiiiiiiiiliiliiiiil,comdat
.Lfunc_end43:
	.size	_ZL15flash_attn_tileILi64ELi64ELi4ELi2ELb0EEvPKcS1_S1_S1_S1_PKiPfP15HIP_vector_typeIfLj2EEffffjfiS5_IjLj3EEiiiiiiiiiiiliiliiiiil, .Lfunc_end43-_ZL15flash_attn_tileILi64ELi64ELi4ELi2ELb0EEvPKcS1_S1_S1_S1_PKiPfP15HIP_vector_typeIfLj2EEffffjfiS5_IjLj3EEiiiiiiiiiiiliiliiiiil
                                        ; -- End function
	.section	.AMDGPU.csdata,"",@progbits
; Kernel info:
; codeLenInByte = 5196
; NumSgprs: 47
; NumVgprs: 90
; NumAgprs: 0
; TotalNumVgprs: 90
; ScratchSize: 0
; MemoryBound: 0
; FloatMode: 240
; IeeeMode: 1
; LDSByteSize: 6144 bytes/workgroup (compile time only)
; SGPRBlocks: 5
; VGPRBlocks: 11
; NumSGPRsForWavesPerEU: 47
; NumVGPRsForWavesPerEU: 90
; AccumOffset: 92
; Occupancy: 5
; WaveLimiterHint : 1
; COMPUTE_PGM_RSRC2:SCRATCH_EN: 0
; COMPUTE_PGM_RSRC2:USER_SGPR: 6
; COMPUTE_PGM_RSRC2:TRAP_HANDLER: 0
; COMPUTE_PGM_RSRC2:TGID_X_EN: 1
; COMPUTE_PGM_RSRC2:TGID_Y_EN: 1
; COMPUTE_PGM_RSRC2:TGID_Z_EN: 1
; COMPUTE_PGM_RSRC2:TIDIG_COMP_CNT: 1
; COMPUTE_PGM_RSRC3_GFX90A:ACCUM_OFFSET: 22
; COMPUTE_PGM_RSRC3_GFX90A:TG_SPLIT: 0
	.section	.text._ZL33flash_attn_stream_k_fixup_uniformILi64ELi4ELi2EEvPfPK15HIP_vector_typeIfLj2EEiiiiiiS1_IjLj3EES5_S5_,"axG",@progbits,_ZL33flash_attn_stream_k_fixup_uniformILi64ELi4ELi2EEvPfPK15HIP_vector_typeIfLj2EEiiiiiiS1_IjLj3EES5_S5_,comdat
	.globl	_ZL33flash_attn_stream_k_fixup_uniformILi64ELi4ELi2EEvPfPK15HIP_vector_typeIfLj2EEiiiiiiS1_IjLj3EES5_S5_ ; -- Begin function _ZL33flash_attn_stream_k_fixup_uniformILi64ELi4ELi2EEvPfPK15HIP_vector_typeIfLj2EEiiiiiiS1_IjLj3EES5_S5_
	.p2align	8
	.type	_ZL33flash_attn_stream_k_fixup_uniformILi64ELi4ELi2EEvPfPK15HIP_vector_typeIfLj2EEiiiiiiS1_IjLj3EES5_S5_,@function
_ZL33flash_attn_stream_k_fixup_uniformILi64ELi4ELi2EEvPfPK15HIP_vector_typeIfLj2EEiiiiiiS1_IjLj3EES5_S5_: ; @_ZL33flash_attn_stream_k_fixup_uniformILi64ELi4ELi2EEvPfPK15HIP_vector_typeIfLj2EEiiiiiiS1_IjLj3EES5_S5_
; %bb.0:
	s_load_dwordx8 s[12:19], s[4:5], 0x1c
	s_load_dwordx2 s[10:11], s[4:5], 0x10
	s_load_dwordx4 s[0:3], s[4:5], 0x3c
	s_waitcnt lgkmcnt(0)
	s_mul_hi_u32 s9, s15, s6
	s_add_i32 s9, s6, s9
	s_lshr_b32 s9, s9, s16
	s_mul_i32 s15, s9, s17
	s_sub_i32 s15, s6, s15
	s_mul_hi_u32 s16, s15, s18
	s_add_i32 s16, s15, s16
	s_lshr_b32 s16, s16, s19
	s_mul_i32 s0, s16, s0
	s_sub_i32 s0, s15, s0
	s_mul_hi_u32 s1, s0, s1
	s_add_i32 s1, s0, s1
	s_lshr_b32 s1, s1, s2
	s_mul_i32 s2, s1, s3
	s_sub_i32 s17, s0, s2
	s_lshl_b32 s0, s17, 2
	s_lshl_b32 s15, s1, 1
	s_add_i32 s0, s0, s7
	s_cmp_lt_i32 s0, s10
	s_cselect_b64 s[0:1], -1, 0
	s_add_i32 s2, s15, s8
	s_cmp_lt_i32 s2, s13
	s_cselect_b64 s[2:3], -1, 0
	s_and_b64 s[0:1], s[0:1], s[2:3]
	s_andn2_b64 vcc, exec, s[0:1]
	s_cbranch_vccnz .LBB44_6
; %bb.1:
	s_load_dwordx4 s[0:3], s[4:5], 0x0
	s_mul_i32 s4, s9, s10
	s_add_i32 s4, s4, s7
	s_mul_i32 s4, s4, s11
	s_mul_i32 s16, s16, s13
	s_add_i32 s4, s4, s8
	s_add_i32 s4, s4, s16
	s_mul_i32 s5, s11, s17
	s_add_i32 s4, s4, s15
	s_lshl_b32 s5, s5, 8
	s_lshl_b32 s4, s4, 6
	s_add_i32 s5, s5, s4
	v_or_b32_e32 v2, s5, v0
	v_ashrrev_i32_e32 v3, 31, v2
	v_lshlrev_b64 v[2:3], 2, v[2:3]
	s_waitcnt lgkmcnt(0)
	v_mov_b32_e32 v1, s1
	v_add_co_u32_e32 v2, vcc, s0, v2
	v_addc_co_u32_e32 v3, vcc, v1, v3, vcc
	global_load_dword v8, v[2:3], off
	s_mul_i32 s9, s6, s14
	s_lshl_b32 s4, s7, 1
	s_add_i32 s11, s9, s14
	s_add_i32 s0, s4, s8
	s_lshl_b32 s1, s11, 3
	s_add_i32 s0, s0, s1
	s_add_i32 s0, s0, -8
	s_ashr_i32 s1, s0, 31
	s_lshl_b64 s[0:1], s[0:1], 3
	s_add_u32 s0, s2, s0
	s_addc_u32 s1, s3, s1
	s_load_dword s5, s[0:1], 0x4
	s_add_i32 s10, s11, -2
	s_cmp_lt_i32 s10, s9
	s_cbranch_scc1 .LBB44_4
; %bb.2:
	s_lshl_b32 s16, s12, 5
	s_ashr_i32 s17, s16, 31
	s_lshl_b64 s[16:17], s[16:17], 2
	s_add_u32 s10, s2, s16
	s_addc_u32 s13, s3, s17
	s_add_i32 s6, s6, 1
	s_load_dword s0, s[0:1], 0x0
	s_mul_i32 s1, s14, s6
	s_lshl_b32 s7, s7, 7
	s_lshl_b32 s14, s8, 6
	;; [unrolled: 1-line block ×3, first 2 shown]
	s_add_i32 s7, s14, s7
	s_lshl_b32 s1, s1, 3
	s_add_i32 s7, s7, s6
	s_add_i32 s1, s8, s1
	s_lshl_b32 s6, s12, 3
	s_add_i32 s1, s1, s6
	v_or_b32_e32 v0, s7, v0
	s_add_i32 s1, s1, s4
	s_add_i32 s11, s11, -1
	v_add_u32_e32 v0, 0xfffffc00, v0
	s_add_i32 s4, s1, -16
	s_waitcnt lgkmcnt(0)
	v_mov_b32_e32 v7, s5
	v_mov_b32_e32 v6, s0
	;; [unrolled: 1-line block ×3, first 2 shown]
	s_mov_b32 s6, 0x3fb8aa3b
	s_mov_b32 s7, 0xc2ce8ed0
	;; [unrolled: 1-line block ×3, first 2 shown]
	v_mov_b32_e32 v5, 0x7f800000
	s_mov_b32 s12, 0xc1a00000
.LBB44_3:                               ; =>This Inner Loop Header: Depth=1
	v_ashrrev_i32_e32 v1, 31, v0
	v_lshlrev_b64 v[10:11], 2, v[0:1]
	v_add_co_u32_e32 v10, vcc, s10, v10
	v_addc_co_u32_e32 v11, vcc, v4, v11, vcc
	global_load_dword v1, v[10:11], off
	s_ashr_i32 s5, s4, 31
	s_lshl_b64 s[0:1], s[4:5], 3
	s_add_u32 s0, s2, s0
	s_addc_u32 s1, s3, s1
	s_load_dwordx2 s[14:15], s[0:1], 0x0
	s_waitcnt vmcnt(1)
	v_mov_b32_e32 v9, v8
	v_max_f32_e32 v8, v6, v6
	v_mov_b32_e32 v10, v7
	s_add_i32 s11, s11, -1
	s_waitcnt lgkmcnt(0)
	v_max_f32_e64 v7, s14, s14
	v_max_f32_e32 v7, v8, v7
	v_sub_f32_e32 v11, s14, v7
	v_sub_f32_e32 v8, v6, v7
	v_mul_f32_e32 v12, 0x3fb8aa3b, v11
	v_mov_b32_e32 v6, v7
	v_mul_f32_e32 v7, 0x3fb8aa3b, v8
	v_fma_f32 v15, v11, s6, -v12
	v_rndne_f32_e32 v16, v12
	v_fma_f32 v13, v8, s6, -v7
	v_rndne_f32_e32 v14, v7
	v_fmac_f32_e32 v15, 0x32a5705f, v11
	v_sub_f32_e32 v12, v12, v16
	v_fmac_f32_e32 v13, 0x32a5705f, v8
	v_sub_f32_e32 v7, v7, v14
	v_add_f32_e32 v12, v12, v15
	v_cvt_i32_f32_e32 v16, v16
	v_add_f32_e32 v7, v7, v13
	v_exp_f32_e32 v12, v12
	v_cvt_i32_f32_e32 v14, v14
	v_exp_f32_e32 v7, v7
	v_cmp_ngt_f32_e32 vcc, s7, v11
	v_ldexp_f32 v12, v12, v16
	v_cmp_ngt_f32_e64 s[0:1], s7, v8
	v_ldexp_f32 v7, v7, v14
	v_cndmask_b32_e32 v12, 0, v12, vcc
	v_cmp_nlt_f32_e32 vcc, s8, v11
	v_cndmask_b32_e64 v7, 0, v7, s[0:1]
	v_cmp_nlt_f32_e64 s[0:1], s8, v8
	v_cndmask_b32_e32 v12, v5, v12, vcc
	v_cmp_le_f32_e32 vcc, s12, v11
	v_cndmask_b32_e64 v7, v5, v7, s[0:1]
	v_cmp_le_f32_e64 s[0:1], s12, v8
	v_cndmask_b32_e32 v8, 0, v12, vcc
	s_add_i32 s4, s4, -8
	v_cndmask_b32_e64 v11, 0, v7, s[0:1]
	v_mul_f32_e32 v7, s15, v8
	v_add_u32_e32 v0, 0xfffffe00, v0
	s_cmp_le_i32 s11, s9
	v_fmac_f32_e32 v7, v10, v11
	s_waitcnt vmcnt(0)
	v_mul_f32_e32 v8, v1, v8
	v_fmac_f32_e32 v8, v9, v11
	s_cbranch_scc0 .LBB44_3
	s_branch .LBB44_5
.LBB44_4:
	s_waitcnt lgkmcnt(0)
	v_mov_b32_e32 v7, s5
.LBB44_5:
	s_waitcnt vmcnt(0)
	v_div_scale_f32 v0, s[0:1], v7, v7, v8
	v_rcp_f32_e32 v1, v0
	v_div_scale_f32 v4, vcc, v8, v7, v8
	v_fma_f32 v5, -v0, v1, 1.0
	v_fmac_f32_e32 v1, v5, v1
	v_mul_f32_e32 v5, v4, v1
	v_fma_f32 v6, -v0, v5, v4
	v_fmac_f32_e32 v5, v6, v1
	v_fma_f32 v0, -v0, v5, v4
	v_div_fmas_f32 v0, v0, v1, v5
	v_div_fixup_f32 v0, v0, v7, v8
	global_store_dword v[2:3], v0, off
.LBB44_6:
	s_endpgm
	.section	.rodata,"a",@progbits
	.p2align	6, 0x0
	.amdhsa_kernel _ZL33flash_attn_stream_k_fixup_uniformILi64ELi4ELi2EEvPfPK15HIP_vector_typeIfLj2EEiiiiiiS1_IjLj3EES5_S5_
		.amdhsa_group_segment_fixed_size 0
		.amdhsa_private_segment_fixed_size 0
		.amdhsa_kernarg_size 76
		.amdhsa_user_sgpr_count 6
		.amdhsa_user_sgpr_private_segment_buffer 1
		.amdhsa_user_sgpr_dispatch_ptr 0
		.amdhsa_user_sgpr_queue_ptr 0
		.amdhsa_user_sgpr_kernarg_segment_ptr 1
		.amdhsa_user_sgpr_dispatch_id 0
		.amdhsa_user_sgpr_flat_scratch_init 0
		.amdhsa_user_sgpr_kernarg_preload_length 0
		.amdhsa_user_sgpr_kernarg_preload_offset 0
		.amdhsa_user_sgpr_private_segment_size 0
		.amdhsa_uses_dynamic_stack 0
		.amdhsa_system_sgpr_private_segment_wavefront_offset 0
		.amdhsa_system_sgpr_workgroup_id_x 1
		.amdhsa_system_sgpr_workgroup_id_y 1
		.amdhsa_system_sgpr_workgroup_id_z 1
		.amdhsa_system_sgpr_workgroup_info 0
		.amdhsa_system_vgpr_workitem_id 0
		.amdhsa_next_free_vgpr 17
		.amdhsa_next_free_sgpr 20
		.amdhsa_accum_offset 20
		.amdhsa_reserve_vcc 1
		.amdhsa_reserve_flat_scratch 0
		.amdhsa_float_round_mode_32 0
		.amdhsa_float_round_mode_16_64 0
		.amdhsa_float_denorm_mode_32 3
		.amdhsa_float_denorm_mode_16_64 3
		.amdhsa_dx10_clamp 1
		.amdhsa_ieee_mode 1
		.amdhsa_fp16_overflow 0
		.amdhsa_tg_split 0
		.amdhsa_exception_fp_ieee_invalid_op 0
		.amdhsa_exception_fp_denorm_src 0
		.amdhsa_exception_fp_ieee_div_zero 0
		.amdhsa_exception_fp_ieee_overflow 0
		.amdhsa_exception_fp_ieee_underflow 0
		.amdhsa_exception_fp_ieee_inexact 0
		.amdhsa_exception_int_div_zero 0
	.end_amdhsa_kernel
	.section	.text._ZL33flash_attn_stream_k_fixup_uniformILi64ELi4ELi2EEvPfPK15HIP_vector_typeIfLj2EEiiiiiiS1_IjLj3EES5_S5_,"axG",@progbits,_ZL33flash_attn_stream_k_fixup_uniformILi64ELi4ELi2EEvPfPK15HIP_vector_typeIfLj2EEiiiiiiS1_IjLj3EES5_S5_,comdat
.Lfunc_end44:
	.size	_ZL33flash_attn_stream_k_fixup_uniformILi64ELi4ELi2EEvPfPK15HIP_vector_typeIfLj2EEiiiiiiS1_IjLj3EES5_S5_, .Lfunc_end44-_ZL33flash_attn_stream_k_fixup_uniformILi64ELi4ELi2EEvPfPK15HIP_vector_typeIfLj2EEiiiiiiS1_IjLj3EES5_S5_
                                        ; -- End function
	.section	.AMDGPU.csdata,"",@progbits
; Kernel info:
; codeLenInByte = 856
; NumSgprs: 24
; NumVgprs: 17
; NumAgprs: 0
; TotalNumVgprs: 17
; ScratchSize: 0
; MemoryBound: 0
; FloatMode: 240
; IeeeMode: 1
; LDSByteSize: 0 bytes/workgroup (compile time only)
; SGPRBlocks: 2
; VGPRBlocks: 2
; NumSGPRsForWavesPerEU: 24
; NumVGPRsForWavesPerEU: 17
; AccumOffset: 20
; Occupancy: 8
; WaveLimiterHint : 0
; COMPUTE_PGM_RSRC2:SCRATCH_EN: 0
; COMPUTE_PGM_RSRC2:USER_SGPR: 6
; COMPUTE_PGM_RSRC2:TRAP_HANDLER: 0
; COMPUTE_PGM_RSRC2:TGID_X_EN: 1
; COMPUTE_PGM_RSRC2:TGID_Y_EN: 1
; COMPUTE_PGM_RSRC2:TGID_Z_EN: 1
; COMPUTE_PGM_RSRC2:TIDIG_COMP_CNT: 0
; COMPUTE_PGM_RSRC3_GFX90A:ACCUM_OFFSET: 4
; COMPUTE_PGM_RSRC3_GFX90A:TG_SPLIT: 0
	.section	.text._ZL33flash_attn_stream_k_fixup_generalILi64ELi4ELi2EEvPfPK15HIP_vector_typeIfLj2EEiiiiS1_IjLj3EES5_S5_S5_,"axG",@progbits,_ZL33flash_attn_stream_k_fixup_generalILi64ELi4ELi2EEvPfPK15HIP_vector_typeIfLj2EEiiiiS1_IjLj3EES5_S5_S5_,comdat
	.globl	_ZL33flash_attn_stream_k_fixup_generalILi64ELi4ELi2EEvPfPK15HIP_vector_typeIfLj2EEiiiiS1_IjLj3EES5_S5_S5_ ; -- Begin function _ZL33flash_attn_stream_k_fixup_generalILi64ELi4ELi2EEvPfPK15HIP_vector_typeIfLj2EEiiiiS1_IjLj3EES5_S5_S5_
	.p2align	8
	.type	_ZL33flash_attn_stream_k_fixup_generalILi64ELi4ELi2EEvPfPK15HIP_vector_typeIfLj2EEiiiiS1_IjLj3EES5_S5_S5_,@function
_ZL33flash_attn_stream_k_fixup_generalILi64ELi4ELi2EEvPfPK15HIP_vector_typeIfLj2EEiiiiS1_IjLj3EES5_S5_S5_: ; @_ZL33flash_attn_stream_k_fixup_generalILi64ELi4ELi2EEvPfPK15HIP_vector_typeIfLj2EEiiiiS1_IjLj3EES5_S5_S5_
; %bb.0:
	s_load_dwordx4 s[12:15], s[4:5], 0x10
	s_load_dword s9, s[4:5], 0x50
	s_mov_b32 s2, 0
	s_waitcnt lgkmcnt(0)
	s_mul_hi_i32 s3, s15, s6
	s_cmp_lg_u64 s[2:3], 0
	s_mul_i32 s2, s15, s6
	s_cbranch_scc0 .LBB45_21
; %bb.1:
	v_cvt_f32_u32_e32 v1, s9
	v_cvt_f32_ubyte0_e32 v2, 0
	s_sub_u32 s10, 0, s9
	s_subb_u32 s11, 0, 0
	v_madmk_f32 v1, v2, 0x4f800000, v1
	v_rcp_f32_e32 v1, v1
	v_mul_f32_e32 v1, 0x5f7ffffc, v1
	v_mul_f32_e32 v2, 0x2f800000, v1
	v_trunc_f32_e32 v2, v2
	v_madmk_f32 v1, v2, 0xcf800000, v1
	v_cvt_u32_f32_e32 v2, v2
	v_cvt_u32_f32_e32 v1, v1
	v_readfirstlane_b32 s16, v2
	v_readfirstlane_b32 s17, v1
	s_mul_i32 s18, s10, s16
	s_mul_hi_u32 s20, s10, s17
	s_mul_i32 s19, s11, s17
	s_add_i32 s18, s20, s18
	s_add_i32 s18, s18, s19
	s_mul_i32 s21, s10, s17
	s_mul_hi_u32 s19, s17, s18
	s_mul_i32 s20, s17, s18
	s_mul_hi_u32 s17, s17, s21
	s_add_u32 s17, s17, s20
	s_addc_u32 s19, 0, s19
	s_mul_hi_u32 s22, s16, s21
	s_mul_i32 s21, s16, s21
	s_add_u32 s17, s17, s21
	s_mul_hi_u32 s20, s16, s18
	s_addc_u32 s17, s19, s22
	s_addc_u32 s19, s20, 0
	s_mul_i32 s18, s16, s18
	s_add_u32 s17, s17, s18
	s_addc_u32 s18, 0, s19
	v_add_co_u32_e32 v1, vcc, s17, v1
	s_cmp_lg_u64 vcc, 0
	s_addc_u32 s16, s16, s18
	v_readfirstlane_b32 s18, v1
	s_mul_i32 s17, s10, s16
	s_mul_hi_u32 s19, s10, s18
	s_add_i32 s17, s19, s17
	s_mul_i32 s11, s11, s18
	s_add_i32 s17, s17, s11
	s_mul_i32 s10, s10, s18
	s_mul_hi_u32 s19, s16, s10
	s_mul_i32 s20, s16, s10
	s_mul_i32 s22, s18, s17
	s_mul_hi_u32 s10, s18, s10
	s_mul_hi_u32 s21, s18, s17
	s_add_u32 s10, s10, s22
	s_addc_u32 s18, 0, s21
	s_add_u32 s10, s10, s20
	s_mul_hi_u32 s11, s16, s17
	s_addc_u32 s10, s18, s19
	s_addc_u32 s11, s11, 0
	s_mul_i32 s17, s16, s17
	s_add_u32 s10, s10, s17
	s_addc_u32 s11, 0, s11
	v_add_co_u32_e32 v1, vcc, s10, v1
	s_cmp_lg_u64 vcc, 0
	s_addc_u32 s18, s16, s11
	s_ashr_i32 s10, s3, 31
	s_add_u32 s16, s2, s10
	s_mov_b32 s11, s10
	s_addc_u32 s17, s3, s10
	s_xor_b64 s[16:17], s[16:17], s[10:11]
	v_readfirstlane_b32 s20, v1
	s_mul_i32 s19, s16, s18
	s_mul_hi_u32 s21, s16, s20
	s_mul_hi_u32 s3, s16, s18
	s_add_u32 s19, s21, s19
	s_addc_u32 s3, 0, s3
	s_mul_hi_u32 s22, s17, s20
	s_mul_i32 s20, s17, s20
	s_add_u32 s19, s19, s20
	s_mul_hi_u32 s21, s17, s18
	s_addc_u32 s3, s3, s22
	s_addc_u32 s19, s21, 0
	s_mul_i32 s18, s17, s18
	s_add_u32 s3, s3, s18
	s_addc_u32 s18, 0, s19
	s_add_u32 s19, s3, 1
	s_addc_u32 s20, s18, 0
	s_add_u32 s21, s3, 2
	s_mul_i32 s23, s9, s18
	s_mul_hi_u32 s24, s9, s3
	s_addc_u32 s22, s18, 0
	s_add_i32 s24, s24, s23
	s_mul_i32 s23, s9, s3
	v_mov_b32_e32 v1, s23
	v_sub_co_u32_e32 v1, vcc, s16, v1
	s_cmp_lg_u64 vcc, 0
	s_subb_u32 s16, s17, s24
	v_subrev_co_u32_e32 v2, vcc, s9, v1
	s_cmp_lg_u64 vcc, 0
	s_subb_u32 s17, s16, 0
	v_readfirstlane_b32 s23, v2
	s_cmp_ge_u32 s23, s9
	s_cselect_b32 s23, -1, 0
	s_cmp_eq_u32 s17, 0
	s_cselect_b32 s17, s23, -1
	s_cmp_lg_u32 s17, 0
	s_cselect_b32 s17, s22, s20
	v_readfirstlane_b32 s20, v1
	s_cselect_b32 s19, s21, s19
	s_cmp_ge_u32 s20, s9
	s_cselect_b32 s20, -1, 0
	s_cmp_eq_u32 s16, 0
	s_cselect_b32 s16, s20, -1
	s_cmp_lg_u32 s16, 0
	s_cselect_b32 s17, s17, s18
	s_cselect_b32 s16, s19, s3
	s_xor_b64 s[16:17], s[16:17], s[10:11]
	s_sub_u32 s20, s16, s10
	s_load_dwordx4 s[16:19], s[4:5], 0x44
	s_cbranch_execnz .LBB45_3
.LBB45_2:
	v_cvt_f32_u32_e32 v1, s9
	s_sub_i32 s0, 0, s9
	v_rcp_iflag_f32_e32 v1, v1
	v_mul_f32_e32 v1, 0x4f7ffffe, v1
	v_cvt_u32_f32_e32 v1, v1
	v_readfirstlane_b32 s1, v1
	s_mul_i32 s0, s0, s1
	s_mul_hi_u32 s0, s1, s0
	s_add_i32 s1, s1, s0
	s_mul_hi_u32 s0, s2, s1
	s_mul_i32 s3, s0, s9
	s_sub_i32 s2, s2, s3
	s_add_i32 s1, s0, 1
	s_sub_i32 s3, s2, s9
	s_cmp_ge_u32 s2, s9
	s_cselect_b32 s0, s1, s0
	s_cselect_b32 s2, s3, s2
	s_add_i32 s1, s0, 1
	s_cmp_ge_u32 s2, s9
	s_cselect_b32 s20, s1, s0
.LBB45_3:
	s_add_i32 s0, s6, 1
	s_mul_hi_i32 s3, s15, s0
	s_mov_b32 s2, 0
	s_cmp_lg_u64 s[2:3], 0
	s_mul_i32 s2, s15, s0
	s_cbranch_scc0 .LBB45_22
; %bb.4:
	v_cvt_f32_u32_e32 v1, s9
	v_cvt_f32_ubyte0_e32 v2, 0
	s_sub_u32 s10, 0, s9
	s_subb_u32 s11, 0, 0
	v_madmk_f32 v1, v2, 0x4f800000, v1
	v_rcp_f32_e32 v1, v1
	v_mul_f32_e32 v1, 0x5f7ffffc, v1
	v_mul_f32_e32 v2, 0x2f800000, v1
	v_trunc_f32_e32 v2, v2
	v_madmk_f32 v1, v2, 0xcf800000, v1
	v_cvt_u32_f32_e32 v2, v2
	v_cvt_u32_f32_e32 v1, v1
	s_waitcnt lgkmcnt(0)
	v_readfirstlane_b32 s19, v2
	v_readfirstlane_b32 s21, v1
	s_mul_i32 s22, s10, s19
	s_mul_hi_u32 s24, s10, s21
	s_mul_i32 s23, s11, s21
	s_add_i32 s22, s24, s22
	s_add_i32 s22, s22, s23
	s_mul_i32 s25, s10, s21
	s_mul_hi_u32 s23, s21, s22
	s_mul_i32 s24, s21, s22
	s_mul_hi_u32 s21, s21, s25
	s_add_u32 s21, s21, s24
	s_addc_u32 s23, 0, s23
	s_mul_hi_u32 s26, s19, s25
	s_mul_i32 s25, s19, s25
	s_add_u32 s21, s21, s25
	s_mul_hi_u32 s24, s19, s22
	s_addc_u32 s21, s23, s26
	s_addc_u32 s23, s24, 0
	s_mul_i32 s22, s19, s22
	s_add_u32 s21, s21, s22
	s_addc_u32 s22, 0, s23
	v_add_co_u32_e32 v1, vcc, s21, v1
	s_cmp_lg_u64 vcc, 0
	s_addc_u32 s19, s19, s22
	v_readfirstlane_b32 s22, v1
	s_mul_i32 s21, s10, s19
	s_mul_hi_u32 s23, s10, s22
	s_add_i32 s21, s23, s21
	s_mul_i32 s11, s11, s22
	s_add_i32 s21, s21, s11
	s_mul_i32 s10, s10, s22
	s_mul_hi_u32 s23, s19, s10
	s_mul_i32 s24, s19, s10
	s_mul_i32 s26, s22, s21
	s_mul_hi_u32 s10, s22, s10
	s_mul_hi_u32 s25, s22, s21
	s_add_u32 s10, s10, s26
	s_addc_u32 s22, 0, s25
	s_add_u32 s10, s10, s24
	s_mul_hi_u32 s11, s19, s21
	s_addc_u32 s10, s22, s23
	s_addc_u32 s11, s11, 0
	s_mul_i32 s21, s19, s21
	s_add_u32 s10, s10, s21
	s_addc_u32 s11, 0, s11
	v_add_co_u32_e32 v1, vcc, s10, v1
	s_cmp_lg_u64 vcc, 0
	s_addc_u32 s19, s19, s11
	s_ashr_i32 s10, s3, 31
	s_add_u32 s22, s2, s10
	s_mov_b32 s11, s10
	s_addc_u32 s23, s3, s10
	s_xor_b64 s[22:23], s[22:23], s[10:11]
	v_readfirstlane_b32 s21, v1
	s_mul_i32 s11, s22, s19
	s_mul_hi_u32 s24, s22, s21
	s_mul_hi_u32 s3, s22, s19
	s_add_u32 s11, s24, s11
	s_addc_u32 s3, 0, s3
	s_mul_hi_u32 s25, s23, s21
	s_mul_i32 s21, s23, s21
	s_add_u32 s11, s11, s21
	s_mul_hi_u32 s24, s23, s19
	s_addc_u32 s3, s3, s25
	s_addc_u32 s11, s24, 0
	s_mul_i32 s19, s23, s19
	s_add_u32 s3, s3, s19
	s_addc_u32 s11, 0, s11
	s_mul_i32 s11, s9, s11
	s_mul_hi_u32 s24, s9, s3
	s_add_i32 s24, s24, s11
	s_mul_i32 s11, s9, s3
	v_mov_b32_e32 v1, s11
	s_add_u32 s19, s3, 1
	s_add_u32 s21, s3, 2
	v_sub_co_u32_e32 v1, vcc, s22, v1
	s_cmp_lg_u64 vcc, 0
	s_subb_u32 s11, s23, s24
	v_subrev_co_u32_e32 v2, vcc, s9, v1
	s_cmp_lg_u64 vcc, 0
	s_subb_u32 s22, s11, 0
	v_cmp_le_u32_e32 vcc, s9, v2
	s_cmp_eq_u32 s22, 0
	v_cndmask_b32_e64 v2, 0, -1, vcc
	s_cselect_b64 vcc, -1, 0
	v_cndmask_b32_e32 v2, -1, v2, vcc
	v_mov_b32_e32 v3, s19
	v_mov_b32_e32 v4, s21
	v_cmp_ne_u32_e32 vcc, 0, v2
	v_cndmask_b32_e32 v2, v3, v4, vcc
	v_cmp_le_u32_e32 vcc, s9, v1
	s_cmp_eq_u32 s11, 0
	v_cndmask_b32_e64 v1, 0, -1, vcc
	s_cselect_b64 vcc, -1, 0
	v_cndmask_b32_e32 v1, -1, v1, vcc
	v_mov_b32_e32 v3, s3
	v_cmp_ne_u32_e32 vcc, 0, v1
	v_cndmask_b32_e32 v1, v3, v2, vcc
	v_xor_b32_e32 v1, s10, v1
	v_subrev_co_u32_e32 v2, vcc, s10, v1
	s_cbranch_execnz .LBB45_6
.LBB45_5:
	v_cvt_f32_u32_e32 v1, s9
	s_sub_i32 s0, 0, s9
	s_mov_b32 s1, 0
	v_rcp_iflag_f32_e32 v1, v1
	v_mul_f32_e32 v1, 0x4f7ffffe, v1
	v_cvt_u32_f32_e32 v1, v1
	v_readfirstlane_b32 s3, v1
	s_mul_i32 s0, s0, s3
	s_mul_hi_u32 s0, s3, s0
	s_add_i32 s3, s3, s0
	s_mul_hi_u32 s0, s2, s3
	s_mul_i32 s10, s0, s9
	s_sub_i32 s2, s2, s10
	s_add_i32 s3, s0, 1
	s_sub_i32 s10, s2, s9
	s_cmp_ge_u32 s2, s9
	s_cselect_b32 s0, s3, s0
	s_cselect_b32 s2, s10, s2
	s_add_i32 s3, s0, 1
	s_cmp_ge_u32 s2, s9
	s_cselect_b32 s0, s3, s0
	v_pk_mov_b32 v[2:3], s[0:1], s[0:1] op_sel:[0,1]
.LBB45_6:
	s_waitcnt lgkmcnt(0)
	s_mul_hi_u32 s0, s20, s16
	s_add_i32 s0, s0, s20
	v_mul_hi_u32 v1, v2, s16
	s_lshr_b32 s19, s0, s17
	v_add_u32_e32 v1, v1, v2
	s_mul_i32 s0, s19, s18
	v_lshrrev_b32_e32 v1, s17, v1
	s_cmp_eq_u32 s0, s20
	v_cmp_eq_u32_e64 s[0:1], s19, v1
	v_mul_lo_u32 v1, v1, s18
	v_cmp_eq_u32_e32 vcc, s20, v2
	s_cselect_b64 s[10:11], -1, 0
	v_cmp_ne_u32_e64 s[2:3], v1, v2
	s_and_b64 s[0:1], s[0:1], s[2:3]
	s_or_b64 s[2:3], vcc, s[10:11]
	s_or_b64 s[0:1], s[2:3], s[0:1]
	s_and_b64 vcc, exec, s[0:1]
	s_cbranch_vccnz .LBB45_24
; %bb.7:
	s_load_dwordx8 s[24:31], s[4:5], 0x20
	s_load_dword s0, s[4:5], 0x40
	s_mov_b32 s10, 0
	s_waitcnt lgkmcnt(0)
	s_mul_hi_u32 s1, s20, s24
	s_add_i32 s1, s1, s20
	s_lshr_b32 s11, s1, s25
	s_mul_i32 s1, s11, s26
	s_sub_i32 s1, s20, s1
	s_mul_hi_u32 s2, s1, s27
	s_add_i32 s2, s1, s2
	s_lshr_b32 s24, s2, s28
	s_mul_i32 s2, s24, s29
	s_sub_i32 s1, s1, s2
	;; [unrolled: 5-line block ×3, first 2 shown]
	s_mul_hi_u32 s1, s0, s16
	s_add_i32 s0, s0, s1
	s_lshr_b32 s26, s0, s17
	s_lshl_b32 s0, s26, 2
	s_lshl_b32 s25, s2, 1
	s_add_i32 s0, s0, s7
	s_cmp_lt_i32 s0, s12
	s_cselect_b64 s[0:1], -1, 0
	s_add_i32 s2, s25, s8
	s_cmp_lt_i32 s2, s14
	s_cselect_b64 s[2:3], -1, 0
	s_and_b64 s[0:1], s[0:1], s[2:3]
	s_andn2_b64 vcc, exec, s[0:1]
	s_cbranch_vccnz .LBB45_24
; %bb.8:
	s_load_dwordx4 s[0:3], s[4:5], 0x0
	s_lshl_b32 s21, s7, 1
	s_lshl_b32 s4, s9, 5
	s_mov_b32 s5, s10
	s_add_i32 s21, s21, s8
	s_lshl_b64 s[4:5], s[4:5], 2
	s_waitcnt lgkmcnt(0)
	s_add_u32 s22, s2, s4
	s_mul_i32 s4, s11, s12
	s_addc_u32 s23, s3, s5
	s_add_i32 s4, s4, s7
	s_mul_i32 s4, s4, s13
	s_mul_i32 s24, s24, s14
	s_add_i32 s4, s4, s8
	s_add_i32 s4, s4, s24
	s_mul_i32 s5, s13, s26
	s_add_i32 s4, s4, s25
	s_lshl_b32 s5, s5, 8
	s_lshl_b32 s4, s4, 6
	s_add_i32 s5, s5, s4
	v_or_b32_e32 v2, s5, v0
	v_ashrrev_i32_e32 v3, 31, v2
	v_lshlrev_b64 v[2:3], 2, v[2:3]
	v_mov_b32_e32 v1, s1
	v_add_co_u32_e32 v2, vcc, s0, v2
	v_addc_co_u32_e32 v3, vcc, v1, v3, vcc
	global_load_dword v5, v[2:3], off
	v_lshl_or_b32 v4, s21, 6, v0
	v_cvt_f32_u32_e32 v0, s9
	v_cvt_f32_ubyte0_e32 v1, 0
	s_lshl_b32 s0, s6, 3
	s_add_i32 s0, s21, s0
	v_mac_f32_e32 v0, 0x4f800000, v1
	v_rcp_f32_e32 v0, v0
	v_cvt_f32_u32_e32 v1, s9
	s_ashr_i32 s1, s0, 31
	s_lshl_b64 s[0:1], s[0:1], 3
	v_mul_f32_e32 v0, 0x5f7ffffc, v0
	v_rcp_iflag_f32_e32 v1, v1
	s_add_u32 s0, s2, s0
	v_mul_f32_e32 v9, 0x2f800000, v0
	s_addc_u32 s1, s3, s1
	v_trunc_f32_e32 v10, v9
	s_load_dwordx2 s[0:1], s[0:1], 0x0
	v_mac_f32_e32 v0, 0xcf800000, v10
	v_cvt_u32_f32_e32 v9, v0
	v_mul_f32_e32 v0, 0x4f7ffffe, v1
	v_cvt_u32_f32_e32 v10, v10
	v_cvt_u32_f32_e32 v11, v0
	s_add_i32 s8, s6, -1
	s_waitcnt lgkmcnt(0)
	v_mov_b32_e32 v6, s1
	v_mov_b32_e32 v7, s0
	;; [unrolled: 1-line block ×3, first 2 shown]
	s_mov_b32 s6, 0x3fb8aa3b
	s_mov_b32 s7, 0xc2ce8ed0
	;; [unrolled: 1-line block ×4, first 2 shown]
	v_mov_b32_e32 v12, 0x7f800000
	s_mul_hi_i32 s11, s8, s15
	s_cmp_lg_u64 s[10:11], 0
	s_mul_i32 s4, s8, s15
	s_cbranch_scc0 .LBB45_15
.LBB45_9:
	s_sub_u32 s0, 0, s9
	v_readfirstlane_b32 s5, v9
	v_readfirstlane_b32 s24, v10
	s_subb_u32 s1, 0, 0
	s_mul_hi_u32 s20, s0, s5
	s_mul_i32 s25, s0, s24
	s_mul_i32 s14, s1, s5
	s_add_i32 s20, s20, s25
	s_add_i32 s20, s20, s14
	s_mul_i32 s26, s0, s5
	s_mul_hi_u32 s14, s5, s20
	s_mul_i32 s25, s5, s20
	s_mul_hi_u32 s5, s5, s26
	s_add_u32 s5, s5, s25
	s_addc_u32 s14, 0, s14
	s_mul_hi_u32 s27, s24, s26
	s_mul_i32 s26, s24, s26
	s_add_u32 s5, s5, s26
	s_mul_hi_u32 s25, s24, s20
	s_addc_u32 s5, s14, s27
	s_addc_u32 s14, s25, 0
	s_mul_i32 s20, s24, s20
	s_add_u32 s5, s5, s20
	s_addc_u32 s14, 0, s14
	v_add_co_u32_e32 v0, vcc, s5, v9
	s_cmp_lg_u64 vcc, 0
	s_addc_u32 s5, s24, s14
	v_readfirstlane_b32 s20, v0
	s_mul_i32 s14, s0, s5
	s_mul_hi_u32 s24, s0, s20
	s_add_i32 s14, s24, s14
	s_mul_i32 s1, s1, s20
	s_add_i32 s14, s14, s1
	s_mul_i32 s0, s0, s20
	s_mul_hi_u32 s24, s5, s0
	s_mul_i32 s25, s5, s0
	s_mul_i32 s27, s20, s14
	s_mul_hi_u32 s0, s20, s0
	s_mul_hi_u32 s26, s20, s14
	s_add_u32 s0, s0, s27
	s_addc_u32 s20, 0, s26
	s_add_u32 s0, s0, s25
	s_mul_hi_u32 s1, s5, s14
	s_addc_u32 s0, s20, s24
	s_addc_u32 s1, s1, 0
	s_mul_i32 s14, s5, s14
	s_add_u32 s0, s0, s14
	s_addc_u32 s1, 0, s1
	v_add_co_u32_e32 v0, vcc, s0, v0
	s_cmp_lg_u64 vcc, 0
	s_addc_u32 s5, s5, s1
	s_ashr_i32 s0, s11, 31
	s_add_u32 s24, s4, s0
	s_mov_b32 s1, s0
	s_addc_u32 s25, s11, s0
	s_xor_b64 s[24:25], s[24:25], s[0:1]
	v_readfirstlane_b32 s14, v0
	s_mul_i32 s11, s24, s5
	s_mul_hi_u32 s20, s24, s14
	s_mul_hi_u32 s1, s24, s5
	s_add_u32 s11, s20, s11
	s_addc_u32 s1, 0, s1
	s_mul_hi_u32 s26, s25, s14
	s_mul_i32 s14, s25, s14
	s_add_u32 s11, s11, s14
	s_mul_hi_u32 s20, s25, s5
	s_addc_u32 s1, s1, s26
	s_addc_u32 s11, s20, 0
	s_mul_i32 s5, s25, s5
	s_add_u32 s1, s1, s5
	s_addc_u32 s5, 0, s11
	s_mul_i32 s5, s9, s5
	s_mul_hi_u32 s20, s9, s1
	s_add_i32 s20, s20, s5
	s_mul_i32 s5, s9, s1
	v_mov_b32_e32 v0, s5
	s_add_u32 s11, s1, 1
	s_add_u32 s14, s1, 2
	v_sub_co_u32_e32 v0, vcc, s24, v0
	s_cmp_lg_u64 vcc, 0
	s_subb_u32 s5, s25, s20
	v_subrev_co_u32_e32 v1, vcc, s9, v0
	s_cmp_lg_u64 vcc, 0
	s_subb_u32 s20, s5, 0
	v_cmp_le_u32_e32 vcc, s9, v1
	s_cmp_eq_u32 s20, 0
	v_cndmask_b32_e64 v1, 0, -1, vcc
	s_cselect_b64 vcc, -1, 0
	v_cndmask_b32_e32 v1, -1, v1, vcc
	v_mov_b32_e32 v13, s11
	v_mov_b32_e32 v14, s14
	v_cmp_ne_u32_e32 vcc, 0, v1
	v_cndmask_b32_e32 v1, v13, v14, vcc
	v_cmp_le_u32_e32 vcc, s9, v0
	s_cmp_eq_u32 s5, 0
	v_cndmask_b32_e64 v0, 0, -1, vcc
	s_cselect_b64 vcc, -1, 0
	v_cndmask_b32_e32 v0, -1, v0, vcc
	v_mov_b32_e32 v13, s1
	v_cmp_ne_u32_e32 vcc, 0, v0
	v_cndmask_b32_e32 v0, v13, v1, vcc
	v_xor_b32_e32 v0, s0, v0
	v_subrev_co_u32_e32 v0, vcc, s0, v0
	s_cbranch_execnz .LBB45_11
.LBB45_10:
	s_sub_i32 s0, 0, s9
	v_mul_lo_u32 v0, s0, v11
	v_mul_hi_u32 v0, v11, v0
	v_add_u32_e32 v0, v11, v0
	v_mul_hi_u32 v0, s4, v0
	v_mul_lo_u32 v13, v0, s9
	v_sub_u32_e32 v13, s4, v13
	v_add_u32_e32 v1, 1, v0
	v_subrev_u32_e32 v14, s9, v13
	v_cmp_le_u32_e32 vcc, s9, v13
	v_cndmask_b32_e32 v13, v13, v14, vcc
	v_cndmask_b32_e32 v0, v0, v1, vcc
	v_add_u32_e32 v1, 1, v0
	v_cmp_le_u32_e32 vcc, s9, v13
	v_cndmask_b32_e32 v0, v0, v1, vcc
.LBB45_11:
	v_cmp_ne_u32_e32 vcc, v8, v0
	s_cbranch_vccz .LBB45_14
; %bb.12:
	s_add_i32 s0, s8, s9
	s_lshl_b32 s0, s0, 3
	v_mul_hi_u32 v1, v0, s16
	s_add_i32 s0, s0, s21
	s_mov_b32 s1, s10
	v_add_u32_e32 v1, v1, v0
	s_lshl_b64 s[0:1], s[0:1], 3
	v_lshrrev_b32_e32 v1, s17, v1
	s_add_u32 s4, s2, s0
	v_mul_lo_u32 v13, v1, s18
	s_addc_u32 s5, s3, s1
	v_cmp_eq_u32_e32 vcc, v13, v0
	v_cmp_gt_u32_e64 s[0:1], s19, v1
	s_or_b64 s[0:1], s[0:1], vcc
	s_and_b64 vcc, exec, s[0:1]
	s_cbranch_vccnz .LBB45_16
; %bb.13:
	s_add_i32 s11, s8, -1
	s_mov_b64 s[0:1], 0
	s_branch .LBB45_17
.LBB45_14:
                                        ; implicit-def: $sgpr0_sgpr1
                                        ; implicit-def: $vgpr14
                                        ; implicit-def: $vgpr1
                                        ; implicit-def: $vgpr13
                                        ; implicit-def: $sgpr11
                                        ; implicit-def: $vgpr0
	s_branch .LBB45_18
.LBB45_15:
                                        ; implicit-def: $vgpr0_vgpr1
	s_branch .LBB45_10
.LBB45_16:
	s_mov_b64 s[0:1], -1
	s_mov_b32 s11, s8
	v_mov_b32_e32 v0, v8
.LBB45_17:
	v_lshl_add_u32 v14, s8, 9, v4
	v_ashrrev_i32_e32 v15, 31, v14
	v_lshlrev_b64 v[14:15], 2, v[14:15]
	v_mov_b32_e32 v1, s23
	v_add_co_u32_e32 v14, vcc, s22, v14
	v_addc_co_u32_e32 v15, vcc, v1, v15, vcc
	global_load_dword v14, v[14:15], off
	s_load_dwordx2 s[4:5], s[4:5], 0x0
	v_max_f32_e32 v1, v7, v7
	s_waitcnt lgkmcnt(0)
	v_max_f32_e64 v13, s4, s4
	v_max_f32_e32 v1, v1, v13
	v_sub_f32_e32 v13, v7, v1
	v_sub_f32_e32 v15, s4, v1
	v_mul_f32_e32 v16, 0x3fb8aa3b, v13
	v_mul_f32_e32 v17, 0x3fb8aa3b, v15
	v_fma_f32 v18, v13, s6, -v16
	v_rndne_f32_e32 v19, v16
	v_fma_f32 v20, v15, s6, -v17
	v_rndne_f32_e32 v21, v17
	v_fmac_f32_e32 v18, 0x32a5705f, v13
	v_sub_f32_e32 v16, v16, v19
	v_fmac_f32_e32 v20, 0x32a5705f, v15
	v_sub_f32_e32 v17, v17, v21
	v_add_f32_e32 v16, v16, v18
	v_cvt_i32_f32_e32 v19, v19
	v_add_f32_e32 v17, v17, v20
	v_exp_f32_e32 v16, v16
	v_cvt_i32_f32_e32 v21, v21
	v_exp_f32_e32 v17, v17
	v_cmp_ngt_f32_e32 vcc, s7, v13
	v_ldexp_f32 v16, v16, v19
	v_cndmask_b32_e32 v16, 0, v16, vcc
	v_ldexp_f32 v17, v17, v21
	v_cmp_ngt_f32_e32 vcc, s7, v15
	v_cndmask_b32_e32 v17, 0, v17, vcc
	v_cmp_nlt_f32_e32 vcc, s12, v13
	v_cndmask_b32_e32 v16, v12, v16, vcc
	v_cmp_nlt_f32_e32 vcc, s12, v15
	v_cndmask_b32_e32 v17, v12, v17, vcc
	v_cmp_le_f32_e32 vcc, s13, v13
	v_cndmask_b32_e32 v16, 0, v16, vcc
	v_cmp_le_f32_e32 vcc, s13, v15
	v_cndmask_b32_e32 v15, 0, v17, vcc
	v_mul_f32_e32 v13, s5, v15
	v_fmac_f32_e32 v13, v6, v16
	s_waitcnt vmcnt(0)
	v_mul_f32_e32 v14, v14, v15
	v_fmac_f32_e32 v14, v5, v16
	s_cbranch_execnz .LBB45_19
.LBB45_18:
	s_add_i32 s11, s8, -1
	s_mov_b64 s[0:1], 0
	v_mov_b32_e32 v0, v8
	v_mov_b32_e32 v13, v6
	;; [unrolled: 1-line block ×3, first 2 shown]
	s_waitcnt vmcnt(0)
	v_mov_b32_e32 v14, v5
.LBB45_19:
	s_andn2_b64 vcc, exec, s[0:1]
	s_cbranch_vccz .LBB45_23
; %bb.20:
	v_mov_b32_e32 v8, v0
	s_mov_b32 s8, s11
	v_mov_b32_e32 v6, v13
	v_mov_b32_e32 v7, v1
	s_waitcnt vmcnt(0)
	v_mov_b32_e32 v5, v14
	s_mul_hi_i32 s11, s8, s15
	s_cmp_lg_u64 s[10:11], 0
	s_mul_i32 s4, s8, s15
	s_cbranch_scc1 .LBB45_9
	s_branch .LBB45_15
.LBB45_21:
                                        ; implicit-def: $sgpr20_sgpr21
	s_load_dwordx4 s[16:19], s[4:5], 0x44
	s_branch .LBB45_2
.LBB45_22:
                                        ; implicit-def: $vgpr2_vgpr3
	s_branch .LBB45_5
.LBB45_23:
	v_div_scale_f32 v0, s[0:1], v13, v13, v14
	v_rcp_f32_e32 v1, v0
	v_div_scale_f32 v4, vcc, v14, v13, v14
	s_waitcnt vmcnt(0)
	v_fma_f32 v5, -v0, v1, 1.0
	v_fmac_f32_e32 v1, v5, v1
	v_mul_f32_e32 v5, v4, v1
	v_fma_f32 v6, -v0, v5, v4
	v_fmac_f32_e32 v5, v6, v1
	v_fma_f32 v0, -v0, v5, v4
	v_div_fmas_f32 v0, v0, v1, v5
	v_div_fixup_f32 v0, v0, v13, v14
	global_store_dword v[2:3], v0, off
.LBB45_24:
	s_endpgm
	.section	.rodata,"a",@progbits
	.p2align	6, 0x0
	.amdhsa_kernel _ZL33flash_attn_stream_k_fixup_generalILi64ELi4ELi2EEvPfPK15HIP_vector_typeIfLj2EEiiiiS1_IjLj3EES5_S5_S5_
		.amdhsa_group_segment_fixed_size 0
		.amdhsa_private_segment_fixed_size 0
		.amdhsa_kernarg_size 336
		.amdhsa_user_sgpr_count 6
		.amdhsa_user_sgpr_private_segment_buffer 1
		.amdhsa_user_sgpr_dispatch_ptr 0
		.amdhsa_user_sgpr_queue_ptr 0
		.amdhsa_user_sgpr_kernarg_segment_ptr 1
		.amdhsa_user_sgpr_dispatch_id 0
		.amdhsa_user_sgpr_flat_scratch_init 0
		.amdhsa_user_sgpr_kernarg_preload_length 0
		.amdhsa_user_sgpr_kernarg_preload_offset 0
		.amdhsa_user_sgpr_private_segment_size 0
		.amdhsa_uses_dynamic_stack 0
		.amdhsa_system_sgpr_private_segment_wavefront_offset 0
		.amdhsa_system_sgpr_workgroup_id_x 1
		.amdhsa_system_sgpr_workgroup_id_y 1
		.amdhsa_system_sgpr_workgroup_id_z 1
		.amdhsa_system_sgpr_workgroup_info 0
		.amdhsa_system_vgpr_workitem_id 0
		.amdhsa_next_free_vgpr 22
		.amdhsa_next_free_sgpr 32
		.amdhsa_accum_offset 24
		.amdhsa_reserve_vcc 1
		.amdhsa_reserve_flat_scratch 0
		.amdhsa_float_round_mode_32 0
		.amdhsa_float_round_mode_16_64 0
		.amdhsa_float_denorm_mode_32 3
		.amdhsa_float_denorm_mode_16_64 3
		.amdhsa_dx10_clamp 1
		.amdhsa_ieee_mode 1
		.amdhsa_fp16_overflow 0
		.amdhsa_tg_split 0
		.amdhsa_exception_fp_ieee_invalid_op 0
		.amdhsa_exception_fp_denorm_src 0
		.amdhsa_exception_fp_ieee_div_zero 0
		.amdhsa_exception_fp_ieee_overflow 0
		.amdhsa_exception_fp_ieee_underflow 0
		.amdhsa_exception_fp_ieee_inexact 0
		.amdhsa_exception_int_div_zero 0
	.end_amdhsa_kernel
	.section	.text._ZL33flash_attn_stream_k_fixup_generalILi64ELi4ELi2EEvPfPK15HIP_vector_typeIfLj2EEiiiiS1_IjLj3EES5_S5_S5_,"axG",@progbits,_ZL33flash_attn_stream_k_fixup_generalILi64ELi4ELi2EEvPfPK15HIP_vector_typeIfLj2EEiiiiS1_IjLj3EES5_S5_S5_,comdat
.Lfunc_end45:
	.size	_ZL33flash_attn_stream_k_fixup_generalILi64ELi4ELi2EEvPfPK15HIP_vector_typeIfLj2EEiiiiS1_IjLj3EES5_S5_S5_, .Lfunc_end45-_ZL33flash_attn_stream_k_fixup_generalILi64ELi4ELi2EEvPfPK15HIP_vector_typeIfLj2EEiiiiS1_IjLj3EES5_S5_S5_
                                        ; -- End function
	.section	.AMDGPU.csdata,"",@progbits
; Kernel info:
; codeLenInByte = 2824
; NumSgprs: 36
; NumVgprs: 22
; NumAgprs: 0
; TotalNumVgprs: 22
; ScratchSize: 0
; MemoryBound: 0
; FloatMode: 240
; IeeeMode: 1
; LDSByteSize: 0 bytes/workgroup (compile time only)
; SGPRBlocks: 4
; VGPRBlocks: 2
; NumSGPRsForWavesPerEU: 36
; NumVGPRsForWavesPerEU: 22
; AccumOffset: 24
; Occupancy: 8
; WaveLimiterHint : 0
; COMPUTE_PGM_RSRC2:SCRATCH_EN: 0
; COMPUTE_PGM_RSRC2:USER_SGPR: 6
; COMPUTE_PGM_RSRC2:TRAP_HANDLER: 0
; COMPUTE_PGM_RSRC2:TGID_X_EN: 1
; COMPUTE_PGM_RSRC2:TGID_Y_EN: 1
; COMPUTE_PGM_RSRC2:TGID_Z_EN: 1
; COMPUTE_PGM_RSRC2:TIDIG_COMP_CNT: 0
; COMPUTE_PGM_RSRC3_GFX90A:ACCUM_OFFSET: 5
; COMPUTE_PGM_RSRC3_GFX90A:TG_SPLIT: 0
	.section	.text._ZL15flash_attn_tileILi64ELi64ELi2ELi2ELb0EEvPKcS1_S1_S1_S1_PKiPfP15HIP_vector_typeIfLj2EEffffjfiS5_IjLj3EEiiiiiiiiiiiliiliiiiil,"axG",@progbits,_ZL15flash_attn_tileILi64ELi64ELi2ELi2ELb0EEvPKcS1_S1_S1_S1_PKiPfP15HIP_vector_typeIfLj2EEffffjfiS5_IjLj3EEiiiiiiiiiiiliiliiiiil,comdat
	.globl	_ZL15flash_attn_tileILi64ELi64ELi2ELi2ELb0EEvPKcS1_S1_S1_S1_PKiPfP15HIP_vector_typeIfLj2EEffffjfiS5_IjLj3EEiiiiiiiiiiiliiliiiiil ; -- Begin function _ZL15flash_attn_tileILi64ELi64ELi2ELi2ELb0EEvPKcS1_S1_S1_S1_PKiPfP15HIP_vector_typeIfLj2EEffffjfiS5_IjLj3EEiiiiiiiiiiiliiliiiiil
	.p2align	8
	.type	_ZL15flash_attn_tileILi64ELi64ELi2ELi2ELb0EEvPKcS1_S1_S1_S1_PKiPfP15HIP_vector_typeIfLj2EEffffjfiS5_IjLj3EEiiiiiiiiiiiliiliiiiil,@function
_ZL15flash_attn_tileILi64ELi64ELi2ELi2ELb0EEvPKcS1_S1_S1_S1_PKiPfP15HIP_vector_typeIfLj2EEffffjfiS5_IjLj3EEiiiiiiiiiiiliiliiiiil: ; @_ZL15flash_attn_tileILi64ELi64ELi2ELi2ELb0EEvPKcS1_S1_S1_S1_PKiPfP15HIP_vector_typeIfLj2EEffffjfiS5_IjLj3EEiiiiiiiiiiiliiliiiiil
; %bb.0:
	s_load_dwordx4 s[24:27], s[4:5], 0x5c
	s_load_dwordx2 s[28:29], s[4:5], 0x80
	s_mov_b64 s[30:31], 0
	s_waitcnt lgkmcnt(0)
	s_lshr_b32 s0, s27, 31
	s_add_i32 s0, s27, s0
	s_ashr_i32 s0, s0, 1
	v_cvt_f32_u32_e32 v1, s0
	s_sub_i32 s1, 0, s0
	v_rcp_iflag_f32_e32 v1, v1
	v_mul_f32_e32 v1, 0x4f7ffffe, v1
	v_cvt_u32_f32_e32 v1, v1
	v_readfirstlane_b32 s2, v1
	s_mul_i32 s1, s1, s2
	s_mul_hi_u32 s1, s2, s1
	s_add_i32 s2, s2, s1
	s_mul_hi_u32 s1, s8, s2
	s_mul_i32 s2, s1, s0
	s_sub_i32 s2, s8, s2
	s_add_i32 s3, s1, 1
	s_sub_i32 s9, s2, s0
	s_cmp_ge_u32 s2, s0
	s_cselect_b32 s1, s3, s1
	s_cselect_b32 s2, s9, s2
	s_add_i32 s3, s1, 1
	s_cmp_ge_u32 s2, s0
	s_cselect_b32 s33, s3, s1
	s_abs_i32 s0, s29
	v_cvt_f32_u32_e32 v1, s0
	s_lshl_b32 s1, s8, 1
	s_mul_i32 s8, s33, s27
	s_xor_b32 s2, s27, s29
	v_rcp_iflag_f32_e32 v1, v1
	s_sub_i32 s9, 0, s0
	s_sub_i32 s29, s1, s8
	s_abs_i32 s3, s27
	v_mul_f32_e32 v1, 0x4f7ffffe, v1
	v_cvt_u32_f32_e32 v1, v1
	s_ashr_i32 s2, s2, 31
	v_readfirstlane_b32 s1, v1
	s_mul_i32 s9, s9, s1
	s_mul_hi_u32 s8, s1, s9
	s_add_i32 s1, s1, s8
	s_mul_hi_u32 s1, s3, s1
	s_mul_i32 s8, s1, s0
	s_sub_i32 s3, s3, s8
	s_add_i32 s9, s1, 1
	s_sub_i32 s8, s3, s0
	s_cmp_ge_u32 s3, s0
	s_cselect_b32 s1, s9, s1
	s_cselect_b32 s3, s8, s3
	s_add_i32 s8, s1, 1
	s_cmp_ge_u32 s3, s0
	s_cselect_b32 s0, s8, s1
	s_xor_b32 s0, s0, s2
	s_sub_i32 s35, s0, s2
	s_abs_i32 s34, s35
	v_cvt_f32_u32_e32 v1, s34
	s_load_dwordx16 s[8:23], s[4:5], 0x0
	s_load_dwordx2 s[0:1], s[4:5], 0xb8
	v_rcp_iflag_f32_e32 v1, v1
	s_waitcnt lgkmcnt(0)
	s_cmp_eq_u64 s[14:15], 0
	v_mul_f32_e32 v1, 0x4f7ffffe, v1
	v_cvt_u32_f32_e32 v1, v1
	v_readfirstlane_b32 s36, v1
	s_cbranch_scc1 .LBB46_2
; %bb.1:
	s_abs_i32 s0, s0
	v_cvt_f32_u32_e32 v1, s0
	s_sub_i32 s37, 0, s0
	s_abs_i32 s31, s33
	s_ashr_i32 s30, s33, 31
	v_rcp_iflag_f32_e32 v1, v1
	s_load_dwordx2 s[2:3], s[4:5], 0xc8
	v_mul_f32_e32 v1, 0x4f7ffffe, v1
	v_cvt_u32_f32_e32 v1, v1
	v_readfirstlane_b32 s38, v1
	s_mul_i32 s37, s37, s38
	s_mul_hi_u32 s37, s38, s37
	s_add_i32 s38, s38, s37
	s_mul_hi_u32 s37, s31, s38
	s_mul_i32 s37, s37, s0
	s_sub_i32 s31, s31, s37
	s_sub_i32 s37, s31, s0
	s_cmp_ge_u32 s31, s0
	s_cselect_b32 s31, s37, s31
	s_sub_i32 s37, s31, s0
	s_cmp_ge_u32 s31, s0
	s_cselect_b32 s0, s37, s31
	s_xor_b32 s0, s0, s30
	s_sub_i32 s0, s0, s30
	s_ashr_i32 s30, s0, 31
	s_waitcnt lgkmcnt(0)
	s_mul_i32 s3, s0, s3
	s_mul_hi_u32 s31, s0, s2
	s_add_i32 s3, s31, s3
	s_mul_i32 s30, s30, s2
	s_add_i32 s3, s3, s30
	s_mul_i32 s0, s0, s2
	s_add_u32 s30, s14, s0
	s_addc_u32 s31, s15, s3
.LBB46_2:
	s_load_dwordx4 s[40:43], s[4:5], 0x70
	v_bfe_u32 v2, v0, 10, 10
	v_lshrrev_b32_e32 v3, 1, v2
	v_lshl_add_u32 v24, s6, 1, v3
	v_mul_hi_u32 v3, s24, v24
	s_waitcnt lgkmcnt(0)
	s_mul_i32 s0, s33, s42
	s_ashr_i32 s3, s0, 31
	s_mul_i32 s2, s29, s41
	s_add_u32 s0, s8, s0
	s_addc_u32 s3, s9, s3
	s_ashr_i32 s8, s2, 31
	s_add_u32 s0, s0, s2
	v_add_u32_e32 v3, v24, v3
	s_addc_u32 s8, s3, s8
	s_ashr_i32 s2, s41, 31
	v_mov_b32_e32 v4, s41
	v_lshrrev_b32_e32 v3, s25, v3
	v_and_b32_e32 v1, 1, v2
	v_alignbit_b32 v4, s2, v4, 2
	v_mul_lo_u32 v3, v3, s26
	v_mul_lo_u32 v6, v4, v1
	v_sub_u32_e32 v4, v24, v3
	s_ashr_i32 s9, s40, 31
	v_mov_b32_e32 v3, s40
	s_lshr_b32 s3, s2, 2
	v_alignbit_b32 v3, s9, v3, 2
	v_mul_lo_u32 v7, s3, v1
	v_mad_u64_u32 v[8:9], s[2:3], v3, v4, 0
	v_mov_b32_e32 v10, v9
	s_lshr_b32 s2, s9, 2
	v_mad_u64_u32 v[10:11], s[2:3], s2, v4, v[10:11]
	v_lshlrev_b64 v[6:7], 2, v[6:7]
	v_mov_b32_e32 v9, v10
	v_mov_b32_e32 v3, s8
	v_add_co_u32_e32 v5, vcc, s0, v6
	v_addc_co_u32_e32 v3, vcc, v3, v7, vcc
	v_lshlrev_b64 v[6:7], 2, v[8:9]
	v_and_b32_e32 v0, 0x3ff, v0
	v_add_co_u32_e32 v5, vcc, v5, v6
	v_addc_co_u32_e32 v3, vcc, v3, v7, vcc
	v_lshlrev_b32_e32 v6, 3, v0
	v_add_co_u32_e32 v6, vcc, v5, v6
	v_addc_co_u32_e32 v7, vcc, 0, v3, vcc
	global_load_dwordx2 v[6:7], v[6:7], off
	s_load_dword s0, s[4:5], 0x40
	v_lshlrev_b32_e32 v3, 5, v2
	v_add_lshl_u32 v3, v3, v0, 2
	s_cmp_eq_u64 s[18:19], 0
	s_waitcnt vmcnt(0) lgkmcnt(0)
	v_fma_mixlo_f16 v5, v6, s0, 0
	v_fma_mixhi_f16 v5, v7, s0, 0
	ds_write_b32 v3, v5 offset:9728
	s_waitcnt lgkmcnt(0)
	s_barrier
	s_cbranch_scc1 .LBB46_4
; %bb.3:
	s_load_dword s0, s[4:5], 0xd0
	s_mov_b32 s3, 0
	s_waitcnt lgkmcnt(0)
	s_mul_i32 s0, s0, s33
	s_add_i32 s2, s0, s6
	s_lshl_b64 s[2:3], s[2:3], 2
	s_add_u32 s2, s18, s2
	s_addc_u32 s3, s19, s3
	s_load_dword s28, s[2:3], 0x0
.LBB46_4:
	s_lshl_b32 s6, s7, 6
	s_waitcnt lgkmcnt(0)
	s_cmp_lt_i32 s6, s28
	v_mbcnt_lo_u32_b32 v12, -1, 0
	s_cbranch_scc1 .LBB46_6
; %bb.5:
	v_mbcnt_hi_u32_b32 v3, -1, v12
	v_and_b32_e32 v5, 0x60, v3
	s_mov_b32 s0, 0
	v_add_u32_e32 v27, 32, v5
	v_xor_b32_e32 v32, 16, v3
	v_xor_b32_e32 v31, 8, v3
	;; [unrolled: 1-line block ×5, first 2 shown]
	s_mov_b64 s[2:3], 0
	s_mov_b32 s8, 0xfeffffff
	s_branch .LBB46_7
.LBB46_6:
	s_mov_b64 s[2:3], -1
                                        ; implicit-def: $sgpr0
                                        ; implicit-def: $sgpr8
                                        ; implicit-def: $vgpr3
                                        ; implicit-def: $vgpr27
                                        ; implicit-def: $vgpr32
                                        ; implicit-def: $vgpr31
                                        ; implicit-def: $vgpr30
                                        ; implicit-def: $vgpr29
                                        ; implicit-def: $vgpr28
.LBB46_7:
	s_andn2_b64 vcc, exec, s[2:3]
	v_mov_b32_e32 v26, s0
	v_mov_b32_e32 v20, s8
	;; [unrolled: 1-line block ×3, first 2 shown]
	v_lshlrev_b32_e32 v25, 1, v0
	s_cbranch_vccnz .LBB46_10
; %bb.8:
	s_sub_i32 s0, 0, s34
	s_mul_i32 s0, s0, s36
	s_mul_hi_u32 s0, s36, s0
	s_add_i32 s0, s36, s0
	s_load_dwordx2 s[2:3], s[4:5], 0x8c
	s_load_dwordx4 s[36:39], s[4:5], 0x98
	s_ashr_i32 s24, s35, 31
	s_abs_i32 s18, s29
	s_ashr_i32 s19, s29, 31
	s_waitcnt lgkmcnt(0)
	s_ashr_i32 s15, s2, 2
	s_ashr_i32 s2, s33, 31
	s_mul_i32 s25, s33, s37
	s_mul_hi_u32 s35, s33, s36
	s_add_i32 s25, s35, s25
	s_mul_i32 s35, s2, s36
	s_ashr_i32 s14, s38, 2
	s_ashr_i32 s1, s1, 1
	s_add_i32 s25, s25, s35
	s_mul_i32 s35, s33, s36
	s_mul_hi_u32 s0, s18, s0
	s_add_u32 s10, s10, s35
	s_addc_u32 s11, s11, s25
	s_xor_b32 s19, s19, s24
	s_mul_i32 s24, s0, s34
	s_sub_i32 s18, s18, s24
	s_add_i32 s24, s0, 1
	s_sub_i32 s25, s18, s34
	s_cmp_ge_u32 s18, s34
	s_cselect_b32 s0, s24, s0
	s_cselect_b32 s18, s25, s18
	s_add_i32 s24, s0, 1
	s_cmp_ge_u32 s18, s34
	s_load_dwordx2 s[8:9], s[4:5], 0xa8
	s_cselect_b32 s0, s24, s0
	s_xor_b32 s0, s0, s19
	s_sub_i32 s0, s0, s19
	s_mul_i32 s3, s0, s3
	s_ashr_i32 s19, s3, 31
	s_add_u32 s18, s10, s3
	s_waitcnt lgkmcnt(0)
	s_mul_i32 s3, s33, s9
	s_mul_hi_u32 s9, s33, s8
	s_addc_u32 s19, s11, s19
	s_add_i32 s3, s9, s3
	s_mul_i32 s2, s2, s8
	s_add_i32 s3, s3, s2
	s_mul_i32 s2, s33, s8
	s_add_u32 s2, s12, s2
	s_mul_i32 s0, s0, s39
	v_lshlrev_b32_e32 v33, 2, v0
	s_addc_u32 s3, s13, s3
	s_ashr_i32 s8, s0, 31
	v_lshrrev_b32_e32 v3, 3, v0
	v_and_b32_e32 v6, 28, v33
	s_add_u32 s12, s2, s0
	v_lshl_add_u32 v5, v2, 2, v3
	v_lshlrev_b32_e32 v7, 2, v6
	s_movk_i32 s0, 0x90
	s_addc_u32 s13, s3, s8
	v_mad_u32_u24 v34, v5, s0, v7
	v_mul_lo_u32 v8, s15, v5
	s_lshl_b32 s0, s15, 4
	v_add_u32_e32 v10, s0, v8
	v_add_u32_e32 v14, s0, v10
	;; [unrolled: 1-line block ×3, first 2 shown]
	v_lshlrev_b32_e32 v38, 7, v2
	v_mad_u64_u32 v[2:3], s[0:1], v4, s1, v[0:1]
	s_movk_i32 s0, 0x2400
	v_add3_u32 v40, v38, v25, s0
	v_mul_lo_u32 v18, s14, v5
	s_lshl_b32 s0, s14, 4
	v_add_u32_e32 v22, s0, v18
	v_add_u32_e32 v48, s0, v22
	;; [unrolled: 1-line block ×3, first 2 shown]
	v_mbcnt_hi_u32_b32 v3, -1, v12
	v_ashrrev_i32_e32 v9, 31, v8
	v_ashrrev_i32_e32 v11, 31, v10
	;; [unrolled: 1-line block ×4, first 2 shown]
	v_lshl_or_b32 v41, v5, 7, v7
	v_ashrrev_i32_e32 v19, 31, v18
	v_ashrrev_i32_e32 v23, 31, v22
	;; [unrolled: 1-line block ×4, first 2 shown]
	s_add_u32 s10, s4, 0xd0
	v_and_b32_e32 v12, 0x60, v3
	v_mov_b32_e32 v26, 0
	v_add_u32_e32 v35, 0x900, v34
	v_add_u32_e32 v36, 0x1200, v34
	v_add_u32_e32 v37, 0x1b00, v34
	v_mul_u32_u24_e32 v39, 0x90, v0
	v_add_u32_e32 v42, 0x800, v41
	v_add_u32_e32 v43, 0x1000, v41
	;; [unrolled: 1-line block ×3, first 2 shown]
	s_addc_u32 s11, s5, 0
	v_mov_b32_e32 v20, 0xfeffffff
	v_lshlrev_b64 v[4:5], 2, v[8:9]
	v_lshlrev_b32_e32 v45, 2, v6
	v_lshlrev_b64 v[6:7], 2, v[10:11]
	v_lshlrev_b64 v[8:9], 2, v[14:15]
	;; [unrolled: 1-line block ×3, first 2 shown]
	v_mov_b32_e32 v46, s31
	v_add_u32_e32 v27, 32, v12
	v_xor_b32_e32 v32, 16, v3
	v_xor_b32_e32 v31, 8, v3
	;; [unrolled: 1-line block ×5, first 2 shown]
	s_mov_b32 s24, 0x3fb8aa3b
	s_mov_b32 s25, 0xc2ce8ed0
	;; [unrolled: 1-line block ×3, first 2 shown]
	v_mov_b32_e32 v47, 0x7f800000
	v_lshlrev_b64 v[12:13], 2, v[18:19]
	v_lshlrev_b64 v[14:15], 2, v[22:23]
	v_lshlrev_b64 v[16:17], 2, v[48:49]
	v_lshlrev_b64 v[18:19], 2, v[50:51]
	v_add_u32_e32 v48, 0x400, v33
	v_add_u32_e32 v49, 0x800, v33
	v_add_u32_e32 v50, 0xc00, v33
	v_add_u32_e32 v51, 0x1000, v33
	v_add_u32_e32 v52, 0x1400, v33
	v_add_u32_e32 v53, 0x1800, v33
	v_add_u32_e32 v54, 0x1c00, v33
	v_mov_b32_e32 v22, 0
.LBB46_9:                               ; =>This Inner Loop Header: Depth=1
	v_cmp_lt_i32_e32 vcc, v32, v27
	v_cndmask_b32_e32 v23, v3, v32, vcc
	v_cmp_lt_i32_e32 vcc, v31, v27
	v_add_u32_e32 v56, s6, v2
	v_cndmask_b32_e32 v58, v3, v31, vcc
	v_cmp_lt_i32_e32 vcc, v30, v27
	s_mul_hi_i32 s1, s6, s15
	s_mul_i32 s0, s6, s15
	v_cndmask_b32_e32 v59, v3, v30, vcc
	v_cmp_lt_i32_e32 vcc, v29, v27
	v_ashrrev_i32_e32 v57, 31, v56
	v_cndmask_b32_e32 v60, v3, v29, vcc
	v_cmp_lt_i32_e32 vcc, v28, v27
	v_mov_b32_e32 v80, v22
	s_lshl_b64 s[0:1], s[0:1], 2
	v_lshlrev_b32_e32 v81, 2, v23
	v_lshlrev_b64 v[22:23], 1, v[56:57]
	v_cndmask_b32_e32 v61, v3, v28, vcc
	s_add_u32 s8, s18, s0
	v_add_co_u32_e32 v22, vcc, s30, v22
	s_addc_u32 s9, s19, s1
	v_addc_co_u32_e32 v23, vcc, v46, v23, vcc
	s_mul_hi_i32 s3, s6, s14
	s_mul_i32 s2, s6, s14
	v_lshlrev_b32_e32 v82, 2, v58
	v_mov_b32_e32 v57, s9
	v_add_co_u32_e32 v58, vcc, s8, v6
	v_lshlrev_b32_e32 v83, 2, v59
	v_lshlrev_b32_e32 v85, 2, v61
	s_lshl_b64 s[34:35], s[2:3], 2
	v_mov_b32_e32 v56, s9
	v_mov_b32_e32 v59, s9
	v_add_co_u32_e64 v61, s[0:1], s8, v8
	v_mov_b32_e32 v62, s9
	v_add_co_u32_e64 v63, s[2:3], s8, v10
	v_add_co_u32_e64 v65, s[8:9], s8, v4
	v_addc_co_u32_e32 v67, vcc, v57, v7, vcc
	v_lshlrev_b32_e32 v84, 2, v60
	v_addc_co_u32_e64 v66, s[8:9], v56, v5, s[8:9]
	v_add_co_u32_e32 v60, vcc, v58, v45
	v_addc_co_u32_e64 v58, s[0:1], v59, v9, s[0:1]
	v_addc_co_u32_e64 v59, s[2:3], v62, v11, s[2:3]
	v_add_co_u32_e64 v64, s[0:1], v61, v45
	v_add_co_u32_e64 v68, s[2:3], v63, v45
	;; [unrolled: 1-line block ×3, first 2 shown]
	v_addc_co_u32_e64 v57, s[8:9], 0, v66, s[8:9]
	v_addc_co_u32_e32 v61, vcc, 0, v67, vcc
	v_addc_co_u32_e64 v65, vcc, 0, v58, s[0:1]
	v_addc_co_u32_e64 v69, vcc, 0, v59, s[2:3]
	global_load_dwordx4 v[56:59], v[56:57], off
	s_nop 0
	global_load_dwordx4 v[60:63], v[60:61], off
	s_nop 0
	;; [unrolled: 2-line block ×3, first 2 shown]
	global_load_dwordx4 v[68:71], v[68:69], off
	v_mov_b32_e32 v55, v20
	v_mov_b32_e32 v20, 0
	;; [unrolled: 1-line block ×3, first 2 shown]
	s_add_u32 s34, s12, s34
	s_addc_u32 s35, s13, s35
	v_mov_b32_e32 v72, s35
	v_add_co_u32_e32 v73, vcc, s34, v12
	v_mov_b32_e32 v74, s35
	v_add_co_u32_e64 v75, s[0:1], s34, v14
	v_mov_b32_e32 v76, s35
	v_add_co_u32_e64 v77, s[2:3], s34, v16
	v_addc_co_u32_e32 v86, vcc, v72, v13, vcc
	v_addc_co_u32_e64 v87, vcc, v74, v15, s[0:1]
	v_mov_b32_e32 v78, s35
	v_add_co_u32_e64 v79, s[8:9], s34, v18
	v_add_co_u32_e32 v72, vcc, v75, v45
	v_addc_co_u32_e64 v75, s[0:1], v76, v17, s[2:3]
	s_waitcnt vmcnt(3)
	ds_write_b128 v34, v[56:59]
	s_waitcnt vmcnt(2)
	ds_write_b128 v35, v[60:63]
	;; [unrolled: 2-line block ×4, first 2 shown]
	s_waitcnt lgkmcnt(0)
	s_barrier
	ds_read_b128 v[56:59], v39
	ds_read_b128 v[60:63], v38 offset:9728
	ds_read_b128 v[64:67], v39 offset:4608
	s_waitcnt lgkmcnt(1)
	;;#ASMSTART
	v_dot2_f32_f16 v20, v56, v60, v20
	;;#ASMEND
	;;#ASMSTART
	v_dot2_f32_f16 v20, v57, v61, v20
	;;#ASMEND
	;;#ASMSTART
	v_dot2_f32_f16 v20, v58, v62, v20
	;;#ASMEND
	;;#ASMSTART
	v_dot2_f32_f16 v20, v59, v63, v20
	;;#ASMEND
	s_waitcnt lgkmcnt(0)
	;;#ASMSTART
	v_dot2_f32_f16 v21, v64, v60, v21
	;;#ASMEND
	;;#ASMSTART
	v_dot2_f32_f16 v21, v65, v61, v21
	;;#ASMEND
	;;#ASMSTART
	v_dot2_f32_f16 v21, v66, v62, v21
	;;#ASMEND
	;;#ASMSTART
	v_dot2_f32_f16 v21, v67, v63, v21
	;;#ASMEND
	ds_read_b128 v[56:59], v39 offset:16
	ds_read_b128 v[60:63], v38 offset:9744
	ds_read_b128 v[64:67], v39 offset:4624
	s_waitcnt lgkmcnt(1)
	;;#ASMSTART
	v_dot2_f32_f16 v20, v56, v60, v20
	;;#ASMEND
	;;#ASMSTART
	v_dot2_f32_f16 v20, v57, v61, v20
	;;#ASMEND
	;;#ASMSTART
	v_dot2_f32_f16 v20, v58, v62, v20
	;;#ASMEND
	;;#ASMSTART
	v_dot2_f32_f16 v20, v59, v63, v20
	;;#ASMEND
	s_waitcnt lgkmcnt(0)
	;;#ASMSTART
	v_dot2_f32_f16 v21, v64, v60, v21
	;;#ASMEND
	;;#ASMSTART
	v_dot2_f32_f16 v21, v65, v61, v21
	;;#ASMEND
	;;#ASMSTART
	v_dot2_f32_f16 v21, v66, v62, v21
	;;#ASMEND
	;;#ASMSTART
	v_dot2_f32_f16 v21, v67, v63, v21
	;;#ASMEND
	ds_read_b128 v[56:59], v39 offset:32
	;; [unrolled: 29-line block ×7, first 2 shown]
	ds_read_b128 v[60:63], v38 offset:9840
	ds_read_b128 v[64:67], v39 offset:4720
	s_waitcnt lgkmcnt(1)
	;;#ASMSTART
	v_dot2_f32_f16 v20, v56, v60, v20
	;;#ASMEND
	;;#ASMSTART
	v_dot2_f32_f16 v20, v57, v61, v20
	;;#ASMEND
	;; [unrolled: 3-line block ×4, first 2 shown]
	s_waitcnt lgkmcnt(0)
	;;#ASMSTART
	v_dot2_f32_f16 v21, v64, v60, v21
	;;#ASMEND
	;;#ASMSTART
	v_dot2_f32_f16 v21, v65, v61, v21
	;;#ASMEND
	v_add_co_u32_e64 v74, s[0:1], v77, v45
	v_addc_co_u32_e64 v77, s[2:3], v78, v19, s[8:9]
	v_add_co_u32_e64 v78, s[8:9], v73, v45
	;;#ASMSTART
	v_dot2_f32_f16 v21, v66, v62, v21
	;;#ASMEND
	v_add_co_u32_e64 v76, s[2:3], v79, v45
	v_addc_co_u32_e64 v79, s[8:9], 0, v86, s[8:9]
	;;#ASMSTART
	v_dot2_f32_f16 v21, v67, v63, v21
	;;#ASMEND
	flat_load_ushort v86, v[22:23] offset:64
	s_nop 0
	flat_load_ushort v22, v[22:23]
	v_addc_co_u32_e32 v73, vcc, 0, v87, vcc
	v_addc_co_u32_e64 v75, vcc, 0, v75, s[0:1]
	v_addc_co_u32_e64 v77, vcc, 0, v77, s[2:3]
	s_waitcnt lgkmcnt(0)
	s_barrier
	global_load_dwordx4 v[56:59], v[78:79], off
	global_load_dwordx4 v[60:63], v[72:73], off
	;; [unrolled: 1-line block ×3, first 2 shown]
                                        ; kill: killed $vgpr78 killed $vgpr79
                                        ; kill: killed $vgpr74 killed $vgpr75
                                        ; kill: killed $vgpr72 killed $vgpr73
	global_load_dwordx4 v[68:71], v[76:77], off
	s_waitcnt vmcnt(0)
	v_cvt_f32_f16_e32 v23, v86
	v_cvt_f32_f16_e32 v22, v22
	v_pk_add_f32 v[22:23], v[20:21], v[22:23]
	v_add_f32_e32 v20, 0x40051340, v22
	v_add_f32_e32 v21, 0x40051340, v23
	v_max3_f32 v20, v55, v20, v21
	ds_bpermute_b32 v21, v81, v20
	s_waitcnt lgkmcnt(0)
	v_max_f32_e32 v21, v21, v21
	v_max_f32_e32 v20, v20, v21
	ds_bpermute_b32 v21, v82, v20
	s_waitcnt lgkmcnt(0)
	v_max_f32_e32 v21, v21, v21
	v_max_f32_e32 v20, v20, v21
	;; [unrolled: 4-line block ×5, first 2 shown]
	v_sub_f32_e32 v21, v55, v20
	v_pk_add_f32 v[22:23], v[22:23], v[20:21] op_sel_hi:[1,0] neg_lo:[0,1] neg_hi:[0,1]
	v_mul_f32_e32 v72, 0x3fb8aa3b, v22
	v_mul_f32_e32 v55, 0x3fb8aa3b, v23
	;; [unrolled: 1-line block ×3, first 2 shown]
	v_fma_f32 v76, v22, s24, -v72
	v_rndne_f32_e32 v77, v72
	v_fma_f32 v74, v23, s24, -v55
	v_rndne_f32_e32 v75, v55
	;; [unrolled: 2-line block ×3, first 2 shown]
	v_fmac_f32_e32 v76, 0x32a5705f, v22
	v_sub_f32_e32 v72, v72, v77
	v_fmac_f32_e32 v74, 0x32a5705f, v23
	v_sub_f32_e32 v55, v55, v75
	;; [unrolled: 2-line block ×3, first 2 shown]
	v_add_f32_e32 v72, v72, v76
	v_cvt_i32_f32_e32 v77, v77
	v_add_f32_e32 v55, v55, v74
	v_add_f32_e32 v73, v73, v78
	v_exp_f32_e32 v72, v72
	v_cvt_i32_f32_e32 v75, v75
	v_cvt_i32_f32_e32 v79, v79
	v_exp_f32_e32 v55, v55
	v_exp_f32_e32 v73, v73
	v_ldexp_f32 v72, v72, v77
	v_cmp_ngt_f32_e32 vcc, s25, v22
	v_ldexp_f32 v55, v55, v75
	v_ldexp_f32 v73, v73, v79
	v_cmp_ngt_f32_e64 s[0:1], s25, v21
	v_cmp_ngt_f32_e64 s[2:3], s25, v23
	v_cndmask_b32_e32 v72, 0, v72, vcc
	v_cmp_nlt_f32_e32 vcc, s31, v22
	v_cndmask_b32_e64 v55, 0, v55, s[2:3]
	v_cndmask_b32_e64 v22, 0, v73, s[0:1]
	v_cmp_nlt_f32_e64 s[0:1], s31, v21
	v_cmp_nlt_f32_e64 s[2:3], s31, v23
	v_cndmask_b32_e32 v23, v47, v72, vcc
	v_cndmask_b32_e64 v21, v47, v55, s[2:3]
	v_cndmask_b32_e64 v55, v47, v22, s[0:1]
	v_cvt_f16_f32_e32 v72, v23
	v_add_f32_e32 v22, v23, v21
	v_cvt_f16_f32_e32 v21, v21
	v_cvt_f16_f32_e32 v23, v55
	v_fmac_f32_e32 v22, v80, v55
	ds_write_b16 v40, v72
	ds_write_b16 v40, v21 offset:64
	ds_write_b128 v41, v[56:59]
	ds_write_b128 v42, v[60:63]
	;; [unrolled: 1-line block ×4, first 2 shown]
	s_waitcnt lgkmcnt(0)
	s_barrier
	ds_read2_b32 v[88:89], v33 offset1:32
	ds_read_b128 v[56:59], v38 offset:9216
	ds_read_b128 v[60:63], v38 offset:9232
	;; [unrolled: 1-line block ×4, first 2 shown]
	ds_read2_b32 v[90:91], v33 offset0:64 offset1:96
	ds_read2_b32 v[92:93], v33 offset0:128 offset1:160
	ds_read2_b32 v[94:95], v33 offset0:192 offset1:224
	ds_read2_b32 v[96:97], v48 offset1:32
	ds_read2_b32 v[98:99], v48 offset0:64 offset1:96
	ds_read2_b32 v[100:101], v48 offset0:128 offset1:160
	ds_read2_b32 v[102:103], v48 offset0:192 offset1:224
	ds_read2_b32 v[104:105], v49 offset1:32
	;; [unrolled: 4-line block ×5, first 2 shown]
	ds_read_b128 v[72:75], v38 offset:9280
	ds_read_b128 v[76:79], v38 offset:9296
	ds_read2_b32 v[130:131], v52 offset0:64 offset1:96
	ds_read2_b32 v[132:133], v52 offset0:128 offset1:160
	;; [unrolled: 1-line block ×3, first 2 shown]
	ds_read2_b32 v[136:137], v53 offset1:32
	ds_read2_b32 v[138:139], v53 offset0:64 offset1:96
	ds_read2_b32 v[140:141], v53 offset0:128 offset1:160
	;; [unrolled: 1-line block ×3, first 2 shown]
	ds_read2_b32 v[144:145], v54 offset1:32
	ds_read_b128 v[80:83], v38 offset:9312
	ds_read_b128 v[84:87], v38 offset:9328
	ds_read2_b32 v[146:147], v54 offset0:64 offset1:96
	ds_read2_b32 v[148:149], v54 offset0:128 offset1:160
	;; [unrolled: 1-line block ×3, first 2 shown]
	s_waitcnt lgkmcnt(14)
	v_pk_mul_f16 v21, v88, v56 op_sel_hi:[1,0]
	v_pk_fma_f16 v21, v26, v23, v21 op_sel_hi:[1,0,1]
	v_pk_fma_f16 v21, v89, v56, v21 op_sel:[0,1,0]
	v_pk_fma_f16 v21, v90, v57, v21 op_sel_hi:[1,0,1]
	v_pk_fma_f16 v21, v91, v57, v21 op_sel:[0,1,0]
	;; [unrolled: 2-line block ×20, first 2 shown]
	s_waitcnt lgkmcnt(13)
	v_pk_fma_f16 v21, v128, v76, v21 op_sel_hi:[1,0,1]
	v_pk_fma_f16 v21, v129, v76, v21 op_sel:[0,1,0]
	s_waitcnt lgkmcnt(12)
	v_pk_fma_f16 v21, v130, v77, v21 op_sel_hi:[1,0,1]
	v_pk_fma_f16 v21, v131, v77, v21 op_sel:[0,1,0]
	;; [unrolled: 3-line block ×5, first 2 shown]
	v_pk_fma_f16 v21, v138, v81, v21 op_sel_hi:[1,0,1]
	v_pk_fma_f16 v21, v139, v81, v21 op_sel:[0,1,0]
	v_pk_fma_f16 v21, v140, v82, v21 op_sel_hi:[1,0,1]
	v_pk_fma_f16 v21, v141, v82, v21 op_sel:[0,1,0]
	;; [unrolled: 2-line block ×3, first 2 shown]
	s_waitcnt lgkmcnt(0)
	s_barrier
	s_load_dword s0, s[10:11], 0x4
	v_pk_fma_f16 v21, v144, v84, v21 op_sel_hi:[1,0,1]
	v_pk_fma_f16 v21, v145, v84, v21 op_sel:[0,1,0]
	v_pk_fma_f16 v21, v146, v85, v21 op_sel_hi:[1,0,1]
	v_pk_fma_f16 v21, v147, v85, v21 op_sel:[0,1,0]
	v_pk_fma_f16 v21, v148, v86, v21 op_sel_hi:[1,0,1]
	s_waitcnt lgkmcnt(0)
	s_lshl_b32 s0, s0, 6
	v_pk_fma_f16 v21, v149, v86, v21 op_sel:[0,1,0]
	s_add_i32 s6, s0, s6
	v_pk_fma_f16 v21, v150, v87, v21 op_sel_hi:[1,0,1]
	s_cmp_lt_i32 s6, s28
	v_pk_fma_f16 v26, v151, v87, v21 op_sel:[0,1,0]
	s_cbranch_scc1 .LBB46_9
.LBB46_10:
	v_cmp_lt_i32_e32 vcc, v32, v27
	v_cndmask_b32_e32 v2, v3, v32, vcc
	v_lshlrev_b32_e32 v2, 2, v2
	ds_bpermute_b32 v2, v2, v22
	v_cmp_lt_i32_e32 vcc, v31, v27
	v_cndmask_b32_e32 v4, v3, v31, vcc
	v_lshlrev_b32_e32 v4, 2, v4
	v_cmp_lt_i32_e32 vcc, v30, v27
	s_waitcnt lgkmcnt(0)
	v_add_f32_e32 v2, v22, v2
	ds_bpermute_b32 v4, v4, v2
	v_cndmask_b32_e32 v5, v3, v30, vcc
	v_lshlrev_b32_e32 v5, 2, v5
	v_cmp_lt_i32_e32 vcc, v29, v27
	s_cmp_eq_u64 s[16:17], 0
	s_waitcnt lgkmcnt(0)
	v_add_f32_e32 v2, v2, v4
	ds_bpermute_b32 v4, v5, v2
	v_cndmask_b32_e32 v5, v3, v29, vcc
	v_lshlrev_b32_e32 v5, 2, v5
	v_cmp_lt_i32_e32 vcc, v28, v27
	v_cndmask_b32_e32 v3, v3, v28, vcc
	s_waitcnt lgkmcnt(0)
	v_add_f32_e32 v2, v2, v4
	ds_bpermute_b32 v4, v5, v2
	v_lshlrev_b32_e32 v3, 2, v3
	s_cselect_b64 s[0:1], -1, 0
	s_cmp_lg_u32 s7, 0
	s_cselect_b64 s[2:3], -1, 0
	s_waitcnt lgkmcnt(0)
	v_add_f32_e32 v2, v2, v4
	ds_bpermute_b32 v3, v3, v2
	s_or_b64 s[0:1], s[2:3], s[0:1]
	s_and_b64 vcc, exec, s[0:1]
	s_waitcnt lgkmcnt(0)
	v_add_f32_e32 v21, v2, v3
	s_cbranch_vccnz .LBB46_13
; %bb.11:
	v_add_u32_e32 v2, s29, v1
	v_ashrrev_i32_e32 v3, 31, v2
	v_lshlrev_b64 v[2:3], 2, v[2:3]
	v_mov_b32_e32 v4, s17
	v_add_co_u32_e32 v2, vcc, s16, v2
	v_addc_co_u32_e32 v3, vcc, v4, v3, vcc
	global_load_dword v3, v[2:3], off
	v_max_f32_e32 v2, v20, v20
	s_mov_b32 s0, 0x3fb8aa3b
	s_mov_b32 s1, 0xc2ce8ed0
	s_waitcnt vmcnt(0)
	v_max_f32_e32 v4, v3, v3
	v_max_f32_e32 v2, v2, v4
	v_sub_f32_e32 v4, v20, v2
	v_sub_f32_e32 v3, v3, v2
	v_mul_f32_e32 v5, 0x3fb8aa3b, v4
	v_mul_f32_e32 v6, 0x3fb8aa3b, v3
	v_fma_f32 v7, v4, s0, -v5
	v_rndne_f32_e32 v8, v5
	v_fma_f32 v9, v3, s0, -v6
	v_rndne_f32_e32 v10, v6
	v_fmac_f32_e32 v7, 0x32a5705f, v4
	v_sub_f32_e32 v5, v5, v8
	v_fmac_f32_e32 v9, 0x32a5705f, v3
	v_sub_f32_e32 v6, v6, v10
	v_add_f32_e32 v5, v5, v7
	v_cvt_i32_f32_e32 v8, v8
	v_add_f32_e32 v6, v6, v9
	v_exp_f32_e32 v5, v5
	v_cvt_i32_f32_e32 v10, v10
	v_exp_f32_e32 v6, v6
	v_cmp_ngt_f32_e32 vcc, s1, v4
	v_ldexp_f32 v5, v5, v8
	s_mov_b32 s0, 0x42b17218
	v_ldexp_f32 v6, v6, v10
	v_cndmask_b32_e32 v5, 0, v5, vcc
	v_cmp_ngt_f32_e32 vcc, s1, v3
	v_mov_b32_e32 v7, 0x7f800000
	v_cndmask_b32_e32 v6, 0, v6, vcc
	v_cmp_nlt_f32_e32 vcc, s0, v4
	v_cndmask_b32_e32 v4, v7, v5, vcc
	v_cvt_f16_f32_e32 v5, v4
	v_cmp_nlt_f32_e32 vcc, s0, v3
	v_cndmask_b32_e32 v3, v7, v6, vcc
	v_fmac_f32_e32 v3, v21, v4
	v_pk_mul_f16 v26, v26, v5 op_sel_hi:[1,0]
	v_pk_mov_b32 v[20:21], v[2:3], v[2:3] op_sel:[0,1]
	v_cmp_gt_i32_e32 vcc, s26, v24
	s_and_saveexec_b64 s[0:1], vcc
	s_cbranch_execnz .LBB46_14
.LBB46_12:
	s_endpgm
.LBB46_13:
	v_mov_b32_e32 v3, v21
	v_cmp_gt_i32_e32 vcc, s26, v24
	s_and_saveexec_b64 s[0:1], vcc
	s_cbranch_execz .LBB46_12
.LBB46_14:
	v_div_scale_f32 v2, s[0:1], v3, v3, 1.0
	v_rcp_f32_e32 v4, v2
	s_load_dword s2, s[4:5], 0xd4
	s_mul_i32 s33, s33, s26
	v_cvt_f32_f16_sdwa v9, v26 dst_sel:DWORD dst_unused:UNUSED_PAD src0_sel:WORD_1
	v_fma_f32 v5, -v2, v4, 1.0
	v_fmac_f32_e32 v4, v5, v4
	v_div_scale_f32 v5, vcc, 1.0, v3, 1.0
	v_mul_f32_e32 v6, v5, v4
	v_fma_f32 v7, -v2, v6, v5
	v_fmac_f32_e32 v6, v7, v4
	v_fma_f32 v2, -v2, v6, v5
	s_waitcnt lgkmcnt(0)
	s_cmp_lg_u32 s2, 1
	v_div_fmas_f32 v2, v2, v4, v6
	v_div_fixup_f32 v2, v2, v3, 1.0
	s_cselect_b64 s[0:1], -1, 0
	v_cndmask_b32_e64 v4, v2, 1.0, s[0:1]
	v_add_u32_e32 v2, s33, v24
	v_mul_lo_u32 v2, v2, s27
	v_add3_u32 v1, s29, v1, v2
	v_mul_lo_u32 v1, s2, v1
	v_add_u32_e32 v2, s7, v1
	v_lshl_add_u32 v6, v2, 6, v25
	v_mov_b32_e32 v7, 0
	v_lshlrev_b64 v[6:7], 2, v[6:7]
	v_cvt_f32_f16_e32 v8, v26
	v_mov_b32_e32 v1, s21
	v_add_co_u32_e32 v6, vcc, s20, v6
	v_addc_co_u32_e32 v7, vcc, v1, v7, vcc
	v_cmp_eq_u32_e32 vcc, 0, v0
	v_pk_mul_f32 v[4:5], v[4:5], v[8:9] op_sel_hi:[0,1]
	s_and_b64 s[0:1], vcc, s[0:1]
	global_store_dwordx2 v[6:7], v[4:5], off
	s_and_b64 exec, exec, s[0:1]
	s_cbranch_execz .LBB46_12
; %bb.15:
	v_ashrrev_i32_e32 v3, 31, v2
	v_lshlrev_b64 v[0:1], 3, v[2:3]
	v_mov_b32_e32 v2, s23
	v_add_co_u32_e32 v0, vcc, s22, v0
	v_addc_co_u32_e32 v1, vcc, v2, v1, vcc
	global_store_dwordx2 v[0:1], v[20:21], off
	s_endpgm
	.section	.rodata,"a",@progbits
	.p2align	6, 0x0
	.amdhsa_kernel _ZL15flash_attn_tileILi64ELi64ELi2ELi2ELb0EEvPKcS1_S1_S1_S1_PKiPfP15HIP_vector_typeIfLj2EEffffjfiS5_IjLj3EEiiiiiiiiiiiliiliiiiil
		.amdhsa_group_segment_fixed_size 10240
		.amdhsa_private_segment_fixed_size 0
		.amdhsa_kernarg_size 464
		.amdhsa_user_sgpr_count 6
		.amdhsa_user_sgpr_private_segment_buffer 1
		.amdhsa_user_sgpr_dispatch_ptr 0
		.amdhsa_user_sgpr_queue_ptr 0
		.amdhsa_user_sgpr_kernarg_segment_ptr 1
		.amdhsa_user_sgpr_dispatch_id 0
		.amdhsa_user_sgpr_flat_scratch_init 0
		.amdhsa_user_sgpr_kernarg_preload_length 0
		.amdhsa_user_sgpr_kernarg_preload_offset 0
		.amdhsa_user_sgpr_private_segment_size 0
		.amdhsa_uses_dynamic_stack 0
		.amdhsa_system_sgpr_private_segment_wavefront_offset 0
		.amdhsa_system_sgpr_workgroup_id_x 1
		.amdhsa_system_sgpr_workgroup_id_y 1
		.amdhsa_system_sgpr_workgroup_id_z 1
		.amdhsa_system_sgpr_workgroup_info 0
		.amdhsa_system_vgpr_workitem_id 1
		.amdhsa_next_free_vgpr 152
		.amdhsa_next_free_sgpr 44
		.amdhsa_accum_offset 152
		.amdhsa_reserve_vcc 1
		.amdhsa_reserve_flat_scratch 0
		.amdhsa_float_round_mode_32 0
		.amdhsa_float_round_mode_16_64 0
		.amdhsa_float_denorm_mode_32 3
		.amdhsa_float_denorm_mode_16_64 3
		.amdhsa_dx10_clamp 1
		.amdhsa_ieee_mode 1
		.amdhsa_fp16_overflow 0
		.amdhsa_tg_split 0
		.amdhsa_exception_fp_ieee_invalid_op 0
		.amdhsa_exception_fp_denorm_src 0
		.amdhsa_exception_fp_ieee_div_zero 0
		.amdhsa_exception_fp_ieee_overflow 0
		.amdhsa_exception_fp_ieee_underflow 0
		.amdhsa_exception_fp_ieee_inexact 0
		.amdhsa_exception_int_div_zero 0
	.end_amdhsa_kernel
	.section	.text._ZL15flash_attn_tileILi64ELi64ELi2ELi2ELb0EEvPKcS1_S1_S1_S1_PKiPfP15HIP_vector_typeIfLj2EEffffjfiS5_IjLj3EEiiiiiiiiiiiliiliiiiil,"axG",@progbits,_ZL15flash_attn_tileILi64ELi64ELi2ELi2ELb0EEvPKcS1_S1_S1_S1_PKiPfP15HIP_vector_typeIfLj2EEffffjfiS5_IjLj3EEiiiiiiiiiiiliiliiiiil,comdat
.Lfunc_end46:
	.size	_ZL15flash_attn_tileILi64ELi64ELi2ELi2ELb0EEvPKcS1_S1_S1_S1_PKiPfP15HIP_vector_typeIfLj2EEffffjfiS5_IjLj3EEiiiiiiiiiiiliiliiiiil, .Lfunc_end46-_ZL15flash_attn_tileILi64ELi64ELi2ELi2ELb0EEvPKcS1_S1_S1_S1_PKiPfP15HIP_vector_typeIfLj2EEffffjfiS5_IjLj3EEiiiiiiiiiiiliiliiiiil
                                        ; -- End function
	.section	.AMDGPU.csdata,"",@progbits
; Kernel info:
; codeLenInByte = 4952
; NumSgprs: 48
; NumVgprs: 152
; NumAgprs: 0
; TotalNumVgprs: 152
; ScratchSize: 0
; MemoryBound: 0
; FloatMode: 240
; IeeeMode: 1
; LDSByteSize: 10240 bytes/workgroup (compile time only)
; SGPRBlocks: 5
; VGPRBlocks: 18
; NumSGPRsForWavesPerEU: 48
; NumVGPRsForWavesPerEU: 152
; AccumOffset: 152
; Occupancy: 3
; WaveLimiterHint : 1
; COMPUTE_PGM_RSRC2:SCRATCH_EN: 0
; COMPUTE_PGM_RSRC2:USER_SGPR: 6
; COMPUTE_PGM_RSRC2:TRAP_HANDLER: 0
; COMPUTE_PGM_RSRC2:TGID_X_EN: 1
; COMPUTE_PGM_RSRC2:TGID_Y_EN: 1
; COMPUTE_PGM_RSRC2:TGID_Z_EN: 1
; COMPUTE_PGM_RSRC2:TIDIG_COMP_CNT: 1
; COMPUTE_PGM_RSRC3_GFX90A:ACCUM_OFFSET: 37
; COMPUTE_PGM_RSRC3_GFX90A:TG_SPLIT: 0
	.section	.text._ZL33flash_attn_stream_k_fixup_uniformILi64ELi2ELi2EEvPfPK15HIP_vector_typeIfLj2EEiiiiiiS1_IjLj3EES5_S5_,"axG",@progbits,_ZL33flash_attn_stream_k_fixup_uniformILi64ELi2ELi2EEvPfPK15HIP_vector_typeIfLj2EEiiiiiiS1_IjLj3EES5_S5_,comdat
	.globl	_ZL33flash_attn_stream_k_fixup_uniformILi64ELi2ELi2EEvPfPK15HIP_vector_typeIfLj2EEiiiiiiS1_IjLj3EES5_S5_ ; -- Begin function _ZL33flash_attn_stream_k_fixup_uniformILi64ELi2ELi2EEvPfPK15HIP_vector_typeIfLj2EEiiiiiiS1_IjLj3EES5_S5_
	.p2align	8
	.type	_ZL33flash_attn_stream_k_fixup_uniformILi64ELi2ELi2EEvPfPK15HIP_vector_typeIfLj2EEiiiiiiS1_IjLj3EES5_S5_,@function
_ZL33flash_attn_stream_k_fixup_uniformILi64ELi2ELi2EEvPfPK15HIP_vector_typeIfLj2EEiiiiiiS1_IjLj3EES5_S5_: ; @_ZL33flash_attn_stream_k_fixup_uniformILi64ELi2ELi2EEvPfPK15HIP_vector_typeIfLj2EEiiiiiiS1_IjLj3EES5_S5_
; %bb.0:
	s_load_dwordx8 s[12:19], s[4:5], 0x1c
	s_load_dwordx2 s[10:11], s[4:5], 0x10
	s_load_dwordx4 s[0:3], s[4:5], 0x3c
	s_waitcnt lgkmcnt(0)
	s_mul_hi_u32 s9, s15, s6
	s_add_i32 s9, s6, s9
	s_lshr_b32 s9, s9, s16
	s_mul_i32 s15, s9, s17
	s_sub_i32 s15, s6, s15
	s_mul_hi_u32 s16, s15, s18
	s_add_i32 s16, s15, s16
	s_lshr_b32 s16, s16, s19
	s_mul_i32 s0, s16, s0
	s_sub_i32 s0, s15, s0
	;; [unrolled: 5-line block ×3, first 2 shown]
	s_lshl_b32 s0, s17, 1
	s_lshl_b32 s15, s1, 1
	s_add_i32 s0, s0, s7
	s_cmp_lt_i32 s0, s10
	s_cselect_b64 s[0:1], -1, 0
	s_add_i32 s2, s15, s8
	s_cmp_lt_i32 s2, s13
	s_cselect_b64 s[2:3], -1, 0
	s_and_b64 s[0:1], s[0:1], s[2:3]
	s_andn2_b64 vcc, exec, s[0:1]
	s_cbranch_vccnz .LBB47_6
; %bb.1:
	s_load_dwordx4 s[0:3], s[4:5], 0x0
	s_mul_i32 s4, s9, s10
	s_add_i32 s4, s4, s7
	s_mul_i32 s4, s4, s11
	s_mul_i32 s16, s16, s13
	s_add_i32 s4, s4, s8
	s_add_i32 s4, s4, s16
	s_mul_i32 s5, s11, s17
	s_add_i32 s4, s4, s15
	s_lshl_b32 s5, s5, 7
	s_lshl_b32 s4, s4, 6
	s_add_i32 s5, s5, s4
	v_or_b32_e32 v2, s5, v0
	v_ashrrev_i32_e32 v3, 31, v2
	v_lshlrev_b64 v[2:3], 2, v[2:3]
	s_waitcnt lgkmcnt(0)
	v_mov_b32_e32 v1, s1
	v_add_co_u32_e32 v2, vcc, s0, v2
	v_addc_co_u32_e32 v3, vcc, v1, v3, vcc
	global_load_dword v8, v[2:3], off
	s_mul_i32 s9, s6, s14
	s_lshl_b32 s4, s7, 1
	s_add_i32 s11, s9, s14
	s_add_i32 s0, s4, s8
	s_lshl_b32 s1, s11, 2
	s_add_i32 s0, s0, s1
	s_add_i32 s0, s0, -4
	s_ashr_i32 s1, s0, 31
	s_lshl_b64 s[0:1], s[0:1], 3
	s_add_u32 s0, s2, s0
	s_addc_u32 s1, s3, s1
	s_load_dword s5, s[0:1], 0x4
	s_add_i32 s10, s11, -2
	s_cmp_lt_i32 s10, s9
	s_cbranch_scc1 .LBB47_4
; %bb.2:
	s_lshl_b32 s16, s12, 4
	s_ashr_i32 s17, s16, 31
	s_lshl_b64 s[16:17], s[16:17], 2
	s_add_u32 s10, s2, s16
	s_addc_u32 s13, s3, s17
	s_add_i32 s6, s6, 1
	s_load_dword s0, s[0:1], 0x0
	s_mul_i32 s1, s14, s6
	s_lshl_b32 s7, s7, 7
	s_lshl_b32 s14, s8, 6
	;; [unrolled: 1-line block ×3, first 2 shown]
	s_add_i32 s7, s14, s7
	s_lshl_b32 s1, s1, 2
	s_add_i32 s7, s7, s6
	s_add_i32 s1, s8, s1
	s_lshl_b32 s6, s12, 2
	s_add_i32 s1, s1, s6
	v_or_b32_e32 v0, s7, v0
	s_add_i32 s1, s1, s4
	s_add_i32 s11, s11, -1
	v_add_u32_e32 v0, 0xfffffe00, v0
	s_add_i32 s4, s1, -8
	s_waitcnt lgkmcnt(0)
	v_mov_b32_e32 v7, s5
	v_mov_b32_e32 v6, s0
	;; [unrolled: 1-line block ×3, first 2 shown]
	s_mov_b32 s6, 0x3fb8aa3b
	s_mov_b32 s7, 0xc2ce8ed0
	;; [unrolled: 1-line block ×3, first 2 shown]
	v_mov_b32_e32 v5, 0x7f800000
	s_mov_b32 s12, 0xc1a00000
.LBB47_3:                               ; =>This Inner Loop Header: Depth=1
	v_ashrrev_i32_e32 v1, 31, v0
	v_lshlrev_b64 v[10:11], 2, v[0:1]
	v_add_co_u32_e32 v10, vcc, s10, v10
	v_addc_co_u32_e32 v11, vcc, v4, v11, vcc
	global_load_dword v1, v[10:11], off
	s_ashr_i32 s5, s4, 31
	s_lshl_b64 s[0:1], s[4:5], 3
	s_add_u32 s0, s2, s0
	s_addc_u32 s1, s3, s1
	s_load_dwordx2 s[14:15], s[0:1], 0x0
	s_waitcnt vmcnt(1)
	v_mov_b32_e32 v9, v8
	v_max_f32_e32 v8, v6, v6
	v_mov_b32_e32 v10, v7
	s_add_i32 s11, s11, -1
	s_waitcnt lgkmcnt(0)
	v_max_f32_e64 v7, s14, s14
	v_max_f32_e32 v7, v8, v7
	v_sub_f32_e32 v11, s14, v7
	v_sub_f32_e32 v8, v6, v7
	v_mul_f32_e32 v12, 0x3fb8aa3b, v11
	v_mov_b32_e32 v6, v7
	v_mul_f32_e32 v7, 0x3fb8aa3b, v8
	v_fma_f32 v15, v11, s6, -v12
	v_rndne_f32_e32 v16, v12
	v_fma_f32 v13, v8, s6, -v7
	v_rndne_f32_e32 v14, v7
	v_fmac_f32_e32 v15, 0x32a5705f, v11
	v_sub_f32_e32 v12, v12, v16
	v_fmac_f32_e32 v13, 0x32a5705f, v8
	v_sub_f32_e32 v7, v7, v14
	v_add_f32_e32 v12, v12, v15
	v_cvt_i32_f32_e32 v16, v16
	v_add_f32_e32 v7, v7, v13
	v_exp_f32_e32 v12, v12
	v_cvt_i32_f32_e32 v14, v14
	v_exp_f32_e32 v7, v7
	v_cmp_ngt_f32_e32 vcc, s7, v11
	v_ldexp_f32 v12, v12, v16
	v_cmp_ngt_f32_e64 s[0:1], s7, v8
	v_ldexp_f32 v7, v7, v14
	v_cndmask_b32_e32 v12, 0, v12, vcc
	v_cmp_nlt_f32_e32 vcc, s8, v11
	v_cndmask_b32_e64 v7, 0, v7, s[0:1]
	v_cmp_nlt_f32_e64 s[0:1], s8, v8
	v_cndmask_b32_e32 v12, v5, v12, vcc
	v_cmp_le_f32_e32 vcc, s12, v11
	v_cndmask_b32_e64 v7, v5, v7, s[0:1]
	v_cmp_le_f32_e64 s[0:1], s12, v8
	v_cndmask_b32_e32 v8, 0, v12, vcc
	s_add_i32 s4, s4, -4
	v_cndmask_b32_e64 v11, 0, v7, s[0:1]
	v_mul_f32_e32 v7, s15, v8
	v_add_u32_e32 v0, 0xffffff00, v0
	s_cmp_le_i32 s11, s9
	v_fmac_f32_e32 v7, v10, v11
	s_waitcnt vmcnt(0)
	v_mul_f32_e32 v8, v1, v8
	v_fmac_f32_e32 v8, v9, v11
	s_cbranch_scc0 .LBB47_3
	s_branch .LBB47_5
.LBB47_4:
	s_waitcnt lgkmcnt(0)
	v_mov_b32_e32 v7, s5
.LBB47_5:
	s_waitcnt vmcnt(0)
	v_div_scale_f32 v0, s[0:1], v7, v7, v8
	v_rcp_f32_e32 v1, v0
	v_div_scale_f32 v4, vcc, v8, v7, v8
	v_fma_f32 v5, -v0, v1, 1.0
	v_fmac_f32_e32 v1, v5, v1
	v_mul_f32_e32 v5, v4, v1
	v_fma_f32 v6, -v0, v5, v4
	v_fmac_f32_e32 v5, v6, v1
	v_fma_f32 v0, -v0, v5, v4
	v_div_fmas_f32 v0, v0, v1, v5
	v_div_fixup_f32 v0, v0, v7, v8
	global_store_dword v[2:3], v0, off
.LBB47_6:
	s_endpgm
	.section	.rodata,"a",@progbits
	.p2align	6, 0x0
	.amdhsa_kernel _ZL33flash_attn_stream_k_fixup_uniformILi64ELi2ELi2EEvPfPK15HIP_vector_typeIfLj2EEiiiiiiS1_IjLj3EES5_S5_
		.amdhsa_group_segment_fixed_size 0
		.amdhsa_private_segment_fixed_size 0
		.amdhsa_kernarg_size 76
		.amdhsa_user_sgpr_count 6
		.amdhsa_user_sgpr_private_segment_buffer 1
		.amdhsa_user_sgpr_dispatch_ptr 0
		.amdhsa_user_sgpr_queue_ptr 0
		.amdhsa_user_sgpr_kernarg_segment_ptr 1
		.amdhsa_user_sgpr_dispatch_id 0
		.amdhsa_user_sgpr_flat_scratch_init 0
		.amdhsa_user_sgpr_kernarg_preload_length 0
		.amdhsa_user_sgpr_kernarg_preload_offset 0
		.amdhsa_user_sgpr_private_segment_size 0
		.amdhsa_uses_dynamic_stack 0
		.amdhsa_system_sgpr_private_segment_wavefront_offset 0
		.amdhsa_system_sgpr_workgroup_id_x 1
		.amdhsa_system_sgpr_workgroup_id_y 1
		.amdhsa_system_sgpr_workgroup_id_z 1
		.amdhsa_system_sgpr_workgroup_info 0
		.amdhsa_system_vgpr_workitem_id 0
		.amdhsa_next_free_vgpr 17
		.amdhsa_next_free_sgpr 20
		.amdhsa_accum_offset 20
		.amdhsa_reserve_vcc 1
		.amdhsa_reserve_flat_scratch 0
		.amdhsa_float_round_mode_32 0
		.amdhsa_float_round_mode_16_64 0
		.amdhsa_float_denorm_mode_32 3
		.amdhsa_float_denorm_mode_16_64 3
		.amdhsa_dx10_clamp 1
		.amdhsa_ieee_mode 1
		.amdhsa_fp16_overflow 0
		.amdhsa_tg_split 0
		.amdhsa_exception_fp_ieee_invalid_op 0
		.amdhsa_exception_fp_denorm_src 0
		.amdhsa_exception_fp_ieee_div_zero 0
		.amdhsa_exception_fp_ieee_overflow 0
		.amdhsa_exception_fp_ieee_underflow 0
		.amdhsa_exception_fp_ieee_inexact 0
		.amdhsa_exception_int_div_zero 0
	.end_amdhsa_kernel
	.section	.text._ZL33flash_attn_stream_k_fixup_uniformILi64ELi2ELi2EEvPfPK15HIP_vector_typeIfLj2EEiiiiiiS1_IjLj3EES5_S5_,"axG",@progbits,_ZL33flash_attn_stream_k_fixup_uniformILi64ELi2ELi2EEvPfPK15HIP_vector_typeIfLj2EEiiiiiiS1_IjLj3EES5_S5_,comdat
.Lfunc_end47:
	.size	_ZL33flash_attn_stream_k_fixup_uniformILi64ELi2ELi2EEvPfPK15HIP_vector_typeIfLj2EEiiiiiiS1_IjLj3EES5_S5_, .Lfunc_end47-_ZL33flash_attn_stream_k_fixup_uniformILi64ELi2ELi2EEvPfPK15HIP_vector_typeIfLj2EEiiiiiiS1_IjLj3EES5_S5_
                                        ; -- End function
	.section	.AMDGPU.csdata,"",@progbits
; Kernel info:
; codeLenInByte = 856
; NumSgprs: 24
; NumVgprs: 17
; NumAgprs: 0
; TotalNumVgprs: 17
; ScratchSize: 0
; MemoryBound: 0
; FloatMode: 240
; IeeeMode: 1
; LDSByteSize: 0 bytes/workgroup (compile time only)
; SGPRBlocks: 2
; VGPRBlocks: 2
; NumSGPRsForWavesPerEU: 24
; NumVGPRsForWavesPerEU: 17
; AccumOffset: 20
; Occupancy: 8
; WaveLimiterHint : 0
; COMPUTE_PGM_RSRC2:SCRATCH_EN: 0
; COMPUTE_PGM_RSRC2:USER_SGPR: 6
; COMPUTE_PGM_RSRC2:TRAP_HANDLER: 0
; COMPUTE_PGM_RSRC2:TGID_X_EN: 1
; COMPUTE_PGM_RSRC2:TGID_Y_EN: 1
; COMPUTE_PGM_RSRC2:TGID_Z_EN: 1
; COMPUTE_PGM_RSRC2:TIDIG_COMP_CNT: 0
; COMPUTE_PGM_RSRC3_GFX90A:ACCUM_OFFSET: 4
; COMPUTE_PGM_RSRC3_GFX90A:TG_SPLIT: 0
	.section	.text._ZL33flash_attn_stream_k_fixup_generalILi64ELi2ELi2EEvPfPK15HIP_vector_typeIfLj2EEiiiiS1_IjLj3EES5_S5_S5_,"axG",@progbits,_ZL33flash_attn_stream_k_fixup_generalILi64ELi2ELi2EEvPfPK15HIP_vector_typeIfLj2EEiiiiS1_IjLj3EES5_S5_S5_,comdat
	.globl	_ZL33flash_attn_stream_k_fixup_generalILi64ELi2ELi2EEvPfPK15HIP_vector_typeIfLj2EEiiiiS1_IjLj3EES5_S5_S5_ ; -- Begin function _ZL33flash_attn_stream_k_fixup_generalILi64ELi2ELi2EEvPfPK15HIP_vector_typeIfLj2EEiiiiS1_IjLj3EES5_S5_S5_
	.p2align	8
	.type	_ZL33flash_attn_stream_k_fixup_generalILi64ELi2ELi2EEvPfPK15HIP_vector_typeIfLj2EEiiiiS1_IjLj3EES5_S5_S5_,@function
_ZL33flash_attn_stream_k_fixup_generalILi64ELi2ELi2EEvPfPK15HIP_vector_typeIfLj2EEiiiiS1_IjLj3EES5_S5_S5_: ; @_ZL33flash_attn_stream_k_fixup_generalILi64ELi2ELi2EEvPfPK15HIP_vector_typeIfLj2EEiiiiS1_IjLj3EES5_S5_S5_
; %bb.0:
	s_load_dwordx4 s[12:15], s[4:5], 0x10
	s_load_dword s9, s[4:5], 0x50
	s_mov_b32 s2, 0
	s_waitcnt lgkmcnt(0)
	s_mul_hi_i32 s3, s15, s6
	s_cmp_lg_u64 s[2:3], 0
	s_mul_i32 s2, s15, s6
	s_cbranch_scc0 .LBB48_21
; %bb.1:
	v_cvt_f32_u32_e32 v1, s9
	v_cvt_f32_ubyte0_e32 v2, 0
	s_sub_u32 s10, 0, s9
	s_subb_u32 s11, 0, 0
	v_madmk_f32 v1, v2, 0x4f800000, v1
	v_rcp_f32_e32 v1, v1
	v_mul_f32_e32 v1, 0x5f7ffffc, v1
	v_mul_f32_e32 v2, 0x2f800000, v1
	v_trunc_f32_e32 v2, v2
	v_madmk_f32 v1, v2, 0xcf800000, v1
	v_cvt_u32_f32_e32 v2, v2
	v_cvt_u32_f32_e32 v1, v1
	v_readfirstlane_b32 s16, v2
	v_readfirstlane_b32 s17, v1
	s_mul_i32 s18, s10, s16
	s_mul_hi_u32 s20, s10, s17
	s_mul_i32 s19, s11, s17
	s_add_i32 s18, s20, s18
	s_add_i32 s18, s18, s19
	s_mul_i32 s21, s10, s17
	s_mul_hi_u32 s19, s17, s18
	s_mul_i32 s20, s17, s18
	s_mul_hi_u32 s17, s17, s21
	s_add_u32 s17, s17, s20
	s_addc_u32 s19, 0, s19
	s_mul_hi_u32 s22, s16, s21
	s_mul_i32 s21, s16, s21
	s_add_u32 s17, s17, s21
	s_mul_hi_u32 s20, s16, s18
	s_addc_u32 s17, s19, s22
	s_addc_u32 s19, s20, 0
	s_mul_i32 s18, s16, s18
	s_add_u32 s17, s17, s18
	s_addc_u32 s18, 0, s19
	v_add_co_u32_e32 v1, vcc, s17, v1
	s_cmp_lg_u64 vcc, 0
	s_addc_u32 s16, s16, s18
	v_readfirstlane_b32 s18, v1
	s_mul_i32 s17, s10, s16
	s_mul_hi_u32 s19, s10, s18
	s_add_i32 s17, s19, s17
	s_mul_i32 s11, s11, s18
	s_add_i32 s17, s17, s11
	s_mul_i32 s10, s10, s18
	s_mul_hi_u32 s19, s16, s10
	s_mul_i32 s20, s16, s10
	s_mul_i32 s22, s18, s17
	s_mul_hi_u32 s10, s18, s10
	s_mul_hi_u32 s21, s18, s17
	s_add_u32 s10, s10, s22
	s_addc_u32 s18, 0, s21
	s_add_u32 s10, s10, s20
	s_mul_hi_u32 s11, s16, s17
	s_addc_u32 s10, s18, s19
	s_addc_u32 s11, s11, 0
	s_mul_i32 s17, s16, s17
	s_add_u32 s10, s10, s17
	s_addc_u32 s11, 0, s11
	v_add_co_u32_e32 v1, vcc, s10, v1
	s_cmp_lg_u64 vcc, 0
	s_addc_u32 s18, s16, s11
	s_ashr_i32 s10, s3, 31
	s_add_u32 s16, s2, s10
	s_mov_b32 s11, s10
	s_addc_u32 s17, s3, s10
	s_xor_b64 s[16:17], s[16:17], s[10:11]
	v_readfirstlane_b32 s20, v1
	s_mul_i32 s19, s16, s18
	s_mul_hi_u32 s21, s16, s20
	s_mul_hi_u32 s3, s16, s18
	s_add_u32 s19, s21, s19
	s_addc_u32 s3, 0, s3
	s_mul_hi_u32 s22, s17, s20
	s_mul_i32 s20, s17, s20
	s_add_u32 s19, s19, s20
	s_mul_hi_u32 s21, s17, s18
	s_addc_u32 s3, s3, s22
	s_addc_u32 s19, s21, 0
	s_mul_i32 s18, s17, s18
	s_add_u32 s3, s3, s18
	s_addc_u32 s18, 0, s19
	s_add_u32 s19, s3, 1
	s_addc_u32 s20, s18, 0
	s_add_u32 s21, s3, 2
	s_mul_i32 s23, s9, s18
	s_mul_hi_u32 s24, s9, s3
	s_addc_u32 s22, s18, 0
	s_add_i32 s24, s24, s23
	s_mul_i32 s23, s9, s3
	v_mov_b32_e32 v1, s23
	v_sub_co_u32_e32 v1, vcc, s16, v1
	s_cmp_lg_u64 vcc, 0
	s_subb_u32 s16, s17, s24
	v_subrev_co_u32_e32 v2, vcc, s9, v1
	s_cmp_lg_u64 vcc, 0
	s_subb_u32 s17, s16, 0
	v_readfirstlane_b32 s23, v2
	s_cmp_ge_u32 s23, s9
	s_cselect_b32 s23, -1, 0
	s_cmp_eq_u32 s17, 0
	s_cselect_b32 s17, s23, -1
	s_cmp_lg_u32 s17, 0
	s_cselect_b32 s17, s22, s20
	v_readfirstlane_b32 s20, v1
	s_cselect_b32 s19, s21, s19
	s_cmp_ge_u32 s20, s9
	s_cselect_b32 s20, -1, 0
	s_cmp_eq_u32 s16, 0
	s_cselect_b32 s16, s20, -1
	s_cmp_lg_u32 s16, 0
	s_cselect_b32 s17, s17, s18
	s_cselect_b32 s16, s19, s3
	s_xor_b64 s[16:17], s[16:17], s[10:11]
	s_sub_u32 s20, s16, s10
	s_load_dwordx4 s[16:19], s[4:5], 0x44
	s_cbranch_execnz .LBB48_3
.LBB48_2:
	v_cvt_f32_u32_e32 v1, s9
	s_sub_i32 s0, 0, s9
	v_rcp_iflag_f32_e32 v1, v1
	v_mul_f32_e32 v1, 0x4f7ffffe, v1
	v_cvt_u32_f32_e32 v1, v1
	v_readfirstlane_b32 s1, v1
	s_mul_i32 s0, s0, s1
	s_mul_hi_u32 s0, s1, s0
	s_add_i32 s1, s1, s0
	s_mul_hi_u32 s0, s2, s1
	s_mul_i32 s3, s0, s9
	s_sub_i32 s2, s2, s3
	s_add_i32 s1, s0, 1
	s_sub_i32 s3, s2, s9
	s_cmp_ge_u32 s2, s9
	s_cselect_b32 s0, s1, s0
	s_cselect_b32 s2, s3, s2
	s_add_i32 s1, s0, 1
	s_cmp_ge_u32 s2, s9
	s_cselect_b32 s20, s1, s0
.LBB48_3:
	s_add_i32 s0, s6, 1
	s_mul_hi_i32 s3, s15, s0
	s_mov_b32 s2, 0
	s_cmp_lg_u64 s[2:3], 0
	s_mul_i32 s2, s15, s0
	s_cbranch_scc0 .LBB48_22
; %bb.4:
	v_cvt_f32_u32_e32 v1, s9
	v_cvt_f32_ubyte0_e32 v2, 0
	s_sub_u32 s10, 0, s9
	s_subb_u32 s11, 0, 0
	v_madmk_f32 v1, v2, 0x4f800000, v1
	v_rcp_f32_e32 v1, v1
	v_mul_f32_e32 v1, 0x5f7ffffc, v1
	v_mul_f32_e32 v2, 0x2f800000, v1
	v_trunc_f32_e32 v2, v2
	v_madmk_f32 v1, v2, 0xcf800000, v1
	v_cvt_u32_f32_e32 v2, v2
	v_cvt_u32_f32_e32 v1, v1
	s_waitcnt lgkmcnt(0)
	v_readfirstlane_b32 s19, v2
	v_readfirstlane_b32 s21, v1
	s_mul_i32 s22, s10, s19
	s_mul_hi_u32 s24, s10, s21
	s_mul_i32 s23, s11, s21
	s_add_i32 s22, s24, s22
	s_add_i32 s22, s22, s23
	s_mul_i32 s25, s10, s21
	s_mul_hi_u32 s23, s21, s22
	s_mul_i32 s24, s21, s22
	s_mul_hi_u32 s21, s21, s25
	s_add_u32 s21, s21, s24
	s_addc_u32 s23, 0, s23
	s_mul_hi_u32 s26, s19, s25
	s_mul_i32 s25, s19, s25
	s_add_u32 s21, s21, s25
	s_mul_hi_u32 s24, s19, s22
	s_addc_u32 s21, s23, s26
	s_addc_u32 s23, s24, 0
	s_mul_i32 s22, s19, s22
	s_add_u32 s21, s21, s22
	s_addc_u32 s22, 0, s23
	v_add_co_u32_e32 v1, vcc, s21, v1
	s_cmp_lg_u64 vcc, 0
	s_addc_u32 s19, s19, s22
	v_readfirstlane_b32 s22, v1
	s_mul_i32 s21, s10, s19
	s_mul_hi_u32 s23, s10, s22
	s_add_i32 s21, s23, s21
	s_mul_i32 s11, s11, s22
	s_add_i32 s21, s21, s11
	s_mul_i32 s10, s10, s22
	s_mul_hi_u32 s23, s19, s10
	s_mul_i32 s24, s19, s10
	s_mul_i32 s26, s22, s21
	s_mul_hi_u32 s10, s22, s10
	s_mul_hi_u32 s25, s22, s21
	s_add_u32 s10, s10, s26
	s_addc_u32 s22, 0, s25
	s_add_u32 s10, s10, s24
	s_mul_hi_u32 s11, s19, s21
	s_addc_u32 s10, s22, s23
	s_addc_u32 s11, s11, 0
	s_mul_i32 s21, s19, s21
	s_add_u32 s10, s10, s21
	s_addc_u32 s11, 0, s11
	v_add_co_u32_e32 v1, vcc, s10, v1
	s_cmp_lg_u64 vcc, 0
	s_addc_u32 s19, s19, s11
	s_ashr_i32 s10, s3, 31
	s_add_u32 s22, s2, s10
	s_mov_b32 s11, s10
	s_addc_u32 s23, s3, s10
	s_xor_b64 s[22:23], s[22:23], s[10:11]
	v_readfirstlane_b32 s21, v1
	s_mul_i32 s11, s22, s19
	s_mul_hi_u32 s24, s22, s21
	s_mul_hi_u32 s3, s22, s19
	s_add_u32 s11, s24, s11
	s_addc_u32 s3, 0, s3
	s_mul_hi_u32 s25, s23, s21
	s_mul_i32 s21, s23, s21
	s_add_u32 s11, s11, s21
	s_mul_hi_u32 s24, s23, s19
	s_addc_u32 s3, s3, s25
	s_addc_u32 s11, s24, 0
	s_mul_i32 s19, s23, s19
	s_add_u32 s3, s3, s19
	s_addc_u32 s11, 0, s11
	s_mul_i32 s11, s9, s11
	s_mul_hi_u32 s24, s9, s3
	s_add_i32 s24, s24, s11
	s_mul_i32 s11, s9, s3
	v_mov_b32_e32 v1, s11
	s_add_u32 s19, s3, 1
	s_add_u32 s21, s3, 2
	v_sub_co_u32_e32 v1, vcc, s22, v1
	s_cmp_lg_u64 vcc, 0
	s_subb_u32 s11, s23, s24
	v_subrev_co_u32_e32 v2, vcc, s9, v1
	s_cmp_lg_u64 vcc, 0
	s_subb_u32 s22, s11, 0
	v_cmp_le_u32_e32 vcc, s9, v2
	s_cmp_eq_u32 s22, 0
	v_cndmask_b32_e64 v2, 0, -1, vcc
	s_cselect_b64 vcc, -1, 0
	v_cndmask_b32_e32 v2, -1, v2, vcc
	v_mov_b32_e32 v3, s19
	v_mov_b32_e32 v4, s21
	v_cmp_ne_u32_e32 vcc, 0, v2
	v_cndmask_b32_e32 v2, v3, v4, vcc
	v_cmp_le_u32_e32 vcc, s9, v1
	s_cmp_eq_u32 s11, 0
	v_cndmask_b32_e64 v1, 0, -1, vcc
	s_cselect_b64 vcc, -1, 0
	v_cndmask_b32_e32 v1, -1, v1, vcc
	v_mov_b32_e32 v3, s3
	v_cmp_ne_u32_e32 vcc, 0, v1
	v_cndmask_b32_e32 v1, v3, v2, vcc
	v_xor_b32_e32 v1, s10, v1
	v_subrev_co_u32_e32 v2, vcc, s10, v1
	s_cbranch_execnz .LBB48_6
.LBB48_5:
	v_cvt_f32_u32_e32 v1, s9
	s_sub_i32 s0, 0, s9
	s_mov_b32 s1, 0
	v_rcp_iflag_f32_e32 v1, v1
	v_mul_f32_e32 v1, 0x4f7ffffe, v1
	v_cvt_u32_f32_e32 v1, v1
	v_readfirstlane_b32 s3, v1
	s_mul_i32 s0, s0, s3
	s_mul_hi_u32 s0, s3, s0
	s_add_i32 s3, s3, s0
	s_mul_hi_u32 s0, s2, s3
	s_mul_i32 s10, s0, s9
	s_sub_i32 s2, s2, s10
	s_add_i32 s3, s0, 1
	s_sub_i32 s10, s2, s9
	s_cmp_ge_u32 s2, s9
	s_cselect_b32 s0, s3, s0
	s_cselect_b32 s2, s10, s2
	s_add_i32 s3, s0, 1
	s_cmp_ge_u32 s2, s9
	s_cselect_b32 s0, s3, s0
	v_pk_mov_b32 v[2:3], s[0:1], s[0:1] op_sel:[0,1]
.LBB48_6:
	s_waitcnt lgkmcnt(0)
	s_mul_hi_u32 s0, s20, s16
	s_add_i32 s0, s0, s20
	v_mul_hi_u32 v1, v2, s16
	s_lshr_b32 s19, s0, s17
	v_add_u32_e32 v1, v1, v2
	s_mul_i32 s0, s19, s18
	v_lshrrev_b32_e32 v1, s17, v1
	s_cmp_eq_u32 s0, s20
	v_cmp_eq_u32_e64 s[0:1], s19, v1
	v_mul_lo_u32 v1, v1, s18
	v_cmp_eq_u32_e32 vcc, s20, v2
	s_cselect_b64 s[10:11], -1, 0
	v_cmp_ne_u32_e64 s[2:3], v1, v2
	s_and_b64 s[0:1], s[0:1], s[2:3]
	s_or_b64 s[2:3], vcc, s[10:11]
	s_or_b64 s[0:1], s[2:3], s[0:1]
	s_and_b64 vcc, exec, s[0:1]
	s_cbranch_vccnz .LBB48_24
; %bb.7:
	s_load_dwordx8 s[24:31], s[4:5], 0x20
	s_load_dword s0, s[4:5], 0x40
	s_mov_b32 s10, 0
	s_waitcnt lgkmcnt(0)
	s_mul_hi_u32 s1, s20, s24
	s_add_i32 s1, s1, s20
	s_lshr_b32 s11, s1, s25
	s_mul_i32 s1, s11, s26
	s_sub_i32 s1, s20, s1
	s_mul_hi_u32 s2, s1, s27
	s_add_i32 s2, s1, s2
	s_lshr_b32 s24, s2, s28
	s_mul_i32 s2, s24, s29
	s_sub_i32 s1, s1, s2
	;; [unrolled: 5-line block ×3, first 2 shown]
	s_mul_hi_u32 s1, s0, s16
	s_add_i32 s0, s0, s1
	s_lshr_b32 s26, s0, s17
	s_lshl_b32 s0, s26, 1
	s_lshl_b32 s25, s2, 1
	s_add_i32 s0, s0, s7
	s_cmp_lt_i32 s0, s12
	s_cselect_b64 s[0:1], -1, 0
	s_add_i32 s2, s25, s8
	s_cmp_lt_i32 s2, s14
	s_cselect_b64 s[2:3], -1, 0
	s_and_b64 s[0:1], s[0:1], s[2:3]
	s_andn2_b64 vcc, exec, s[0:1]
	s_cbranch_vccnz .LBB48_24
; %bb.8:
	s_load_dwordx4 s[0:3], s[4:5], 0x0
	s_lshl_b32 s21, s7, 1
	s_lshl_b32 s4, s9, 4
	s_mov_b32 s5, s10
	s_add_i32 s21, s21, s8
	s_lshl_b64 s[4:5], s[4:5], 2
	s_waitcnt lgkmcnt(0)
	s_add_u32 s22, s2, s4
	s_mul_i32 s4, s11, s12
	s_addc_u32 s23, s3, s5
	s_add_i32 s4, s4, s7
	s_mul_i32 s4, s4, s13
	s_mul_i32 s24, s24, s14
	s_add_i32 s4, s4, s8
	s_add_i32 s4, s4, s24
	s_mul_i32 s5, s13, s26
	s_add_i32 s4, s4, s25
	s_lshl_b32 s5, s5, 7
	s_lshl_b32 s4, s4, 6
	s_add_i32 s5, s5, s4
	v_or_b32_e32 v2, s5, v0
	v_ashrrev_i32_e32 v3, 31, v2
	v_lshlrev_b64 v[2:3], 2, v[2:3]
	v_mov_b32_e32 v1, s1
	v_add_co_u32_e32 v2, vcc, s0, v2
	v_addc_co_u32_e32 v3, vcc, v1, v3, vcc
	global_load_dword v5, v[2:3], off
	v_lshl_or_b32 v4, s21, 6, v0
	v_cvt_f32_u32_e32 v0, s9
	v_cvt_f32_ubyte0_e32 v1, 0
	s_lshl_b32 s0, s6, 2
	s_add_i32 s0, s21, s0
	v_mac_f32_e32 v0, 0x4f800000, v1
	v_rcp_f32_e32 v0, v0
	v_cvt_f32_u32_e32 v1, s9
	s_ashr_i32 s1, s0, 31
	s_lshl_b64 s[0:1], s[0:1], 3
	v_mul_f32_e32 v0, 0x5f7ffffc, v0
	v_rcp_iflag_f32_e32 v1, v1
	s_add_u32 s0, s2, s0
	v_mul_f32_e32 v9, 0x2f800000, v0
	s_addc_u32 s1, s3, s1
	v_trunc_f32_e32 v10, v9
	s_load_dwordx2 s[0:1], s[0:1], 0x0
	v_mac_f32_e32 v0, 0xcf800000, v10
	v_cvt_u32_f32_e32 v9, v0
	v_mul_f32_e32 v0, 0x4f7ffffe, v1
	v_cvt_u32_f32_e32 v10, v10
	v_cvt_u32_f32_e32 v11, v0
	s_add_i32 s8, s6, -1
	s_waitcnt lgkmcnt(0)
	v_mov_b32_e32 v6, s1
	v_mov_b32_e32 v7, s0
	;; [unrolled: 1-line block ×3, first 2 shown]
	s_mov_b32 s6, 0x3fb8aa3b
	s_mov_b32 s7, 0xc2ce8ed0
	;; [unrolled: 1-line block ×4, first 2 shown]
	v_mov_b32_e32 v12, 0x7f800000
	s_mul_hi_i32 s11, s8, s15
	s_cmp_lg_u64 s[10:11], 0
	s_mul_i32 s4, s8, s15
	s_cbranch_scc0 .LBB48_15
.LBB48_9:
	s_sub_u32 s0, 0, s9
	v_readfirstlane_b32 s5, v9
	v_readfirstlane_b32 s24, v10
	s_subb_u32 s1, 0, 0
	s_mul_hi_u32 s20, s0, s5
	s_mul_i32 s25, s0, s24
	s_mul_i32 s14, s1, s5
	s_add_i32 s20, s20, s25
	s_add_i32 s20, s20, s14
	s_mul_i32 s26, s0, s5
	s_mul_hi_u32 s14, s5, s20
	s_mul_i32 s25, s5, s20
	s_mul_hi_u32 s5, s5, s26
	s_add_u32 s5, s5, s25
	s_addc_u32 s14, 0, s14
	s_mul_hi_u32 s27, s24, s26
	s_mul_i32 s26, s24, s26
	s_add_u32 s5, s5, s26
	s_mul_hi_u32 s25, s24, s20
	s_addc_u32 s5, s14, s27
	s_addc_u32 s14, s25, 0
	s_mul_i32 s20, s24, s20
	s_add_u32 s5, s5, s20
	s_addc_u32 s14, 0, s14
	v_add_co_u32_e32 v0, vcc, s5, v9
	s_cmp_lg_u64 vcc, 0
	s_addc_u32 s5, s24, s14
	v_readfirstlane_b32 s20, v0
	s_mul_i32 s14, s0, s5
	s_mul_hi_u32 s24, s0, s20
	s_add_i32 s14, s24, s14
	s_mul_i32 s1, s1, s20
	s_add_i32 s14, s14, s1
	s_mul_i32 s0, s0, s20
	s_mul_hi_u32 s24, s5, s0
	s_mul_i32 s25, s5, s0
	s_mul_i32 s27, s20, s14
	s_mul_hi_u32 s0, s20, s0
	s_mul_hi_u32 s26, s20, s14
	s_add_u32 s0, s0, s27
	s_addc_u32 s20, 0, s26
	s_add_u32 s0, s0, s25
	s_mul_hi_u32 s1, s5, s14
	s_addc_u32 s0, s20, s24
	s_addc_u32 s1, s1, 0
	s_mul_i32 s14, s5, s14
	s_add_u32 s0, s0, s14
	s_addc_u32 s1, 0, s1
	v_add_co_u32_e32 v0, vcc, s0, v0
	s_cmp_lg_u64 vcc, 0
	s_addc_u32 s5, s5, s1
	s_ashr_i32 s0, s11, 31
	s_add_u32 s24, s4, s0
	s_mov_b32 s1, s0
	s_addc_u32 s25, s11, s0
	s_xor_b64 s[24:25], s[24:25], s[0:1]
	v_readfirstlane_b32 s14, v0
	s_mul_i32 s11, s24, s5
	s_mul_hi_u32 s20, s24, s14
	s_mul_hi_u32 s1, s24, s5
	s_add_u32 s11, s20, s11
	s_addc_u32 s1, 0, s1
	s_mul_hi_u32 s26, s25, s14
	s_mul_i32 s14, s25, s14
	s_add_u32 s11, s11, s14
	s_mul_hi_u32 s20, s25, s5
	s_addc_u32 s1, s1, s26
	s_addc_u32 s11, s20, 0
	s_mul_i32 s5, s25, s5
	s_add_u32 s1, s1, s5
	s_addc_u32 s5, 0, s11
	s_mul_i32 s5, s9, s5
	s_mul_hi_u32 s20, s9, s1
	s_add_i32 s20, s20, s5
	s_mul_i32 s5, s9, s1
	v_mov_b32_e32 v0, s5
	s_add_u32 s11, s1, 1
	s_add_u32 s14, s1, 2
	v_sub_co_u32_e32 v0, vcc, s24, v0
	s_cmp_lg_u64 vcc, 0
	s_subb_u32 s5, s25, s20
	v_subrev_co_u32_e32 v1, vcc, s9, v0
	s_cmp_lg_u64 vcc, 0
	s_subb_u32 s20, s5, 0
	v_cmp_le_u32_e32 vcc, s9, v1
	s_cmp_eq_u32 s20, 0
	v_cndmask_b32_e64 v1, 0, -1, vcc
	s_cselect_b64 vcc, -1, 0
	v_cndmask_b32_e32 v1, -1, v1, vcc
	v_mov_b32_e32 v13, s11
	v_mov_b32_e32 v14, s14
	v_cmp_ne_u32_e32 vcc, 0, v1
	v_cndmask_b32_e32 v1, v13, v14, vcc
	v_cmp_le_u32_e32 vcc, s9, v0
	s_cmp_eq_u32 s5, 0
	v_cndmask_b32_e64 v0, 0, -1, vcc
	s_cselect_b64 vcc, -1, 0
	v_cndmask_b32_e32 v0, -1, v0, vcc
	v_mov_b32_e32 v13, s1
	v_cmp_ne_u32_e32 vcc, 0, v0
	v_cndmask_b32_e32 v0, v13, v1, vcc
	v_xor_b32_e32 v0, s0, v0
	v_subrev_co_u32_e32 v0, vcc, s0, v0
	s_cbranch_execnz .LBB48_11
.LBB48_10:
	s_sub_i32 s0, 0, s9
	v_mul_lo_u32 v0, s0, v11
	v_mul_hi_u32 v0, v11, v0
	v_add_u32_e32 v0, v11, v0
	v_mul_hi_u32 v0, s4, v0
	v_mul_lo_u32 v13, v0, s9
	v_sub_u32_e32 v13, s4, v13
	v_add_u32_e32 v1, 1, v0
	v_subrev_u32_e32 v14, s9, v13
	v_cmp_le_u32_e32 vcc, s9, v13
	v_cndmask_b32_e32 v13, v13, v14, vcc
	v_cndmask_b32_e32 v0, v0, v1, vcc
	v_add_u32_e32 v1, 1, v0
	v_cmp_le_u32_e32 vcc, s9, v13
	v_cndmask_b32_e32 v0, v0, v1, vcc
.LBB48_11:
	v_cmp_ne_u32_e32 vcc, v8, v0
	s_cbranch_vccz .LBB48_14
; %bb.12:
	s_add_i32 s0, s8, s9
	s_lshl_b32 s0, s0, 2
	v_mul_hi_u32 v1, v0, s16
	s_add_i32 s0, s0, s21
	s_mov_b32 s1, s10
	v_add_u32_e32 v1, v1, v0
	s_lshl_b64 s[0:1], s[0:1], 3
	v_lshrrev_b32_e32 v1, s17, v1
	s_add_u32 s4, s2, s0
	v_mul_lo_u32 v13, v1, s18
	s_addc_u32 s5, s3, s1
	v_cmp_eq_u32_e32 vcc, v13, v0
	v_cmp_gt_u32_e64 s[0:1], s19, v1
	s_or_b64 s[0:1], s[0:1], vcc
	s_and_b64 vcc, exec, s[0:1]
	s_cbranch_vccnz .LBB48_16
; %bb.13:
	s_add_i32 s11, s8, -1
	s_mov_b64 s[0:1], 0
	s_branch .LBB48_17
.LBB48_14:
                                        ; implicit-def: $sgpr0_sgpr1
                                        ; implicit-def: $vgpr14
                                        ; implicit-def: $vgpr1
                                        ; implicit-def: $vgpr13
                                        ; implicit-def: $sgpr11
                                        ; implicit-def: $vgpr0
	s_branch .LBB48_18
.LBB48_15:
                                        ; implicit-def: $vgpr0_vgpr1
	s_branch .LBB48_10
.LBB48_16:
	s_mov_b64 s[0:1], -1
	s_mov_b32 s11, s8
	v_mov_b32_e32 v0, v8
.LBB48_17:
	v_lshl_add_u32 v14, s8, 8, v4
	v_ashrrev_i32_e32 v15, 31, v14
	v_lshlrev_b64 v[14:15], 2, v[14:15]
	v_mov_b32_e32 v1, s23
	v_add_co_u32_e32 v14, vcc, s22, v14
	v_addc_co_u32_e32 v15, vcc, v1, v15, vcc
	global_load_dword v14, v[14:15], off
	s_load_dwordx2 s[4:5], s[4:5], 0x0
	v_max_f32_e32 v1, v7, v7
	s_waitcnt lgkmcnt(0)
	v_max_f32_e64 v13, s4, s4
	v_max_f32_e32 v1, v1, v13
	v_sub_f32_e32 v13, v7, v1
	v_sub_f32_e32 v15, s4, v1
	v_mul_f32_e32 v16, 0x3fb8aa3b, v13
	v_mul_f32_e32 v17, 0x3fb8aa3b, v15
	v_fma_f32 v18, v13, s6, -v16
	v_rndne_f32_e32 v19, v16
	v_fma_f32 v20, v15, s6, -v17
	v_rndne_f32_e32 v21, v17
	v_fmac_f32_e32 v18, 0x32a5705f, v13
	v_sub_f32_e32 v16, v16, v19
	v_fmac_f32_e32 v20, 0x32a5705f, v15
	v_sub_f32_e32 v17, v17, v21
	v_add_f32_e32 v16, v16, v18
	v_cvt_i32_f32_e32 v19, v19
	v_add_f32_e32 v17, v17, v20
	v_exp_f32_e32 v16, v16
	v_cvt_i32_f32_e32 v21, v21
	v_exp_f32_e32 v17, v17
	v_cmp_ngt_f32_e32 vcc, s7, v13
	v_ldexp_f32 v16, v16, v19
	v_cndmask_b32_e32 v16, 0, v16, vcc
	v_ldexp_f32 v17, v17, v21
	v_cmp_ngt_f32_e32 vcc, s7, v15
	v_cndmask_b32_e32 v17, 0, v17, vcc
	v_cmp_nlt_f32_e32 vcc, s12, v13
	v_cndmask_b32_e32 v16, v12, v16, vcc
	v_cmp_nlt_f32_e32 vcc, s12, v15
	v_cndmask_b32_e32 v17, v12, v17, vcc
	v_cmp_le_f32_e32 vcc, s13, v13
	v_cndmask_b32_e32 v16, 0, v16, vcc
	v_cmp_le_f32_e32 vcc, s13, v15
	v_cndmask_b32_e32 v15, 0, v17, vcc
	v_mul_f32_e32 v13, s5, v15
	v_fmac_f32_e32 v13, v6, v16
	s_waitcnt vmcnt(0)
	v_mul_f32_e32 v14, v14, v15
	v_fmac_f32_e32 v14, v5, v16
	s_cbranch_execnz .LBB48_19
.LBB48_18:
	s_add_i32 s11, s8, -1
	s_mov_b64 s[0:1], 0
	v_mov_b32_e32 v0, v8
	v_mov_b32_e32 v13, v6
	;; [unrolled: 1-line block ×3, first 2 shown]
	s_waitcnt vmcnt(0)
	v_mov_b32_e32 v14, v5
.LBB48_19:
	s_andn2_b64 vcc, exec, s[0:1]
	s_cbranch_vccz .LBB48_23
; %bb.20:
	v_mov_b32_e32 v8, v0
	s_mov_b32 s8, s11
	v_mov_b32_e32 v6, v13
	v_mov_b32_e32 v7, v1
	s_waitcnt vmcnt(0)
	v_mov_b32_e32 v5, v14
	s_mul_hi_i32 s11, s8, s15
	s_cmp_lg_u64 s[10:11], 0
	s_mul_i32 s4, s8, s15
	s_cbranch_scc1 .LBB48_9
	s_branch .LBB48_15
.LBB48_21:
                                        ; implicit-def: $sgpr20_sgpr21
	s_load_dwordx4 s[16:19], s[4:5], 0x44
	s_branch .LBB48_2
.LBB48_22:
                                        ; implicit-def: $vgpr2_vgpr3
	s_branch .LBB48_5
.LBB48_23:
	v_div_scale_f32 v0, s[0:1], v13, v13, v14
	v_rcp_f32_e32 v1, v0
	v_div_scale_f32 v4, vcc, v14, v13, v14
	s_waitcnt vmcnt(0)
	v_fma_f32 v5, -v0, v1, 1.0
	v_fmac_f32_e32 v1, v5, v1
	v_mul_f32_e32 v5, v4, v1
	v_fma_f32 v6, -v0, v5, v4
	v_fmac_f32_e32 v5, v6, v1
	v_fma_f32 v0, -v0, v5, v4
	v_div_fmas_f32 v0, v0, v1, v5
	v_div_fixup_f32 v0, v0, v13, v14
	global_store_dword v[2:3], v0, off
.LBB48_24:
	s_endpgm
	.section	.rodata,"a",@progbits
	.p2align	6, 0x0
	.amdhsa_kernel _ZL33flash_attn_stream_k_fixup_generalILi64ELi2ELi2EEvPfPK15HIP_vector_typeIfLj2EEiiiiS1_IjLj3EES5_S5_S5_
		.amdhsa_group_segment_fixed_size 0
		.amdhsa_private_segment_fixed_size 0
		.amdhsa_kernarg_size 336
		.amdhsa_user_sgpr_count 6
		.amdhsa_user_sgpr_private_segment_buffer 1
		.amdhsa_user_sgpr_dispatch_ptr 0
		.amdhsa_user_sgpr_queue_ptr 0
		.amdhsa_user_sgpr_kernarg_segment_ptr 1
		.amdhsa_user_sgpr_dispatch_id 0
		.amdhsa_user_sgpr_flat_scratch_init 0
		.amdhsa_user_sgpr_kernarg_preload_length 0
		.amdhsa_user_sgpr_kernarg_preload_offset 0
		.amdhsa_user_sgpr_private_segment_size 0
		.amdhsa_uses_dynamic_stack 0
		.amdhsa_system_sgpr_private_segment_wavefront_offset 0
		.amdhsa_system_sgpr_workgroup_id_x 1
		.amdhsa_system_sgpr_workgroup_id_y 1
		.amdhsa_system_sgpr_workgroup_id_z 1
		.amdhsa_system_sgpr_workgroup_info 0
		.amdhsa_system_vgpr_workitem_id 0
		.amdhsa_next_free_vgpr 22
		.amdhsa_next_free_sgpr 32
		.amdhsa_accum_offset 24
		.amdhsa_reserve_vcc 1
		.amdhsa_reserve_flat_scratch 0
		.amdhsa_float_round_mode_32 0
		.amdhsa_float_round_mode_16_64 0
		.amdhsa_float_denorm_mode_32 3
		.amdhsa_float_denorm_mode_16_64 3
		.amdhsa_dx10_clamp 1
		.amdhsa_ieee_mode 1
		.amdhsa_fp16_overflow 0
		.amdhsa_tg_split 0
		.amdhsa_exception_fp_ieee_invalid_op 0
		.amdhsa_exception_fp_denorm_src 0
		.amdhsa_exception_fp_ieee_div_zero 0
		.amdhsa_exception_fp_ieee_overflow 0
		.amdhsa_exception_fp_ieee_underflow 0
		.amdhsa_exception_fp_ieee_inexact 0
		.amdhsa_exception_int_div_zero 0
	.end_amdhsa_kernel
	.section	.text._ZL33flash_attn_stream_k_fixup_generalILi64ELi2ELi2EEvPfPK15HIP_vector_typeIfLj2EEiiiiS1_IjLj3EES5_S5_S5_,"axG",@progbits,_ZL33flash_attn_stream_k_fixup_generalILi64ELi2ELi2EEvPfPK15HIP_vector_typeIfLj2EEiiiiS1_IjLj3EES5_S5_S5_,comdat
.Lfunc_end48:
	.size	_ZL33flash_attn_stream_k_fixup_generalILi64ELi2ELi2EEvPfPK15HIP_vector_typeIfLj2EEiiiiS1_IjLj3EES5_S5_S5_, .Lfunc_end48-_ZL33flash_attn_stream_k_fixup_generalILi64ELi2ELi2EEvPfPK15HIP_vector_typeIfLj2EEiiiiS1_IjLj3EES5_S5_S5_
                                        ; -- End function
	.section	.AMDGPU.csdata,"",@progbits
; Kernel info:
; codeLenInByte = 2824
; NumSgprs: 36
; NumVgprs: 22
; NumAgprs: 0
; TotalNumVgprs: 22
; ScratchSize: 0
; MemoryBound: 0
; FloatMode: 240
; IeeeMode: 1
; LDSByteSize: 0 bytes/workgroup (compile time only)
; SGPRBlocks: 4
; VGPRBlocks: 2
; NumSGPRsForWavesPerEU: 36
; NumVGPRsForWavesPerEU: 22
; AccumOffset: 24
; Occupancy: 8
; WaveLimiterHint : 0
; COMPUTE_PGM_RSRC2:SCRATCH_EN: 0
; COMPUTE_PGM_RSRC2:USER_SGPR: 6
; COMPUTE_PGM_RSRC2:TRAP_HANDLER: 0
; COMPUTE_PGM_RSRC2:TGID_X_EN: 1
; COMPUTE_PGM_RSRC2:TGID_Y_EN: 1
; COMPUTE_PGM_RSRC2:TGID_Z_EN: 1
; COMPUTE_PGM_RSRC2:TIDIG_COMP_CNT: 0
; COMPUTE_PGM_RSRC3_GFX90A:ACCUM_OFFSET: 5
; COMPUTE_PGM_RSRC3_GFX90A:TG_SPLIT: 0
	.section	.text._ZL15flash_attn_tileILi64ELi64ELi1ELi2ELb0EEvPKcS1_S1_S1_S1_PKiPfP15HIP_vector_typeIfLj2EEffffjfiS5_IjLj3EEiiiiiiiiiiiliiliiiiil,"axG",@progbits,_ZL15flash_attn_tileILi64ELi64ELi1ELi2ELb0EEvPKcS1_S1_S1_S1_PKiPfP15HIP_vector_typeIfLj2EEffffjfiS5_IjLj3EEiiiiiiiiiiiliiliiiiil,comdat
	.globl	_ZL15flash_attn_tileILi64ELi64ELi1ELi2ELb0EEvPKcS1_S1_S1_S1_PKiPfP15HIP_vector_typeIfLj2EEffffjfiS5_IjLj3EEiiiiiiiiiiiliiliiiiil ; -- Begin function _ZL15flash_attn_tileILi64ELi64ELi1ELi2ELb0EEvPKcS1_S1_S1_S1_PKiPfP15HIP_vector_typeIfLj2EEffffjfiS5_IjLj3EEiiiiiiiiiiiliiliiiiil
	.p2align	8
	.type	_ZL15flash_attn_tileILi64ELi64ELi1ELi2ELb0EEvPKcS1_S1_S1_S1_PKiPfP15HIP_vector_typeIfLj2EEffffjfiS5_IjLj3EEiiiiiiiiiiiliiliiiiil,@function
_ZL15flash_attn_tileILi64ELi64ELi1ELi2ELb0EEvPKcS1_S1_S1_S1_PKiPfP15HIP_vector_typeIfLj2EEffffjfiS5_IjLj3EEiiiiiiiiiiiliiliiiiil: ; @_ZL15flash_attn_tileILi64ELi64ELi1ELi2ELb0EEvPKcS1_S1_S1_S1_PKiPfP15HIP_vector_typeIfLj2EEffffjfiS5_IjLj3EEiiiiiiiiiiiliiliiiiil
; %bb.0:
	s_load_dwordx4 s[24:27], s[4:5], 0x5c
	s_load_dwordx2 s[28:29], s[4:5], 0x80
	s_mov_b64 s[30:31], 0
	s_waitcnt lgkmcnt(0)
	s_lshr_b32 s0, s27, 31
	s_add_i32 s0, s27, s0
	s_ashr_i32 s0, s0, 1
	v_cvt_f32_u32_e32 v1, s0
	s_sub_i32 s1, 0, s0
	v_rcp_iflag_f32_e32 v1, v1
	v_mul_f32_e32 v1, 0x4f7ffffe, v1
	v_cvt_u32_f32_e32 v1, v1
	v_readfirstlane_b32 s2, v1
	s_mul_i32 s1, s1, s2
	s_mul_hi_u32 s1, s2, s1
	s_add_i32 s2, s2, s1
	s_mul_hi_u32 s1, s8, s2
	s_mul_i32 s2, s1, s0
	s_sub_i32 s2, s8, s2
	s_add_i32 s3, s1, 1
	s_sub_i32 s9, s2, s0
	s_cmp_ge_u32 s2, s0
	s_cselect_b32 s1, s3, s1
	s_cselect_b32 s2, s9, s2
	s_add_i32 s3, s1, 1
	s_cmp_ge_u32 s2, s0
	s_cselect_b32 s33, s3, s1
	s_abs_i32 s0, s29
	v_cvt_f32_u32_e32 v1, s0
	s_lshl_b32 s1, s8, 1
	s_mul_i32 s8, s33, s27
	s_xor_b32 s2, s27, s29
	v_rcp_iflag_f32_e32 v1, v1
	s_sub_i32 s9, 0, s0
	s_sub_i32 s29, s1, s8
	s_abs_i32 s3, s27
	v_mul_f32_e32 v1, 0x4f7ffffe, v1
	v_cvt_u32_f32_e32 v1, v1
	s_ashr_i32 s2, s2, 31
	v_readfirstlane_b32 s1, v1
	s_mul_i32 s9, s9, s1
	s_mul_hi_u32 s8, s1, s9
	s_add_i32 s1, s1, s8
	s_mul_hi_u32 s1, s3, s1
	s_mul_i32 s8, s1, s0
	s_sub_i32 s3, s3, s8
	s_add_i32 s9, s1, 1
	s_sub_i32 s8, s3, s0
	s_cmp_ge_u32 s3, s0
	s_cselect_b32 s1, s9, s1
	s_cselect_b32 s3, s8, s3
	s_add_i32 s8, s1, 1
	s_cmp_ge_u32 s3, s0
	s_cselect_b32 s0, s8, s1
	s_xor_b32 s0, s0, s2
	s_sub_i32 s35, s0, s2
	s_abs_i32 s34, s35
	v_cvt_f32_u32_e32 v1, s34
	s_load_dwordx16 s[8:23], s[4:5], 0x0
	s_load_dwordx2 s[0:1], s[4:5], 0xb8
	v_rcp_iflag_f32_e32 v1, v1
	s_waitcnt lgkmcnt(0)
	s_cmp_eq_u64 s[14:15], 0
	v_mul_f32_e32 v1, 0x4f7ffffe, v1
	v_cvt_u32_f32_e32 v1, v1
	v_readfirstlane_b32 s36, v1
	s_cbranch_scc1 .LBB49_2
; %bb.1:
	s_abs_i32 s0, s0
	v_cvt_f32_u32_e32 v1, s0
	s_sub_i32 s37, 0, s0
	s_abs_i32 s31, s33
	s_ashr_i32 s30, s33, 31
	v_rcp_iflag_f32_e32 v1, v1
	s_load_dwordx2 s[2:3], s[4:5], 0xc8
	v_mul_f32_e32 v1, 0x4f7ffffe, v1
	v_cvt_u32_f32_e32 v1, v1
	v_readfirstlane_b32 s38, v1
	s_mul_i32 s37, s37, s38
	s_mul_hi_u32 s37, s38, s37
	s_add_i32 s38, s38, s37
	s_mul_hi_u32 s37, s31, s38
	s_mul_i32 s37, s37, s0
	s_sub_i32 s31, s31, s37
	s_sub_i32 s37, s31, s0
	s_cmp_ge_u32 s31, s0
	s_cselect_b32 s31, s37, s31
	s_sub_i32 s37, s31, s0
	s_cmp_ge_u32 s31, s0
	s_cselect_b32 s0, s37, s31
	s_xor_b32 s0, s0, s30
	s_sub_i32 s0, s0, s30
	s_ashr_i32 s30, s0, 31
	s_waitcnt lgkmcnt(0)
	s_mul_i32 s3, s0, s3
	s_mul_hi_u32 s31, s0, s2
	s_add_i32 s3, s31, s3
	s_mul_i32 s30, s30, s2
	s_add_i32 s3, s3, s30
	s_mul_i32 s0, s0, s2
	s_add_u32 s30, s14, s0
	s_addc_u32 s31, s15, s3
.LBB49_2:
	s_load_dwordx4 s[40:43], s[4:5], 0x70
	v_bfe_u32 v4, v0, 10, 10
	v_lshrrev_b32_e32 v1, 1, v4
	v_and_b32_e32 v21, 1, v4
	v_add_u32_e32 v1, s6, v1
	s_waitcnt lgkmcnt(0)
	s_mul_i32 s0, s33, s42
	s_ashr_i32 s3, s0, 31
	s_mul_i32 s2, s29, s41
	s_add_u32 s0, s8, s0
	s_addc_u32 s3, s9, s3
	s_ashr_i32 s8, s2, 31
	s_add_u32 s0, s0, s2
	s_addc_u32 s8, s3, s8
	s_ashr_i32 s2, s41, 31
	v_mov_b32_e32 v2, s41
	v_alignbit_b32 v2, s2, v2, 2
	v_mul_lo_u32 v6, v2, v21
	v_mul_hi_u32 v2, s24, v1
	v_add_u32_e32 v2, v1, v2
	v_lshrrev_b32_e32 v2, s25, v2
	v_mul_lo_u32 v2, v2, s26
	s_ashr_i32 s9, s40, 31
	v_mov_b32_e32 v3, s40
	s_lshr_b32 s3, s2, 2
	v_sub_u32_e32 v2, v1, v2
	v_alignbit_b32 v3, s9, v3, 2
	v_mul_lo_u32 v7, s3, v21
	v_mad_u64_u32 v[8:9], s[2:3], v3, v2, 0
	v_mov_b32_e32 v10, v9
	s_lshr_b32 s2, s9, 2
	v_mad_u64_u32 v[10:11], s[2:3], s2, v2, v[10:11]
	v_lshlrev_b64 v[6:7], 2, v[6:7]
	v_mov_b32_e32 v9, v10
	v_mov_b32_e32 v3, s8
	v_add_co_u32_e32 v5, vcc, s0, v6
	v_addc_co_u32_e32 v3, vcc, v3, v7, vcc
	v_lshlrev_b64 v[6:7], 2, v[8:9]
	v_and_b32_e32 v0, 0x3ff, v0
	v_add_co_u32_e32 v5, vcc, v5, v6
	v_addc_co_u32_e32 v3, vcc, v3, v7, vcc
	v_lshlrev_b32_e32 v6, 3, v0
	v_add_co_u32_e32 v6, vcc, v5, v6
	v_addc_co_u32_e32 v7, vcc, 0, v3, vcc
	global_load_dwordx2 v[6:7], v[6:7], off
	s_load_dword s0, s[4:5], 0x40
	v_lshlrev_b32_e32 v3, 5, v4
	v_add_lshl_u32 v3, v3, v0, 2
	s_cmp_eq_u64 s[18:19], 0
	s_waitcnt vmcnt(0) lgkmcnt(0)
	v_fma_mixlo_f16 v5, v6, s0, 0
	v_fma_mixhi_f16 v5, v7, s0, 0
	ds_write_b32 v3, v5 offset:4608
	s_waitcnt lgkmcnt(0)
	; wave barrier
	s_waitcnt lgkmcnt(0)
	s_cbranch_scc1 .LBB49_4
; %bb.3:
	s_load_dword s0, s[4:5], 0xd0
	s_mov_b32 s3, 0
	s_waitcnt lgkmcnt(0)
	s_mul_i32 s0, s0, s33
	s_add_i32 s2, s0, s6
	s_lshl_b64 s[2:3], s[2:3], 2
	s_add_u32 s2, s18, s2
	s_addc_u32 s3, s19, s3
	s_load_dword s28, s[2:3], 0x0
.LBB49_4:
	s_lshl_b32 s6, s7, 5
	s_waitcnt lgkmcnt(0)
	s_cmp_lt_i32 s6, s28
	v_mbcnt_lo_u32_b32 v12, -1, 0
	s_cbranch_scc1 .LBB49_6
; %bb.5:
	v_mbcnt_hi_u32_b32 v3, -1, v12
	v_and_b32_e32 v5, 0x60, v3
	s_mov_b32 s0, 0
	v_add_u32_e32 v23, 32, v5
	v_xor_b32_e32 v28, 16, v3
	v_xor_b32_e32 v27, 8, v3
	;; [unrolled: 1-line block ×5, first 2 shown]
	s_mov_b64 s[2:3], 0
	s_mov_b32 s8, 0xfeffffff
	s_branch .LBB49_7
.LBB49_6:
	s_mov_b64 s[2:3], -1
                                        ; implicit-def: $sgpr0
                                        ; implicit-def: $sgpr8
                                        ; implicit-def: $vgpr3
                                        ; implicit-def: $vgpr23
                                        ; implicit-def: $vgpr28
                                        ; implicit-def: $vgpr27
                                        ; implicit-def: $vgpr26
                                        ; implicit-def: $vgpr25
                                        ; implicit-def: $vgpr24
.LBB49_7:
	s_andn2_b64 vcc, exec, s[2:3]
	v_mov_b32_e32 v22, s0
	v_mov_b32_e32 v20, s8
	;; [unrolled: 1-line block ×3, first 2 shown]
	s_cbranch_vccnz .LBB49_10
; %bb.8:
	s_sub_i32 s0, 0, s34
	s_mul_i32 s0, s0, s36
	s_mul_hi_u32 s0, s36, s0
	s_add_i32 s0, s36, s0
	s_load_dwordx2 s[2:3], s[4:5], 0x8c
	s_load_dwordx4 s[36:39], s[4:5], 0x98
	s_ashr_i32 s24, s35, 31
	s_abs_i32 s18, s29
	s_ashr_i32 s19, s29, 31
	s_waitcnt lgkmcnt(0)
	s_ashr_i32 s15, s2, 2
	s_ashr_i32 s2, s33, 31
	s_mul_i32 s25, s33, s37
	s_mul_hi_u32 s35, s33, s36
	s_add_i32 s25, s35, s25
	s_mul_i32 s35, s2, s36
	s_ashr_i32 s14, s38, 2
	s_ashr_i32 s1, s1, 1
	s_add_i32 s25, s25, s35
	s_mul_i32 s35, s33, s36
	s_mul_hi_u32 s0, s18, s0
	s_add_u32 s10, s10, s35
	s_addc_u32 s11, s11, s25
	s_xor_b32 s19, s19, s24
	s_mul_i32 s24, s0, s34
	s_sub_i32 s18, s18, s24
	s_add_i32 s24, s0, 1
	s_sub_i32 s25, s18, s34
	s_cmp_ge_u32 s18, s34
	s_cselect_b32 s0, s24, s0
	s_cselect_b32 s18, s25, s18
	s_add_i32 s24, s0, 1
	s_cmp_ge_u32 s18, s34
	s_load_dwordx2 s[8:9], s[4:5], 0xa8
	s_cselect_b32 s0, s24, s0
	s_xor_b32 s0, s0, s19
	s_sub_i32 s0, s0, s19
	s_mul_i32 s3, s0, s3
	s_ashr_i32 s19, s3, 31
	s_add_u32 s18, s10, s3
	s_waitcnt lgkmcnt(0)
	s_mul_i32 s3, s33, s9
	s_mul_hi_u32 s9, s33, s8
	s_addc_u32 s19, s11, s19
	s_add_i32 s3, s9, s3
	s_mul_i32 s2, s2, s8
	s_add_i32 s3, s3, s2
	s_mul_i32 s2, s33, s8
	s_add_u32 s2, s12, s2
	s_mul_i32 s0, s0, s39
	v_lshlrev_b32_e32 v29, 2, v0
	s_addc_u32 s3, s13, s3
	s_ashr_i32 s8, s0, 31
	v_lshrrev_b32_e32 v3, 3, v0
	v_and_b32_e32 v6, 28, v29
	s_add_u32 s12, s2, s0
	v_lshl_add_u32 v5, v4, 2, v3
	v_lshlrev_b32_e32 v7, 2, v6
	s_movk_i32 s0, 0x90
	s_addc_u32 s13, s3, s8
	v_mad_u32_u24 v30, v5, s0, v7
	v_mul_lo_u32 v8, s15, v5
	s_lshl_b32 s0, s15, 3
	v_add_u32_e32 v10, s0, v8
	v_add_u32_e32 v14, s0, v10
	;; [unrolled: 1-line block ×3, first 2 shown]
	v_mad_u64_u32 v[2:3], s[0:1], v2, s1, v[0:1]
	v_mul_lo_u32 v18, s14, v5
	s_lshl_b32 s0, s14, 3
	v_add_u32_e32 v46, s0, v18
	v_mov_b32_e32 v3, 0x1300
	v_add_u32_e32 v48, s0, v46
	v_lshl_add_u32 v36, v4, 6, v3
	v_add_u32_e32 v50, s0, v48
	v_mbcnt_hi_u32_b32 v3, -1, v12
	v_ashrrev_i32_e32 v9, 31, v8
	v_ashrrev_i32_e32 v11, 31, v10
	;; [unrolled: 1-line block ×4, first 2 shown]
	v_lshl_or_b32 v38, v5, 7, v7
	v_ashrrev_i32_e32 v19, 31, v18
	v_ashrrev_i32_e32 v47, 31, v46
	;; [unrolled: 1-line block ×4, first 2 shown]
	s_add_u32 s10, s4, 0xd0
	v_and_b32_e32 v12, 0x60, v3
	v_mov_b32_e32 v22, 0
	v_add_u32_e32 v31, 0x480, v30
	v_add_u32_e32 v32, 0x900, v30
	;; [unrolled: 1-line block ×3, first 2 shown]
	v_mul_u32_u24_e32 v34, 0x90, v0
	v_lshlrev_b32_e32 v35, 7, v4
	v_lshl_add_u32 v37, v0, 1, v36
	v_add_u32_e32 v39, 0x400, v38
	v_add_u32_e32 v40, 0x800, v38
	;; [unrolled: 1-line block ×3, first 2 shown]
	s_addc_u32 s11, s5, 0
	v_mov_b32_e32 v20, 0xfeffffff
	v_lshlrev_b64 v[4:5], 2, v[8:9]
	v_lshlrev_b32_e32 v42, 2, v6
	v_lshlrev_b64 v[6:7], 2, v[10:11]
	v_lshlrev_b64 v[8:9], 2, v[14:15]
	;; [unrolled: 1-line block ×3, first 2 shown]
	v_mov_b32_e32 v43, s31
	v_add_u32_e32 v23, 32, v12
	v_xor_b32_e32 v28, 16, v3
	v_xor_b32_e32 v27, 8, v3
	;; [unrolled: 1-line block ×5, first 2 shown]
	s_mov_b32 s24, 0x3fb8aa3b
	s_mov_b32 s25, 0xc2ce8ed0
	;; [unrolled: 1-line block ×3, first 2 shown]
	v_mov_b32_e32 v44, 0x7f800000
	v_lshlrev_b64 v[12:13], 2, v[18:19]
	v_lshlrev_b64 v[14:15], 2, v[46:47]
	;; [unrolled: 1-line block ×4, first 2 shown]
	v_add_u32_e32 v45, 0x400, v29
	v_add_u32_e32 v46, 0x800, v29
	;; [unrolled: 1-line block ×3, first 2 shown]
	v_mov_b32_e32 v49, 0
.LBB49_9:                               ; =>This Inner Loop Header: Depth=1
	v_cmp_lt_i32_e32 vcc, v28, v23
	v_cndmask_b32_e32 v52, v3, v28, vcc
	v_cmp_lt_i32_e32 vcc, v27, v23
	v_add_u32_e32 v50, s6, v2
	v_cndmask_b32_e32 v53, v3, v27, vcc
	v_cmp_lt_i32_e32 vcc, v26, v23
	s_mul_hi_i32 s1, s6, s15
	s_mul_i32 s0, s6, s15
	v_cndmask_b32_e32 v54, v3, v26, vcc
	v_cmp_lt_i32_e32 vcc, v25, v23
	v_ashrrev_i32_e32 v51, 31, v50
	v_cndmask_b32_e32 v55, v3, v25, vcc
	v_cmp_lt_i32_e32 vcc, v24, v23
	s_lshl_b64 s[0:1], s[0:1], 2
	v_lshlrev_b64 v[50:51], 1, v[50:51]
	v_cndmask_b32_e32 v56, v3, v24, vcc
	s_add_u32 s8, s18, s0
	v_add_co_u32_e32 v66, vcc, s30, v50
	s_addc_u32 s9, s19, s1
	v_addc_co_u32_e32 v67, vcc, v43, v51, vcc
	s_mul_hi_i32 s3, s6, s14
	s_mul_i32 s2, s6, s14
	v_lshlrev_b32_e32 v75, 2, v52
	v_mov_b32_e32 v51, s9
	v_add_co_u32_e32 v52, vcc, s8, v6
	v_lshlrev_b32_e32 v76, 2, v53
	v_lshlrev_b32_e32 v77, 2, v54
	;; [unrolled: 1-line block ×4, first 2 shown]
	s_lshl_b64 s[34:35], s[2:3], 2
	v_mov_b32_e32 v50, s9
	v_mov_b32_e32 v53, s9
	v_add_co_u32_e64 v54, s[0:1], s8, v8
	v_mov_b32_e32 v55, s9
	v_add_co_u32_e64 v56, s[2:3], s8, v10
	v_add_co_u32_e64 v57, s[8:9], s8, v4
	v_addc_co_u32_e32 v51, vcc, v51, v7, vcc
	v_addc_co_u32_e64 v50, s[8:9], v50, v5, s[8:9]
	v_add_co_u32_e32 v62, vcc, v52, v42
	v_addc_co_u32_e64 v52, s[0:1], v53, v9, s[0:1]
	v_add_co_u32_e64 v64, s[0:1], v54, v42
	v_addc_co_u32_e64 v53, s[2:3], v55, v11, s[2:3]
	v_add_co_u32_e64 v70, s[8:9], v57, v42
	v_add_co_u32_e64 v68, s[2:3], v56, v42
	v_addc_co_u32_e64 v71, s[8:9], 0, v50, s[8:9]
	v_addc_co_u32_e32 v63, vcc, 0, v51, vcc
	v_addc_co_u32_e64 v65, vcc, 0, v52, s[0:1]
	v_addc_co_u32_e64 v69, vcc, 0, v53, s[2:3]
	global_load_dwordx4 v[50:53], v[70:71], off
	global_load_dwordx4 v[54:57], v[62:63], off
	global_load_dwordx4 v[58:61], v[64:65], off
                                        ; kill: killed $vgpr70 killed $vgpr71
                                        ; kill: killed $vgpr64 killed $vgpr65
                                        ; kill: killed $vgpr62 killed $vgpr63
	s_nop 0
	global_load_dwordx4 v[62:65], v[68:69], off
	v_mov_b32_e32 v48, v20
	v_mov_b32_e32 v20, 0
	s_add_u32 s34, s12, s34
	s_addc_u32 s35, s13, s35
	v_mov_b32_e32 v72, s35
	v_add_co_u32_e32 v73, vcc, s34, v12
	v_mov_b32_e32 v80, s35
	v_add_co_u32_e64 v68, s[0:1], s34, v14
	v_mov_b32_e32 v69, s35
	v_add_co_u32_e64 v70, s[2:3], s34, v16
	;; [unrolled: 2-line block ×3, first 2 shown]
	v_mov_b32_e32 v74, v49
	v_max_f32_e32 v49, v48, v48
	s_waitcnt vmcnt(3)
	ds_write_b128 v30, v[50:53]
	s_waitcnt vmcnt(2)
	ds_write_b128 v31, v[54:57]
	;; [unrolled: 2-line block ×4, first 2 shown]
	s_waitcnt lgkmcnt(0)
	; wave barrier
	s_waitcnt lgkmcnt(0)
	ds_read_b128 v[50:53], v34
	ds_read_b128 v[54:57], v35 offset:4608
	s_waitcnt lgkmcnt(0)
	;;#ASMSTART
	v_dot2_f32_f16 v20, v50, v54, v20
	;;#ASMEND
	;;#ASMSTART
	v_dot2_f32_f16 v20, v51, v55, v20
	;;#ASMEND
	;;#ASMSTART
	v_dot2_f32_f16 v20, v52, v56, v20
	;;#ASMEND
	;;#ASMSTART
	v_dot2_f32_f16 v20, v53, v57, v20
	;;#ASMEND
	ds_read_b128 v[50:53], v34 offset:16
	ds_read_b128 v[54:57], v35 offset:4624
	s_waitcnt lgkmcnt(0)
	;;#ASMSTART
	v_dot2_f32_f16 v20, v50, v54, v20
	;;#ASMEND
	;;#ASMSTART
	v_dot2_f32_f16 v20, v51, v55, v20
	;;#ASMEND
	;;#ASMSTART
	v_dot2_f32_f16 v20, v52, v56, v20
	;;#ASMEND
	;;#ASMSTART
	v_dot2_f32_f16 v20, v53, v57, v20
	;;#ASMEND
	ds_read_b128 v[50:53], v34 offset:32
	;; [unrolled: 15-line block ×7, first 2 shown]
	ds_read_b128 v[54:57], v35 offset:4720
	s_waitcnt lgkmcnt(0)
	;;#ASMSTART
	v_dot2_f32_f16 v20, v50, v54, v20
	;;#ASMEND
	;;#ASMSTART
	v_dot2_f32_f16 v20, v51, v55, v20
	;;#ASMEND
	;; [unrolled: 3-line block ×4, first 2 shown]
	flat_load_ushort v82, v[66:67]
	v_addc_co_u32_e32 v50, vcc, v72, v13, vcc
	v_addc_co_u32_e64 v51, vcc, v80, v15, s[0:1]
	v_addc_co_u32_e64 v52, s[0:1], v69, v17, s[2:3]
	v_addc_co_u32_e64 v53, s[2:3], v71, v19, s[8:9]
	v_add_co_u32_e64 v72, s[8:9], v73, v42
	v_add_co_u32_e32 v66, vcc, v68, v42
	v_add_co_u32_e64 v68, s[0:1], v70, v42
	v_add_co_u32_e64 v70, s[2:3], v81, v42
	v_addc_co_u32_e64 v73, s[8:9], 0, v50, s[8:9]
	v_addc_co_u32_e32 v67, vcc, 0, v51, vcc
	v_addc_co_u32_e64 v69, vcc, 0, v52, s[0:1]
	v_addc_co_u32_e64 v71, vcc, 0, v53, s[2:3]
	s_waitcnt lgkmcnt(0)
	; wave barrier
	s_waitcnt lgkmcnt(0)
	global_load_dwordx4 v[50:53], v[72:73], off
	global_load_dwordx4 v[54:57], v[66:67], off
	;; [unrolled: 1-line block ×4, first 2 shown]
	s_waitcnt vmcnt(0)
	v_cvt_f32_f16_e32 v66, v82
	v_add_f32_e32 v66, v20, v66
	v_add_f32_e32 v20, 0x40051340, v66
	v_max_f32_e32 v20, v49, v20
	ds_bpermute_b32 v49, v75, v20
	s_waitcnt lgkmcnt(0)
	v_max_f32_e32 v49, v49, v49
	v_max_f32_e32 v20, v20, v49
	ds_bpermute_b32 v49, v76, v20
	s_waitcnt lgkmcnt(0)
	v_max_f32_e32 v49, v49, v49
	;; [unrolled: 4-line block ×5, first 2 shown]
	v_max_f32_e32 v20, v20, v49
	v_sub_f32_e32 v49, v66, v20
	v_sub_f32_e32 v48, v48, v20
	v_mul_f32_e32 v67, 0x3fb8aa3b, v49
	v_mul_f32_e32 v66, 0x3fb8aa3b, v48
	v_fma_f32 v70, v49, s24, -v67
	v_rndne_f32_e32 v71, v67
	v_fma_f32 v68, v48, s24, -v66
	v_rndne_f32_e32 v69, v66
	v_fmac_f32_e32 v70, 0x32a5705f, v49
	v_sub_f32_e32 v67, v67, v71
	v_fmac_f32_e32 v68, 0x32a5705f, v48
	v_sub_f32_e32 v66, v66, v69
	v_add_f32_e32 v67, v67, v70
	v_cvt_i32_f32_e32 v71, v71
	v_add_f32_e32 v66, v66, v68
	v_exp_f32_e32 v67, v67
	v_cvt_i32_f32_e32 v69, v69
	v_exp_f32_e32 v66, v66
	v_cmp_ngt_f32_e32 vcc, s25, v49
	v_ldexp_f32 v67, v67, v71
	v_cmp_ngt_f32_e64 s[0:1], s25, v48
	v_ldexp_f32 v66, v66, v69
	v_cndmask_b32_e32 v67, 0, v67, vcc
	v_cmp_nlt_f32_e32 vcc, s31, v49
	v_cndmask_b32_e64 v66, 0, v66, s[0:1]
	v_cmp_nlt_f32_e64 s[0:1], s31, v48
	v_cndmask_b32_e32 v49, v44, v67, vcc
	v_cndmask_b32_e64 v48, v44, v66, s[0:1]
	v_cvt_f16_f32_e32 v66, v49
	v_cvt_f16_f32_e32 v98, v48
	v_fmac_f32_e32 v49, v74, v48
	ds_write_b16 v37, v66
	ds_write_b128 v38, v[50:53]
	ds_write_b128 v39, v[54:57]
	;; [unrolled: 1-line block ×4, first 2 shown]
	s_waitcnt lgkmcnt(0)
	; wave barrier
	s_waitcnt lgkmcnt(0)
	ds_read2_b32 v[66:67], v29 offset1:32
	ds_read_b128 v[50:53], v36
	ds_read_b128 v[54:57], v36 offset:16
	ds_read_b128 v[58:61], v36 offset:32
	;; [unrolled: 1-line block ×3, first 2 shown]
	ds_read2_b32 v[68:69], v29 offset0:64 offset1:96
	ds_read2_b32 v[70:71], v29 offset0:128 offset1:160
	ds_read2_b32 v[72:73], v29 offset0:192 offset1:224
	ds_read2_b32 v[74:75], v45 offset1:32
	ds_read2_b32 v[76:77], v45 offset0:64 offset1:96
	ds_read2_b32 v[78:79], v45 offset0:128 offset1:160
	ds_read2_b32 v[80:81], v45 offset0:192 offset1:224
	ds_read2_b32 v[82:83], v46 offset1:32
	;; [unrolled: 4-line block ×3, first 2 shown]
	ds_read2_b32 v[92:93], v47 offset0:64 offset1:96
	ds_read2_b32 v[94:95], v47 offset0:128 offset1:160
	;; [unrolled: 1-line block ×3, first 2 shown]
	s_waitcnt lgkmcnt(14)
	v_pk_mul_f16 v48, v66, v50 op_sel_hi:[1,0]
	v_pk_fma_f16 v22, v22, v98, v48 op_sel_hi:[1,0,1]
	v_pk_fma_f16 v22, v67, v50, v22 op_sel:[0,1,0]
	v_pk_fma_f16 v22, v68, v51, v22 op_sel_hi:[1,0,1]
	v_pk_fma_f16 v22, v69, v51, v22 op_sel:[0,1,0]
	s_waitcnt lgkmcnt(13)
	v_pk_fma_f16 v22, v70, v52, v22 op_sel_hi:[1,0,1]
	v_pk_fma_f16 v22, v71, v52, v22 op_sel:[0,1,0]
	s_waitcnt lgkmcnt(12)
	;; [unrolled: 3-line block ×11, first 2 shown]
	; wave barrier
	s_waitcnt lgkmcnt(0)
	s_load_dword s0, s[10:11], 0x4
	v_pk_fma_f16 v22, v90, v62, v22 op_sel_hi:[1,0,1]
	v_pk_fma_f16 v22, v91, v62, v22 op_sel:[0,1,0]
	v_pk_fma_f16 v22, v92, v63, v22 op_sel_hi:[1,0,1]
	v_pk_fma_f16 v22, v93, v63, v22 op_sel:[0,1,0]
	v_pk_fma_f16 v22, v94, v64, v22 op_sel_hi:[1,0,1]
	s_waitcnt lgkmcnt(0)
	s_lshl_b32 s0, s0, 5
	v_pk_fma_f16 v22, v95, v64, v22 op_sel:[0,1,0]
	s_add_i32 s6, s0, s6
	v_pk_fma_f16 v22, v96, v65, v22 op_sel_hi:[1,0,1]
	s_cmp_lt_i32 s6, s28
	v_pk_fma_f16 v22, v97, v65, v22 op_sel:[0,1,0]
	s_cbranch_scc1 .LBB49_9
.LBB49_10:
	v_cmp_lt_i32_e32 vcc, v28, v23
	v_cndmask_b32_e32 v2, v3, v28, vcc
	v_lshlrev_b32_e32 v2, 2, v2
	ds_bpermute_b32 v2, v2, v49
	v_cmp_lt_i32_e32 vcc, v27, v23
	v_cndmask_b32_e32 v4, v3, v27, vcc
	v_lshlrev_b32_e32 v4, 2, v4
	v_cmp_lt_i32_e32 vcc, v26, v23
	s_waitcnt lgkmcnt(0)
	v_add_f32_e32 v2, v49, v2
	ds_bpermute_b32 v4, v4, v2
	v_cndmask_b32_e32 v5, v3, v26, vcc
	v_lshlrev_b32_e32 v5, 2, v5
	v_cmp_lt_i32_e32 vcc, v25, v23
	s_cmp_eq_u64 s[16:17], 0
	s_waitcnt lgkmcnt(0)
	v_add_f32_e32 v2, v2, v4
	ds_bpermute_b32 v4, v5, v2
	v_cndmask_b32_e32 v5, v3, v25, vcc
	v_lshlrev_b32_e32 v5, 2, v5
	v_cmp_lt_i32_e32 vcc, v24, v23
	v_cndmask_b32_e32 v3, v3, v24, vcc
	s_waitcnt lgkmcnt(0)
	v_add_f32_e32 v4, v2, v4
	ds_bpermute_b32 v5, v5, v4
	v_lshlrev_b32_e32 v3, 2, v3
	s_cselect_b64 s[0:1], -1, 0
	s_cmp_lg_u32 s7, 0
	s_cselect_b64 s[2:3], -1, 0
	s_waitcnt lgkmcnt(0)
	v_add_f32_e32 v4, v4, v5
	ds_bpermute_b32 v3, v3, v4
	s_or_b64 s[0:1], s[2:3], s[0:1]
	v_lshlrev_b32_e32 v6, 1, v0
	v_add_u32_e32 v2, s29, v21
	s_and_b64 vcc, exec, s[0:1]
	s_waitcnt lgkmcnt(0)
	v_add_f32_e32 v21, v4, v3
	s_cbranch_vccnz .LBB49_12
; %bb.11:
	v_ashrrev_i32_e32 v3, 31, v2
	v_lshlrev_b64 v[4:5], 2, v[2:3]
	v_mov_b32_e32 v3, s17
	v_add_co_u32_e32 v4, vcc, s16, v4
	v_addc_co_u32_e32 v5, vcc, v3, v5, vcc
	global_load_dword v3, v[4:5], off
	v_max_f32_e32 v4, v20, v20
	s_mov_b32 s0, 0x3fb8aa3b
	s_mov_b32 s1, 0xc2ce8ed0
	s_waitcnt vmcnt(0)
	v_max_f32_e32 v5, v3, v3
	v_max_f32_e32 v4, v4, v5
	v_sub_f32_e32 v5, v20, v4
	v_sub_f32_e32 v3, v3, v4
	v_mul_f32_e32 v7, 0x3fb8aa3b, v5
	v_mul_f32_e32 v8, 0x3fb8aa3b, v3
	v_fma_f32 v9, v5, s0, -v7
	v_rndne_f32_e32 v10, v7
	v_fma_f32 v11, v3, s0, -v8
	v_rndne_f32_e32 v12, v8
	v_fmac_f32_e32 v9, 0x32a5705f, v5
	v_sub_f32_e32 v7, v7, v10
	v_fmac_f32_e32 v11, 0x32a5705f, v3
	v_sub_f32_e32 v8, v8, v12
	v_add_f32_e32 v7, v7, v9
	v_cvt_i32_f32_e32 v10, v10
	v_add_f32_e32 v8, v8, v11
	v_exp_f32_e32 v7, v7
	v_cvt_i32_f32_e32 v12, v12
	v_exp_f32_e32 v8, v8
	v_cmp_ngt_f32_e32 vcc, s1, v5
	v_ldexp_f32 v7, v7, v10
	s_mov_b32 s0, 0x42b17218
	v_ldexp_f32 v8, v8, v12
	v_cndmask_b32_e32 v7, 0, v7, vcc
	v_cmp_ngt_f32_e32 vcc, s1, v3
	v_mov_b32_e32 v9, 0x7f800000
	v_cndmask_b32_e32 v8, 0, v8, vcc
	v_cmp_nlt_f32_e32 vcc, s0, v5
	v_cndmask_b32_e32 v7, v9, v7, vcc
	v_cvt_f16_f32_e32 v10, v7
	v_cmp_nlt_f32_e32 vcc, s0, v3
	v_cndmask_b32_e32 v5, v9, v8, vcc
	v_fmac_f32_e32 v5, v21, v7
	v_pk_mul_f16 v22, v22, v10 op_sel_hi:[1,0]
	v_pk_mov_b32 v[20:21], v[4:5], v[4:5] op_sel:[0,1]
	s_branch .LBB49_13
.LBB49_12:
	v_mov_b32_e32 v5, v21
.LBB49_13:
	v_div_scale_f32 v3, s[0:1], v5, v5, 1.0
	v_rcp_f32_e32 v4, v3
	s_load_dword s4, s[4:5], 0xd4
	s_mul_i32 s33, s33, s26
	v_add_u32_e32 v1, s33, v1
	v_fma_f32 v7, -v3, v4, 1.0
	v_fmac_f32_e32 v4, v7, v4
	v_div_scale_f32 v7, vcc, 1.0, v5, 1.0
	v_mul_f32_e32 v8, v7, v4
	v_fma_f32 v9, -v3, v8, v7
	v_fmac_f32_e32 v8, v9, v4
	v_fma_f32 v3, -v3, v8, v7
	s_waitcnt lgkmcnt(0)
	s_cmp_lg_u32 s4, 1
	v_div_fmas_f32 v3, v3, v4, v8
	v_div_fixup_f32 v3, v3, v5, 1.0
	s_cselect_b64 s[0:1], -1, 0
	v_cndmask_b32_e64 v4, v3, 1.0, s[0:1]
	v_mad_u64_u32 v[2:3], s[2:3], v1, s27, v[2:3]
	v_mul_lo_u32 v1, s4, v2
	v_add_u32_e32 v2, s7, v1
	v_lshl_add_u32 v6, v2, 6, v6
	v_mov_b32_e32 v7, 0
	v_lshlrev_b64 v[6:7], 2, v[6:7]
	v_cvt_f32_f16_sdwa v9, v22 dst_sel:DWORD dst_unused:UNUSED_PAD src0_sel:WORD_1
	v_cvt_f32_f16_e32 v8, v22
	v_mov_b32_e32 v1, s21
	v_add_co_u32_e32 v6, vcc, s20, v6
	v_addc_co_u32_e32 v7, vcc, v1, v7, vcc
	v_cmp_eq_u32_e32 vcc, 0, v0
	v_pk_mul_f32 v[4:5], v[4:5], v[8:9] op_sel_hi:[0,1]
	s_and_b64 s[0:1], vcc, s[0:1]
	global_store_dwordx2 v[6:7], v[4:5], off
	s_and_saveexec_b64 s[2:3], s[0:1]
	s_cbranch_execz .LBB49_15
; %bb.14:
	v_ashrrev_i32_e32 v3, 31, v2
	v_lshlrev_b64 v[0:1], 3, v[2:3]
	v_mov_b32_e32 v2, s23
	v_add_co_u32_e32 v0, vcc, s22, v0
	v_addc_co_u32_e32 v1, vcc, v2, v1, vcc
	global_store_dwordx2 v[0:1], v[20:21], off
.LBB49_15:
	s_endpgm
	.section	.rodata,"a",@progbits
	.p2align	6, 0x0
	.amdhsa_kernel _ZL15flash_attn_tileILi64ELi64ELi1ELi2ELb0EEvPKcS1_S1_S1_S1_PKiPfP15HIP_vector_typeIfLj2EEffffjfiS5_IjLj3EEiiiiiiiiiiiliiliiiiil
		.amdhsa_group_segment_fixed_size 4992
		.amdhsa_private_segment_fixed_size 0
		.amdhsa_kernarg_size 464
		.amdhsa_user_sgpr_count 6
		.amdhsa_user_sgpr_private_segment_buffer 1
		.amdhsa_user_sgpr_dispatch_ptr 0
		.amdhsa_user_sgpr_queue_ptr 0
		.amdhsa_user_sgpr_kernarg_segment_ptr 1
		.amdhsa_user_sgpr_dispatch_id 0
		.amdhsa_user_sgpr_flat_scratch_init 0
		.amdhsa_user_sgpr_kernarg_preload_length 0
		.amdhsa_user_sgpr_kernarg_preload_offset 0
		.amdhsa_user_sgpr_private_segment_size 0
		.amdhsa_uses_dynamic_stack 0
		.amdhsa_system_sgpr_private_segment_wavefront_offset 0
		.amdhsa_system_sgpr_workgroup_id_x 1
		.amdhsa_system_sgpr_workgroup_id_y 1
		.amdhsa_system_sgpr_workgroup_id_z 1
		.amdhsa_system_sgpr_workgroup_info 0
		.amdhsa_system_vgpr_workitem_id 1
		.amdhsa_next_free_vgpr 99
		.amdhsa_next_free_sgpr 44
		.amdhsa_accum_offset 100
		.amdhsa_reserve_vcc 1
		.amdhsa_reserve_flat_scratch 0
		.amdhsa_float_round_mode_32 0
		.amdhsa_float_round_mode_16_64 0
		.amdhsa_float_denorm_mode_32 3
		.amdhsa_float_denorm_mode_16_64 3
		.amdhsa_dx10_clamp 1
		.amdhsa_ieee_mode 1
		.amdhsa_fp16_overflow 0
		.amdhsa_tg_split 0
		.amdhsa_exception_fp_ieee_invalid_op 0
		.amdhsa_exception_fp_denorm_src 0
		.amdhsa_exception_fp_ieee_div_zero 0
		.amdhsa_exception_fp_ieee_overflow 0
		.amdhsa_exception_fp_ieee_underflow 0
		.amdhsa_exception_fp_ieee_inexact 0
		.amdhsa_exception_int_div_zero 0
	.end_amdhsa_kernel
	.section	.text._ZL15flash_attn_tileILi64ELi64ELi1ELi2ELb0EEvPKcS1_S1_S1_S1_PKiPfP15HIP_vector_typeIfLj2EEffffjfiS5_IjLj3EEiiiiiiiiiiiliiliiiiil,"axG",@progbits,_ZL15flash_attn_tileILi64ELi64ELi1ELi2ELb0EEvPKcS1_S1_S1_S1_PKiPfP15HIP_vector_typeIfLj2EEffffjfiS5_IjLj3EEiiiiiiiiiiiliiliiiiil,comdat
.Lfunc_end49:
	.size	_ZL15flash_attn_tileILi64ELi64ELi1ELi2ELb0EEvPKcS1_S1_S1_S1_PKiPfP15HIP_vector_typeIfLj2EEffffjfiS5_IjLj3EEiiiiiiiiiiiliiliiiiil, .Lfunc_end49-_ZL15flash_attn_tileILi64ELi64ELi1ELi2ELb0EEvPKcS1_S1_S1_S1_PKiPfP15HIP_vector_typeIfLj2EEffffjfiS5_IjLj3EEiiiiiiiiiiiliiliiiiil
                                        ; -- End function
	.section	.AMDGPU.csdata,"",@progbits
; Kernel info:
; codeLenInByte = 4004
; NumSgprs: 48
; NumVgprs: 99
; NumAgprs: 0
; TotalNumVgprs: 99
; ScratchSize: 0
; MemoryBound: 0
; FloatMode: 240
; IeeeMode: 1
; LDSByteSize: 4992 bytes/workgroup (compile time only)
; SGPRBlocks: 5
; VGPRBlocks: 12
; NumSGPRsForWavesPerEU: 48
; NumVGPRsForWavesPerEU: 99
; AccumOffset: 100
; Occupancy: 4
; WaveLimiterHint : 1
; COMPUTE_PGM_RSRC2:SCRATCH_EN: 0
; COMPUTE_PGM_RSRC2:USER_SGPR: 6
; COMPUTE_PGM_RSRC2:TRAP_HANDLER: 0
; COMPUTE_PGM_RSRC2:TGID_X_EN: 1
; COMPUTE_PGM_RSRC2:TGID_Y_EN: 1
; COMPUTE_PGM_RSRC2:TGID_Z_EN: 1
; COMPUTE_PGM_RSRC2:TIDIG_COMP_CNT: 1
; COMPUTE_PGM_RSRC3_GFX90A:ACCUM_OFFSET: 24
; COMPUTE_PGM_RSRC3_GFX90A:TG_SPLIT: 0
	.section	.text._ZL33flash_attn_stream_k_fixup_uniformILi64ELi1ELi2EEvPfPK15HIP_vector_typeIfLj2EEiiiiiiS1_IjLj3EES5_S5_,"axG",@progbits,_ZL33flash_attn_stream_k_fixup_uniformILi64ELi1ELi2EEvPfPK15HIP_vector_typeIfLj2EEiiiiiiS1_IjLj3EES5_S5_,comdat
	.globl	_ZL33flash_attn_stream_k_fixup_uniformILi64ELi1ELi2EEvPfPK15HIP_vector_typeIfLj2EEiiiiiiS1_IjLj3EES5_S5_ ; -- Begin function _ZL33flash_attn_stream_k_fixup_uniformILi64ELi1ELi2EEvPfPK15HIP_vector_typeIfLj2EEiiiiiiS1_IjLj3EES5_S5_
	.p2align	8
	.type	_ZL33flash_attn_stream_k_fixup_uniformILi64ELi1ELi2EEvPfPK15HIP_vector_typeIfLj2EEiiiiiiS1_IjLj3EES5_S5_,@function
_ZL33flash_attn_stream_k_fixup_uniformILi64ELi1ELi2EEvPfPK15HIP_vector_typeIfLj2EEiiiiiiS1_IjLj3EES5_S5_: ; @_ZL33flash_attn_stream_k_fixup_uniformILi64ELi1ELi2EEvPfPK15HIP_vector_typeIfLj2EEiiiiiiS1_IjLj3EES5_S5_
; %bb.0:
	s_load_dwordx8 s[12:19], s[4:5], 0x1c
	s_load_dwordx2 s[10:11], s[4:5], 0x10
	s_load_dwordx4 s[0:3], s[4:5], 0x3c
	s_waitcnt lgkmcnt(0)
	s_mul_hi_u32 s9, s15, s6
	s_add_i32 s9, s6, s9
	s_lshr_b32 s9, s9, s16
	s_mul_i32 s15, s9, s17
	s_sub_i32 s16, s6, s15
	s_mul_hi_u32 s15, s16, s18
	s_add_i32 s15, s16, s15
	s_lshr_b32 s15, s15, s19
	s_mul_i32 s0, s15, s0
	s_sub_i32 s0, s16, s0
	;; [unrolled: 5-line block ×3, first 2 shown]
	s_lshl_b32 s17, s1, 1
	s_add_i32 s16, s16, s7
	s_cmp_lt_i32 s16, s10
	s_cselect_b64 s[0:1], -1, 0
	s_add_i32 s17, s17, s8
	s_cmp_lt_i32 s17, s13
	s_cselect_b64 s[2:3], -1, 0
	s_and_b64 s[0:1], s[0:1], s[2:3]
	s_andn2_b64 vcc, exec, s[0:1]
	s_cbranch_vccnz .LBB50_6
; %bb.1:
	s_mul_i32 s9, s9, s10
	s_load_dwordx4 s[0:3], s[4:5], 0x0
	s_mul_i32 s15, s15, s13
	s_add_i32 s4, s16, s9
	s_mul_i32 s4, s4, s11
	s_add_i32 s5, s17, s15
	s_add_i32 s5, s5, s4
	v_lshl_or_b32 v2, s5, 6, v0
	v_ashrrev_i32_e32 v3, 31, v2
	v_lshlrev_b64 v[2:3], 2, v[2:3]
	s_waitcnt lgkmcnt(0)
	v_mov_b32_e32 v1, s1
	v_add_co_u32_e32 v2, vcc, s0, v2
	v_addc_co_u32_e32 v3, vcc, v1, v3, vcc
	global_load_dword v8, v[2:3], off
	s_mul_i32 s9, s6, s14
	s_add_i32 s4, s9, s14
	s_add_i32 s0, s7, s4
	s_lshl_b32 s0, s0, 1
	s_add_i32 s0, s0, s8
	s_add_i32 s0, s0, -2
	s_ashr_i32 s1, s0, 31
	s_lshl_b64 s[0:1], s[0:1], 3
	s_add_u32 s0, s2, s0
	s_addc_u32 s1, s3, s1
	s_load_dword s5, s[0:1], 0x4
	s_add_i32 s10, s4, -2
	s_cmp_lt_i32 s10, s9
	s_cbranch_scc1 .LBB50_4
; %bb.2:
	s_lshl_b32 s10, s12, 3
	s_ashr_i32 s11, s10, 31
	s_lshl_b64 s[10:11], s[10:11], 2
	s_add_u32 s10, s2, s10
	s_addc_u32 s13, s3, s11
	s_load_dword s0, s[0:1], 0x0
	s_add_i32 s6, s6, 1
	s_lshl_b32 s1, s8, 6
	s_add_i32 s12, s7, s12
	s_mul_i32 s6, s14, s6
	s_lshl_b32 s7, s7, 7
	s_add_i32 s12, s12, s4
	s_lshl_b32 s6, s6, 7
	s_add_i32 s1, s1, s7
	s_add_i32 s11, s4, -1
	s_lshl_b32 s4, s12, 1
	s_add_i32 s1, s1, s6
	s_add_i32 s4, s8, s4
	v_or_b32_e32 v0, s1, v0
	s_add_i32 s4, s4, -4
	v_add_u32_e32 v0, 0xffffff00, v0
	s_waitcnt lgkmcnt(0)
	v_mov_b32_e32 v7, s5
	v_mov_b32_e32 v6, s0
	;; [unrolled: 1-line block ×3, first 2 shown]
	s_mov_b32 s6, 0x3fb8aa3b
	s_mov_b32 s7, 0xc2ce8ed0
	;; [unrolled: 1-line block ×3, first 2 shown]
	v_mov_b32_e32 v5, 0x7f800000
	s_mov_b32 s12, 0xc1a00000
.LBB50_3:                               ; =>This Inner Loop Header: Depth=1
	v_ashrrev_i32_e32 v1, 31, v0
	v_lshlrev_b64 v[10:11], 2, v[0:1]
	v_add_co_u32_e32 v10, vcc, s10, v10
	v_addc_co_u32_e32 v11, vcc, v4, v11, vcc
	global_load_dword v1, v[10:11], off
	s_ashr_i32 s5, s4, 31
	s_lshl_b64 s[0:1], s[4:5], 3
	s_add_u32 s0, s2, s0
	s_addc_u32 s1, s3, s1
	s_load_dwordx2 s[14:15], s[0:1], 0x0
	s_waitcnt vmcnt(1)
	v_mov_b32_e32 v9, v8
	v_max_f32_e32 v8, v6, v6
	v_mov_b32_e32 v10, v7
	s_add_i32 s11, s11, -1
	s_waitcnt lgkmcnt(0)
	v_max_f32_e64 v7, s14, s14
	v_max_f32_e32 v7, v8, v7
	v_sub_f32_e32 v11, s14, v7
	v_sub_f32_e32 v8, v6, v7
	v_mul_f32_e32 v12, 0x3fb8aa3b, v11
	v_mov_b32_e32 v6, v7
	v_mul_f32_e32 v7, 0x3fb8aa3b, v8
	v_fma_f32 v15, v11, s6, -v12
	v_rndne_f32_e32 v16, v12
	v_fma_f32 v13, v8, s6, -v7
	v_rndne_f32_e32 v14, v7
	v_fmac_f32_e32 v15, 0x32a5705f, v11
	v_sub_f32_e32 v12, v12, v16
	v_fmac_f32_e32 v13, 0x32a5705f, v8
	v_sub_f32_e32 v7, v7, v14
	v_add_f32_e32 v12, v12, v15
	v_cvt_i32_f32_e32 v16, v16
	v_add_f32_e32 v7, v7, v13
	v_exp_f32_e32 v12, v12
	v_cvt_i32_f32_e32 v14, v14
	v_exp_f32_e32 v7, v7
	v_cmp_ngt_f32_e32 vcc, s7, v11
	v_ldexp_f32 v12, v12, v16
	v_cmp_ngt_f32_e64 s[0:1], s7, v8
	v_ldexp_f32 v7, v7, v14
	v_cndmask_b32_e32 v12, 0, v12, vcc
	v_cmp_nlt_f32_e32 vcc, s8, v11
	v_cndmask_b32_e64 v7, 0, v7, s[0:1]
	v_cmp_nlt_f32_e64 s[0:1], s8, v8
	v_cndmask_b32_e32 v12, v5, v12, vcc
	v_cmp_le_f32_e32 vcc, s12, v11
	v_cndmask_b32_e64 v7, v5, v7, s[0:1]
	v_cmp_le_f32_e64 s[0:1], s12, v8
	v_cndmask_b32_e32 v8, 0, v12, vcc
	s_add_i32 s4, s4, -2
	v_cndmask_b32_e64 v11, 0, v7, s[0:1]
	v_mul_f32_e32 v7, s15, v8
	v_add_u32_e32 v0, 0xffffff80, v0
	s_cmp_le_i32 s11, s9
	v_fmac_f32_e32 v7, v10, v11
	s_waitcnt vmcnt(0)
	v_mul_f32_e32 v8, v1, v8
	v_fmac_f32_e32 v8, v9, v11
	s_cbranch_scc0 .LBB50_3
	s_branch .LBB50_5
.LBB50_4:
	s_waitcnt lgkmcnt(0)
	v_mov_b32_e32 v7, s5
.LBB50_5:
	s_waitcnt vmcnt(0)
	v_div_scale_f32 v0, s[0:1], v7, v7, v8
	v_rcp_f32_e32 v1, v0
	v_div_scale_f32 v4, vcc, v8, v7, v8
	v_fma_f32 v5, -v0, v1, 1.0
	v_fmac_f32_e32 v1, v5, v1
	v_mul_f32_e32 v5, v4, v1
	v_fma_f32 v6, -v0, v5, v4
	v_fmac_f32_e32 v5, v6, v1
	v_fma_f32 v0, -v0, v5, v4
	v_div_fmas_f32 v0, v0, v1, v5
	v_div_fixup_f32 v0, v0, v7, v8
	global_store_dword v[2:3], v0, off
.LBB50_6:
	s_endpgm
	.section	.rodata,"a",@progbits
	.p2align	6, 0x0
	.amdhsa_kernel _ZL33flash_attn_stream_k_fixup_uniformILi64ELi1ELi2EEvPfPK15HIP_vector_typeIfLj2EEiiiiiiS1_IjLj3EES5_S5_
		.amdhsa_group_segment_fixed_size 0
		.amdhsa_private_segment_fixed_size 0
		.amdhsa_kernarg_size 76
		.amdhsa_user_sgpr_count 6
		.amdhsa_user_sgpr_private_segment_buffer 1
		.amdhsa_user_sgpr_dispatch_ptr 0
		.amdhsa_user_sgpr_queue_ptr 0
		.amdhsa_user_sgpr_kernarg_segment_ptr 1
		.amdhsa_user_sgpr_dispatch_id 0
		.amdhsa_user_sgpr_flat_scratch_init 0
		.amdhsa_user_sgpr_kernarg_preload_length 0
		.amdhsa_user_sgpr_kernarg_preload_offset 0
		.amdhsa_user_sgpr_private_segment_size 0
		.amdhsa_uses_dynamic_stack 0
		.amdhsa_system_sgpr_private_segment_wavefront_offset 0
		.amdhsa_system_sgpr_workgroup_id_x 1
		.amdhsa_system_sgpr_workgroup_id_y 1
		.amdhsa_system_sgpr_workgroup_id_z 1
		.amdhsa_system_sgpr_workgroup_info 0
		.amdhsa_system_vgpr_workitem_id 0
		.amdhsa_next_free_vgpr 17
		.amdhsa_next_free_sgpr 20
		.amdhsa_accum_offset 20
		.amdhsa_reserve_vcc 1
		.amdhsa_reserve_flat_scratch 0
		.amdhsa_float_round_mode_32 0
		.amdhsa_float_round_mode_16_64 0
		.amdhsa_float_denorm_mode_32 3
		.amdhsa_float_denorm_mode_16_64 3
		.amdhsa_dx10_clamp 1
		.amdhsa_ieee_mode 1
		.amdhsa_fp16_overflow 0
		.amdhsa_tg_split 0
		.amdhsa_exception_fp_ieee_invalid_op 0
		.amdhsa_exception_fp_denorm_src 0
		.amdhsa_exception_fp_ieee_div_zero 0
		.amdhsa_exception_fp_ieee_overflow 0
		.amdhsa_exception_fp_ieee_underflow 0
		.amdhsa_exception_fp_ieee_inexact 0
		.amdhsa_exception_int_div_zero 0
	.end_amdhsa_kernel
	.section	.text._ZL33flash_attn_stream_k_fixup_uniformILi64ELi1ELi2EEvPfPK15HIP_vector_typeIfLj2EEiiiiiiS1_IjLj3EES5_S5_,"axG",@progbits,_ZL33flash_attn_stream_k_fixup_uniformILi64ELi1ELi2EEvPfPK15HIP_vector_typeIfLj2EEiiiiiiS1_IjLj3EES5_S5_,comdat
.Lfunc_end50:
	.size	_ZL33flash_attn_stream_k_fixup_uniformILi64ELi1ELi2EEvPfPK15HIP_vector_typeIfLj2EEiiiiiiS1_IjLj3EES5_S5_, .Lfunc_end50-_ZL33flash_attn_stream_k_fixup_uniformILi64ELi1ELi2EEvPfPK15HIP_vector_typeIfLj2EEiiiiiiS1_IjLj3EES5_S5_
                                        ; -- End function
	.section	.AMDGPU.csdata,"",@progbits
; Kernel info:
; codeLenInByte = 828
; NumSgprs: 24
; NumVgprs: 17
; NumAgprs: 0
; TotalNumVgprs: 17
; ScratchSize: 0
; MemoryBound: 0
; FloatMode: 240
; IeeeMode: 1
; LDSByteSize: 0 bytes/workgroup (compile time only)
; SGPRBlocks: 2
; VGPRBlocks: 2
; NumSGPRsForWavesPerEU: 24
; NumVGPRsForWavesPerEU: 17
; AccumOffset: 20
; Occupancy: 8
; WaveLimiterHint : 0
; COMPUTE_PGM_RSRC2:SCRATCH_EN: 0
; COMPUTE_PGM_RSRC2:USER_SGPR: 6
; COMPUTE_PGM_RSRC2:TRAP_HANDLER: 0
; COMPUTE_PGM_RSRC2:TGID_X_EN: 1
; COMPUTE_PGM_RSRC2:TGID_Y_EN: 1
; COMPUTE_PGM_RSRC2:TGID_Z_EN: 1
; COMPUTE_PGM_RSRC2:TIDIG_COMP_CNT: 0
; COMPUTE_PGM_RSRC3_GFX90A:ACCUM_OFFSET: 4
; COMPUTE_PGM_RSRC3_GFX90A:TG_SPLIT: 0
	.section	.text._ZL33flash_attn_stream_k_fixup_generalILi64ELi1ELi2EEvPfPK15HIP_vector_typeIfLj2EEiiiiS1_IjLj3EES5_S5_S5_,"axG",@progbits,_ZL33flash_attn_stream_k_fixup_generalILi64ELi1ELi2EEvPfPK15HIP_vector_typeIfLj2EEiiiiS1_IjLj3EES5_S5_S5_,comdat
	.globl	_ZL33flash_attn_stream_k_fixup_generalILi64ELi1ELi2EEvPfPK15HIP_vector_typeIfLj2EEiiiiS1_IjLj3EES5_S5_S5_ ; -- Begin function _ZL33flash_attn_stream_k_fixup_generalILi64ELi1ELi2EEvPfPK15HIP_vector_typeIfLj2EEiiiiS1_IjLj3EES5_S5_S5_
	.p2align	8
	.type	_ZL33flash_attn_stream_k_fixup_generalILi64ELi1ELi2EEvPfPK15HIP_vector_typeIfLj2EEiiiiS1_IjLj3EES5_S5_S5_,@function
_ZL33flash_attn_stream_k_fixup_generalILi64ELi1ELi2EEvPfPK15HIP_vector_typeIfLj2EEiiiiS1_IjLj3EES5_S5_S5_: ; @_ZL33flash_attn_stream_k_fixup_generalILi64ELi1ELi2EEvPfPK15HIP_vector_typeIfLj2EEiiiiS1_IjLj3EES5_S5_S5_
; %bb.0:
	s_load_dwordx4 s[12:15], s[4:5], 0x10
	s_load_dword s9, s[4:5], 0x50
	s_mov_b32 s2, 0
	s_waitcnt lgkmcnt(0)
	s_mul_hi_i32 s3, s15, s6
	s_cmp_lg_u64 s[2:3], 0
	s_mul_i32 s2, s15, s6
	s_cbranch_scc0 .LBB51_21
; %bb.1:
	v_cvt_f32_u32_e32 v1, s9
	v_cvt_f32_ubyte0_e32 v2, 0
	s_sub_u32 s10, 0, s9
	s_subb_u32 s11, 0, 0
	v_madmk_f32 v1, v2, 0x4f800000, v1
	v_rcp_f32_e32 v1, v1
	v_mul_f32_e32 v1, 0x5f7ffffc, v1
	v_mul_f32_e32 v2, 0x2f800000, v1
	v_trunc_f32_e32 v2, v2
	v_madmk_f32 v1, v2, 0xcf800000, v1
	v_cvt_u32_f32_e32 v2, v2
	v_cvt_u32_f32_e32 v1, v1
	v_readfirstlane_b32 s16, v2
	v_readfirstlane_b32 s17, v1
	s_mul_i32 s18, s10, s16
	s_mul_hi_u32 s20, s10, s17
	s_mul_i32 s19, s11, s17
	s_add_i32 s18, s20, s18
	s_add_i32 s18, s18, s19
	s_mul_i32 s21, s10, s17
	s_mul_hi_u32 s19, s17, s18
	s_mul_i32 s20, s17, s18
	s_mul_hi_u32 s17, s17, s21
	s_add_u32 s17, s17, s20
	s_addc_u32 s19, 0, s19
	s_mul_hi_u32 s22, s16, s21
	s_mul_i32 s21, s16, s21
	s_add_u32 s17, s17, s21
	s_mul_hi_u32 s20, s16, s18
	s_addc_u32 s17, s19, s22
	s_addc_u32 s19, s20, 0
	s_mul_i32 s18, s16, s18
	s_add_u32 s17, s17, s18
	s_addc_u32 s18, 0, s19
	v_add_co_u32_e32 v1, vcc, s17, v1
	s_cmp_lg_u64 vcc, 0
	s_addc_u32 s16, s16, s18
	v_readfirstlane_b32 s18, v1
	s_mul_i32 s17, s10, s16
	s_mul_hi_u32 s19, s10, s18
	s_add_i32 s17, s19, s17
	s_mul_i32 s11, s11, s18
	s_add_i32 s17, s17, s11
	s_mul_i32 s10, s10, s18
	s_mul_hi_u32 s19, s16, s10
	s_mul_i32 s20, s16, s10
	s_mul_i32 s22, s18, s17
	s_mul_hi_u32 s10, s18, s10
	s_mul_hi_u32 s21, s18, s17
	s_add_u32 s10, s10, s22
	s_addc_u32 s18, 0, s21
	s_add_u32 s10, s10, s20
	s_mul_hi_u32 s11, s16, s17
	s_addc_u32 s10, s18, s19
	s_addc_u32 s11, s11, 0
	s_mul_i32 s17, s16, s17
	s_add_u32 s10, s10, s17
	s_addc_u32 s11, 0, s11
	v_add_co_u32_e32 v1, vcc, s10, v1
	s_cmp_lg_u64 vcc, 0
	s_addc_u32 s18, s16, s11
	s_ashr_i32 s10, s3, 31
	s_add_u32 s16, s2, s10
	s_mov_b32 s11, s10
	s_addc_u32 s17, s3, s10
	s_xor_b64 s[16:17], s[16:17], s[10:11]
	v_readfirstlane_b32 s20, v1
	s_mul_i32 s19, s16, s18
	s_mul_hi_u32 s21, s16, s20
	s_mul_hi_u32 s3, s16, s18
	s_add_u32 s19, s21, s19
	s_addc_u32 s3, 0, s3
	s_mul_hi_u32 s22, s17, s20
	s_mul_i32 s20, s17, s20
	s_add_u32 s19, s19, s20
	s_mul_hi_u32 s21, s17, s18
	s_addc_u32 s3, s3, s22
	s_addc_u32 s19, s21, 0
	s_mul_i32 s18, s17, s18
	s_add_u32 s3, s3, s18
	s_addc_u32 s18, 0, s19
	s_add_u32 s19, s3, 1
	s_addc_u32 s20, s18, 0
	s_add_u32 s21, s3, 2
	s_mul_i32 s23, s9, s18
	s_mul_hi_u32 s24, s9, s3
	s_addc_u32 s22, s18, 0
	s_add_i32 s24, s24, s23
	s_mul_i32 s23, s9, s3
	v_mov_b32_e32 v1, s23
	v_sub_co_u32_e32 v1, vcc, s16, v1
	s_cmp_lg_u64 vcc, 0
	s_subb_u32 s16, s17, s24
	v_subrev_co_u32_e32 v2, vcc, s9, v1
	s_cmp_lg_u64 vcc, 0
	s_subb_u32 s17, s16, 0
	v_readfirstlane_b32 s23, v2
	s_cmp_ge_u32 s23, s9
	s_cselect_b32 s23, -1, 0
	s_cmp_eq_u32 s17, 0
	s_cselect_b32 s17, s23, -1
	s_cmp_lg_u32 s17, 0
	s_cselect_b32 s17, s22, s20
	v_readfirstlane_b32 s20, v1
	s_cselect_b32 s19, s21, s19
	s_cmp_ge_u32 s20, s9
	s_cselect_b32 s20, -1, 0
	s_cmp_eq_u32 s16, 0
	s_cselect_b32 s16, s20, -1
	s_cmp_lg_u32 s16, 0
	s_cselect_b32 s17, s17, s18
	s_cselect_b32 s16, s19, s3
	s_xor_b64 s[16:17], s[16:17], s[10:11]
	s_sub_u32 s20, s16, s10
	s_load_dwordx4 s[16:19], s[4:5], 0x44
	s_cbranch_execnz .LBB51_3
.LBB51_2:
	v_cvt_f32_u32_e32 v1, s9
	s_sub_i32 s0, 0, s9
	v_rcp_iflag_f32_e32 v1, v1
	v_mul_f32_e32 v1, 0x4f7ffffe, v1
	v_cvt_u32_f32_e32 v1, v1
	v_readfirstlane_b32 s1, v1
	s_mul_i32 s0, s0, s1
	s_mul_hi_u32 s0, s1, s0
	s_add_i32 s1, s1, s0
	s_mul_hi_u32 s0, s2, s1
	s_mul_i32 s3, s0, s9
	s_sub_i32 s2, s2, s3
	s_add_i32 s1, s0, 1
	s_sub_i32 s3, s2, s9
	s_cmp_ge_u32 s2, s9
	s_cselect_b32 s0, s1, s0
	s_cselect_b32 s2, s3, s2
	s_add_i32 s1, s0, 1
	s_cmp_ge_u32 s2, s9
	s_cselect_b32 s20, s1, s0
.LBB51_3:
	s_add_i32 s0, s6, 1
	s_mul_hi_i32 s3, s15, s0
	s_mov_b32 s2, 0
	s_cmp_lg_u64 s[2:3], 0
	s_mul_i32 s2, s15, s0
	s_cbranch_scc0 .LBB51_22
; %bb.4:
	v_cvt_f32_u32_e32 v1, s9
	v_cvt_f32_ubyte0_e32 v2, 0
	s_sub_u32 s10, 0, s9
	s_subb_u32 s11, 0, 0
	v_madmk_f32 v1, v2, 0x4f800000, v1
	v_rcp_f32_e32 v1, v1
	v_mul_f32_e32 v1, 0x5f7ffffc, v1
	v_mul_f32_e32 v2, 0x2f800000, v1
	v_trunc_f32_e32 v2, v2
	v_madmk_f32 v1, v2, 0xcf800000, v1
	v_cvt_u32_f32_e32 v2, v2
	v_cvt_u32_f32_e32 v1, v1
	s_waitcnt lgkmcnt(0)
	v_readfirstlane_b32 s19, v2
	v_readfirstlane_b32 s21, v1
	s_mul_i32 s22, s10, s19
	s_mul_hi_u32 s24, s10, s21
	s_mul_i32 s23, s11, s21
	s_add_i32 s22, s24, s22
	s_add_i32 s22, s22, s23
	s_mul_i32 s25, s10, s21
	s_mul_hi_u32 s23, s21, s22
	s_mul_i32 s24, s21, s22
	s_mul_hi_u32 s21, s21, s25
	s_add_u32 s21, s21, s24
	s_addc_u32 s23, 0, s23
	s_mul_hi_u32 s26, s19, s25
	s_mul_i32 s25, s19, s25
	s_add_u32 s21, s21, s25
	s_mul_hi_u32 s24, s19, s22
	s_addc_u32 s21, s23, s26
	s_addc_u32 s23, s24, 0
	s_mul_i32 s22, s19, s22
	s_add_u32 s21, s21, s22
	s_addc_u32 s22, 0, s23
	v_add_co_u32_e32 v1, vcc, s21, v1
	s_cmp_lg_u64 vcc, 0
	s_addc_u32 s19, s19, s22
	v_readfirstlane_b32 s22, v1
	s_mul_i32 s21, s10, s19
	s_mul_hi_u32 s23, s10, s22
	s_add_i32 s21, s23, s21
	s_mul_i32 s11, s11, s22
	s_add_i32 s21, s21, s11
	s_mul_i32 s10, s10, s22
	s_mul_hi_u32 s23, s19, s10
	s_mul_i32 s24, s19, s10
	s_mul_i32 s26, s22, s21
	s_mul_hi_u32 s10, s22, s10
	s_mul_hi_u32 s25, s22, s21
	s_add_u32 s10, s10, s26
	s_addc_u32 s22, 0, s25
	s_add_u32 s10, s10, s24
	s_mul_hi_u32 s11, s19, s21
	s_addc_u32 s10, s22, s23
	s_addc_u32 s11, s11, 0
	s_mul_i32 s21, s19, s21
	s_add_u32 s10, s10, s21
	s_addc_u32 s11, 0, s11
	v_add_co_u32_e32 v1, vcc, s10, v1
	s_cmp_lg_u64 vcc, 0
	s_addc_u32 s19, s19, s11
	s_ashr_i32 s10, s3, 31
	s_add_u32 s22, s2, s10
	s_mov_b32 s11, s10
	s_addc_u32 s23, s3, s10
	s_xor_b64 s[22:23], s[22:23], s[10:11]
	v_readfirstlane_b32 s21, v1
	s_mul_i32 s11, s22, s19
	s_mul_hi_u32 s24, s22, s21
	s_mul_hi_u32 s3, s22, s19
	s_add_u32 s11, s24, s11
	s_addc_u32 s3, 0, s3
	s_mul_hi_u32 s25, s23, s21
	s_mul_i32 s21, s23, s21
	s_add_u32 s11, s11, s21
	s_mul_hi_u32 s24, s23, s19
	s_addc_u32 s3, s3, s25
	s_addc_u32 s11, s24, 0
	s_mul_i32 s19, s23, s19
	s_add_u32 s3, s3, s19
	s_addc_u32 s11, 0, s11
	s_mul_i32 s11, s9, s11
	s_mul_hi_u32 s24, s9, s3
	s_add_i32 s24, s24, s11
	s_mul_i32 s11, s9, s3
	v_mov_b32_e32 v1, s11
	s_add_u32 s19, s3, 1
	s_add_u32 s21, s3, 2
	v_sub_co_u32_e32 v1, vcc, s22, v1
	s_cmp_lg_u64 vcc, 0
	s_subb_u32 s11, s23, s24
	v_subrev_co_u32_e32 v2, vcc, s9, v1
	s_cmp_lg_u64 vcc, 0
	s_subb_u32 s22, s11, 0
	v_cmp_le_u32_e32 vcc, s9, v2
	s_cmp_eq_u32 s22, 0
	v_cndmask_b32_e64 v2, 0, -1, vcc
	s_cselect_b64 vcc, -1, 0
	v_cndmask_b32_e32 v2, -1, v2, vcc
	v_mov_b32_e32 v3, s19
	v_mov_b32_e32 v4, s21
	v_cmp_ne_u32_e32 vcc, 0, v2
	v_cndmask_b32_e32 v2, v3, v4, vcc
	v_cmp_le_u32_e32 vcc, s9, v1
	s_cmp_eq_u32 s11, 0
	v_cndmask_b32_e64 v1, 0, -1, vcc
	s_cselect_b64 vcc, -1, 0
	v_cndmask_b32_e32 v1, -1, v1, vcc
	v_mov_b32_e32 v3, s3
	v_cmp_ne_u32_e32 vcc, 0, v1
	v_cndmask_b32_e32 v1, v3, v2, vcc
	v_xor_b32_e32 v1, s10, v1
	v_subrev_co_u32_e32 v2, vcc, s10, v1
	s_cbranch_execnz .LBB51_6
.LBB51_5:
	v_cvt_f32_u32_e32 v1, s9
	s_sub_i32 s0, 0, s9
	s_mov_b32 s1, 0
	v_rcp_iflag_f32_e32 v1, v1
	v_mul_f32_e32 v1, 0x4f7ffffe, v1
	v_cvt_u32_f32_e32 v1, v1
	v_readfirstlane_b32 s3, v1
	s_mul_i32 s0, s0, s3
	s_mul_hi_u32 s0, s3, s0
	s_add_i32 s3, s3, s0
	s_mul_hi_u32 s0, s2, s3
	s_mul_i32 s10, s0, s9
	s_sub_i32 s2, s2, s10
	s_add_i32 s3, s0, 1
	s_sub_i32 s10, s2, s9
	s_cmp_ge_u32 s2, s9
	s_cselect_b32 s0, s3, s0
	s_cselect_b32 s2, s10, s2
	s_add_i32 s3, s0, 1
	s_cmp_ge_u32 s2, s9
	s_cselect_b32 s0, s3, s0
	v_pk_mov_b32 v[2:3], s[0:1], s[0:1] op_sel:[0,1]
.LBB51_6:
	s_waitcnt lgkmcnt(0)
	s_mul_hi_u32 s0, s20, s16
	s_add_i32 s0, s0, s20
	v_mul_hi_u32 v1, v2, s16
	s_lshr_b32 s19, s0, s17
	v_add_u32_e32 v1, v1, v2
	s_mul_i32 s0, s19, s18
	v_lshrrev_b32_e32 v1, s17, v1
	s_cmp_eq_u32 s0, s20
	v_cmp_eq_u32_e64 s[0:1], s19, v1
	v_mul_lo_u32 v1, v1, s18
	v_cmp_eq_u32_e32 vcc, s20, v2
	s_cselect_b64 s[10:11], -1, 0
	v_cmp_ne_u32_e64 s[2:3], v1, v2
	s_and_b64 s[0:1], s[0:1], s[2:3]
	s_or_b64 s[2:3], vcc, s[10:11]
	s_or_b64 s[0:1], s[2:3], s[0:1]
	s_and_b64 vcc, exec, s[0:1]
	s_cbranch_vccnz .LBB51_24
; %bb.7:
	s_load_dwordx8 s[24:31], s[4:5], 0x20
	s_load_dword s0, s[4:5], 0x40
	s_mov_b32 s10, 0
	s_waitcnt lgkmcnt(0)
	s_mul_hi_u32 s1, s20, s24
	s_add_i32 s1, s1, s20
	s_lshr_b32 s11, s1, s25
	s_mul_i32 s1, s11, s26
	s_sub_i32 s1, s20, s1
	s_mul_hi_u32 s2, s1, s27
	s_add_i32 s2, s1, s2
	s_lshr_b32 s21, s2, s28
	s_mul_i32 s2, s21, s29
	s_sub_i32 s1, s1, s2
	;; [unrolled: 5-line block ×3, first 2 shown]
	s_mul_hi_u32 s1, s0, s16
	s_add_i32 s0, s0, s1
	s_lshr_b32 s22, s0, s17
	s_lshl_b32 s23, s2, 1
	s_add_i32 s22, s22, s7
	s_cmp_lt_i32 s22, s12
	s_cselect_b64 s[0:1], -1, 0
	s_add_i32 s23, s23, s8
	s_cmp_lt_i32 s23, s14
	s_cselect_b64 s[2:3], -1, 0
	s_and_b64 s[0:1], s[0:1], s[2:3]
	s_andn2_b64 vcc, exec, s[0:1]
	s_cbranch_vccnz .LBB51_24
; %bb.8:
	s_load_dwordx4 s[0:3], s[4:5], 0x0
	s_lshl_b32 s4, s9, 3
	s_mov_b32 s5, s10
	s_lshl_b64 s[4:5], s[4:5], 2
	s_mul_i32 s24, s21, s14
	s_waitcnt lgkmcnt(0)
	s_add_u32 s14, s2, s4
	s_mul_i32 s11, s11, s12
	s_addc_u32 s21, s3, s5
	s_add_i32 s4, s22, s11
	s_mul_i32 s4, s4, s13
	s_add_i32 s5, s23, s24
	s_add_i32 s5, s5, s4
	v_lshl_or_b32 v2, s5, 6, v0
	v_ashrrev_i32_e32 v3, 31, v2
	v_lshlrev_b64 v[2:3], 2, v[2:3]
	v_mov_b32_e32 v1, s1
	v_add_co_u32_e32 v2, vcc, s0, v2
	v_addc_co_u32_e32 v3, vcc, v1, v3, vcc
	global_load_dword v5, v[2:3], off
	v_lshl_or_b32 v4, s8, 6, v0
	v_cvt_f32_u32_e32 v0, s9
	v_cvt_f32_ubyte0_e32 v1, 0
	s_add_i32 s0, s7, s6
	s_lshl_b32 s0, s0, 1
	v_mac_f32_e32 v0, 0x4f800000, v1
	v_rcp_f32_e32 v0, v0
	v_cvt_f32_u32_e32 v1, s9
	s_add_i32 s0, s0, s8
	s_ashr_i32 s1, s0, 31
	s_lshl_b64 s[0:1], s[0:1], 3
	v_mul_f32_e32 v0, 0x5f7ffffc, v0
	v_rcp_iflag_f32_e32 v1, v1
	s_add_u32 s0, s2, s0
	v_mul_f32_e32 v9, 0x2f800000, v0
	s_addc_u32 s1, s3, s1
	v_trunc_f32_e32 v10, v9
	s_load_dwordx2 s[0:1], s[0:1], 0x0
	v_mac_f32_e32 v0, 0xcf800000, v10
	v_cvt_u32_f32_e32 v9, v0
	v_mul_f32_e32 v0, 0x4f7ffffe, v1
	v_cvt_u32_f32_e32 v10, v10
	v_cvt_u32_f32_e32 v11, v0
	s_add_i32 s13, s6, -1
	s_waitcnt lgkmcnt(0)
	v_mov_b32_e32 v6, s1
	v_mov_b32_e32 v7, s0
	;; [unrolled: 1-line block ×3, first 2 shown]
	s_mov_b32 s6, 0x3fb8aa3b
	s_mov_b32 s12, 0xc2ce8ed0
	;; [unrolled: 1-line block ×4, first 2 shown]
	v_mov_b32_e32 v12, 0x7f800000
	s_mul_hi_i32 s11, s13, s15
	s_cmp_lg_u64 s[10:11], 0
	s_mul_i32 s4, s13, s15
	s_cbranch_scc0 .LBB51_15
.LBB51_9:
	s_sub_u32 s0, 0, s9
	v_readfirstlane_b32 s5, v9
	v_readfirstlane_b32 s25, v10
	s_subb_u32 s1, 0, 0
	s_mul_hi_u32 s24, s0, s5
	s_mul_i32 s26, s0, s25
	s_mul_i32 s23, s1, s5
	s_add_i32 s24, s24, s26
	s_add_i32 s24, s24, s23
	s_mul_i32 s27, s0, s5
	s_mul_hi_u32 s23, s5, s24
	s_mul_i32 s26, s5, s24
	s_mul_hi_u32 s5, s5, s27
	s_add_u32 s5, s5, s26
	s_addc_u32 s23, 0, s23
	s_mul_hi_u32 s28, s25, s27
	s_mul_i32 s27, s25, s27
	s_add_u32 s5, s5, s27
	s_mul_hi_u32 s26, s25, s24
	s_addc_u32 s5, s23, s28
	s_addc_u32 s23, s26, 0
	s_mul_i32 s24, s25, s24
	s_add_u32 s5, s5, s24
	s_addc_u32 s23, 0, s23
	v_add_co_u32_e32 v0, vcc, s5, v9
	s_cmp_lg_u64 vcc, 0
	s_addc_u32 s5, s25, s23
	v_readfirstlane_b32 s24, v0
	s_mul_i32 s23, s0, s5
	s_mul_hi_u32 s25, s0, s24
	s_add_i32 s23, s25, s23
	s_mul_i32 s1, s1, s24
	s_add_i32 s23, s23, s1
	s_mul_i32 s0, s0, s24
	s_mul_hi_u32 s25, s5, s0
	s_mul_i32 s26, s5, s0
	s_mul_i32 s28, s24, s23
	s_mul_hi_u32 s0, s24, s0
	s_mul_hi_u32 s27, s24, s23
	s_add_u32 s0, s0, s28
	s_addc_u32 s24, 0, s27
	s_add_u32 s0, s0, s26
	s_mul_hi_u32 s1, s5, s23
	s_addc_u32 s0, s24, s25
	s_addc_u32 s1, s1, 0
	s_mul_i32 s23, s5, s23
	s_add_u32 s0, s0, s23
	s_addc_u32 s1, 0, s1
	v_add_co_u32_e32 v0, vcc, s0, v0
	s_cmp_lg_u64 vcc, 0
	s_addc_u32 s5, s5, s1
	s_ashr_i32 s0, s11, 31
	s_add_u32 s24, s4, s0
	s_mov_b32 s1, s0
	s_addc_u32 s25, s11, s0
	s_xor_b64 s[24:25], s[24:25], s[0:1]
	v_readfirstlane_b32 s23, v0
	s_mul_i32 s11, s24, s5
	s_mul_hi_u32 s26, s24, s23
	s_mul_hi_u32 s1, s24, s5
	s_add_u32 s11, s26, s11
	s_addc_u32 s1, 0, s1
	s_mul_hi_u32 s27, s25, s23
	s_mul_i32 s23, s25, s23
	s_add_u32 s11, s11, s23
	s_mul_hi_u32 s26, s25, s5
	s_addc_u32 s1, s1, s27
	s_addc_u32 s11, s26, 0
	s_mul_i32 s5, s25, s5
	s_add_u32 s1, s1, s5
	s_addc_u32 s5, 0, s11
	s_mul_i32 s5, s9, s5
	s_mul_hi_u32 s26, s9, s1
	s_add_i32 s26, s26, s5
	s_mul_i32 s5, s9, s1
	v_mov_b32_e32 v0, s5
	s_add_u32 s11, s1, 1
	s_add_u32 s23, s1, 2
	v_sub_co_u32_e32 v0, vcc, s24, v0
	s_cmp_lg_u64 vcc, 0
	s_subb_u32 s5, s25, s26
	v_subrev_co_u32_e32 v1, vcc, s9, v0
	s_cmp_lg_u64 vcc, 0
	s_subb_u32 s24, s5, 0
	v_cmp_le_u32_e32 vcc, s9, v1
	s_cmp_eq_u32 s24, 0
	v_cndmask_b32_e64 v1, 0, -1, vcc
	s_cselect_b64 vcc, -1, 0
	v_cndmask_b32_e32 v1, -1, v1, vcc
	v_mov_b32_e32 v13, s11
	v_mov_b32_e32 v14, s23
	v_cmp_ne_u32_e32 vcc, 0, v1
	v_cndmask_b32_e32 v1, v13, v14, vcc
	v_cmp_le_u32_e32 vcc, s9, v0
	s_cmp_eq_u32 s5, 0
	v_cndmask_b32_e64 v0, 0, -1, vcc
	s_cselect_b64 vcc, -1, 0
	v_cndmask_b32_e32 v0, -1, v0, vcc
	v_mov_b32_e32 v13, s1
	v_cmp_ne_u32_e32 vcc, 0, v0
	v_cndmask_b32_e32 v0, v13, v1, vcc
	v_xor_b32_e32 v0, s0, v0
	v_subrev_co_u32_e32 v0, vcc, s0, v0
	s_cbranch_execnz .LBB51_11
.LBB51_10:
	s_sub_i32 s0, 0, s9
	v_mul_lo_u32 v0, s0, v11
	v_mul_hi_u32 v0, v11, v0
	v_add_u32_e32 v0, v11, v0
	v_mul_hi_u32 v0, s4, v0
	v_mul_lo_u32 v13, v0, s9
	v_sub_u32_e32 v13, s4, v13
	v_add_u32_e32 v1, 1, v0
	v_subrev_u32_e32 v14, s9, v13
	v_cmp_le_u32_e32 vcc, s9, v13
	v_cndmask_b32_e32 v13, v13, v14, vcc
	v_cndmask_b32_e32 v0, v0, v1, vcc
	v_add_u32_e32 v1, 1, v0
	v_cmp_le_u32_e32 vcc, s9, v13
	v_cndmask_b32_e32 v0, v0, v1, vcc
.LBB51_11:
	v_cmp_ne_u32_e32 vcc, v8, v0
	s_cbranch_vccz .LBB51_14
; %bb.12:
	s_add_i32 s23, s13, s7
	s_add_i32 s0, s23, s9
	s_lshl_b32 s0, s0, 1
	v_mul_hi_u32 v1, v0, s16
	s_add_i32 s0, s0, s8
	s_mov_b32 s1, s10
	v_add_u32_e32 v1, v1, v0
	s_lshl_b64 s[0:1], s[0:1], 3
	v_lshrrev_b32_e32 v1, s17, v1
	s_add_u32 s4, s2, s0
	v_mul_lo_u32 v13, v1, s18
	s_addc_u32 s5, s3, s1
	v_cmp_eq_u32_e32 vcc, v13, v0
	v_cmp_gt_u32_e64 s[0:1], s19, v1
	s_or_b64 s[0:1], s[0:1], vcc
	s_and_b64 vcc, exec, s[0:1]
	s_cbranch_vccnz .LBB51_16
; %bb.13:
	s_add_i32 s11, s13, -1
	s_mov_b64 s[0:1], 0
	s_branch .LBB51_17
.LBB51_14:
                                        ; implicit-def: $sgpr0_sgpr1
                                        ; implicit-def: $vgpr14
                                        ; implicit-def: $vgpr1
                                        ; implicit-def: $vgpr13
                                        ; implicit-def: $sgpr11
                                        ; implicit-def: $vgpr0
	s_branch .LBB51_18
.LBB51_15:
                                        ; implicit-def: $vgpr0_vgpr1
	s_branch .LBB51_10
.LBB51_16:
	s_mov_b64 s[0:1], -1
	s_mov_b32 s11, s13
	v_mov_b32_e32 v0, v8
.LBB51_17:
	v_lshl_add_u32 v14, s23, 7, v4
	v_ashrrev_i32_e32 v15, 31, v14
	v_lshlrev_b64 v[14:15], 2, v[14:15]
	v_mov_b32_e32 v1, s21
	v_add_co_u32_e32 v14, vcc, s14, v14
	v_addc_co_u32_e32 v15, vcc, v1, v15, vcc
	global_load_dword v14, v[14:15], off
	s_load_dwordx2 s[4:5], s[4:5], 0x0
	v_max_f32_e32 v1, v7, v7
	s_waitcnt lgkmcnt(0)
	v_max_f32_e64 v13, s4, s4
	v_max_f32_e32 v1, v1, v13
	v_sub_f32_e32 v13, v7, v1
	v_sub_f32_e32 v15, s4, v1
	v_mul_f32_e32 v16, 0x3fb8aa3b, v13
	v_mul_f32_e32 v17, 0x3fb8aa3b, v15
	v_fma_f32 v18, v13, s6, -v16
	v_rndne_f32_e32 v19, v16
	v_fma_f32 v20, v15, s6, -v17
	v_rndne_f32_e32 v21, v17
	v_fmac_f32_e32 v18, 0x32a5705f, v13
	v_sub_f32_e32 v16, v16, v19
	v_fmac_f32_e32 v20, 0x32a5705f, v15
	v_sub_f32_e32 v17, v17, v21
	v_add_f32_e32 v16, v16, v18
	v_cvt_i32_f32_e32 v19, v19
	v_add_f32_e32 v17, v17, v20
	v_exp_f32_e32 v16, v16
	v_cvt_i32_f32_e32 v21, v21
	v_exp_f32_e32 v17, v17
	v_cmp_ngt_f32_e32 vcc, s12, v13
	v_ldexp_f32 v16, v16, v19
	v_cndmask_b32_e32 v16, 0, v16, vcc
	v_ldexp_f32 v17, v17, v21
	v_cmp_ngt_f32_e32 vcc, s12, v15
	v_cndmask_b32_e32 v17, 0, v17, vcc
	v_cmp_nlt_f32_e32 vcc, s20, v13
	v_cndmask_b32_e32 v16, v12, v16, vcc
	v_cmp_nlt_f32_e32 vcc, s20, v15
	v_cndmask_b32_e32 v17, v12, v17, vcc
	v_cmp_le_f32_e32 vcc, s22, v13
	v_cndmask_b32_e32 v16, 0, v16, vcc
	v_cmp_le_f32_e32 vcc, s22, v15
	v_cndmask_b32_e32 v15, 0, v17, vcc
	v_mul_f32_e32 v13, s5, v15
	v_fmac_f32_e32 v13, v6, v16
	s_waitcnt vmcnt(0)
	v_mul_f32_e32 v14, v14, v15
	v_fmac_f32_e32 v14, v5, v16
	s_cbranch_execnz .LBB51_19
.LBB51_18:
	s_add_i32 s11, s13, -1
	s_mov_b64 s[0:1], 0
	v_mov_b32_e32 v0, v8
	v_mov_b32_e32 v13, v6
	v_mov_b32_e32 v1, v7
	s_waitcnt vmcnt(0)
	v_mov_b32_e32 v14, v5
.LBB51_19:
	s_andn2_b64 vcc, exec, s[0:1]
	s_cbranch_vccz .LBB51_23
; %bb.20:
	v_mov_b32_e32 v8, v0
	s_mov_b32 s13, s11
	v_mov_b32_e32 v6, v13
	v_mov_b32_e32 v7, v1
	s_waitcnt vmcnt(0)
	v_mov_b32_e32 v5, v14
	s_mul_hi_i32 s11, s13, s15
	s_cmp_lg_u64 s[10:11], 0
	s_mul_i32 s4, s13, s15
	s_cbranch_scc1 .LBB51_9
	s_branch .LBB51_15
.LBB51_21:
                                        ; implicit-def: $sgpr20_sgpr21
	s_load_dwordx4 s[16:19], s[4:5], 0x44
	s_branch .LBB51_2
.LBB51_22:
                                        ; implicit-def: $vgpr2_vgpr3
	s_branch .LBB51_5
.LBB51_23:
	v_div_scale_f32 v0, s[0:1], v13, v13, v14
	v_rcp_f32_e32 v1, v0
	v_div_scale_f32 v4, vcc, v14, v13, v14
	s_waitcnt vmcnt(0)
	v_fma_f32 v5, -v0, v1, 1.0
	v_fmac_f32_e32 v1, v5, v1
	v_mul_f32_e32 v5, v4, v1
	v_fma_f32 v6, -v0, v5, v4
	v_fmac_f32_e32 v5, v6, v1
	v_fma_f32 v0, -v0, v5, v4
	v_div_fmas_f32 v0, v0, v1, v5
	v_div_fixup_f32 v0, v0, v13, v14
	global_store_dword v[2:3], v0, off
.LBB51_24:
	s_endpgm
	.section	.rodata,"a",@progbits
	.p2align	6, 0x0
	.amdhsa_kernel _ZL33flash_attn_stream_k_fixup_generalILi64ELi1ELi2EEvPfPK15HIP_vector_typeIfLj2EEiiiiS1_IjLj3EES5_S5_S5_
		.amdhsa_group_segment_fixed_size 0
		.amdhsa_private_segment_fixed_size 0
		.amdhsa_kernarg_size 336
		.amdhsa_user_sgpr_count 6
		.amdhsa_user_sgpr_private_segment_buffer 1
		.amdhsa_user_sgpr_dispatch_ptr 0
		.amdhsa_user_sgpr_queue_ptr 0
		.amdhsa_user_sgpr_kernarg_segment_ptr 1
		.amdhsa_user_sgpr_dispatch_id 0
		.amdhsa_user_sgpr_flat_scratch_init 0
		.amdhsa_user_sgpr_kernarg_preload_length 0
		.amdhsa_user_sgpr_kernarg_preload_offset 0
		.amdhsa_user_sgpr_private_segment_size 0
		.amdhsa_uses_dynamic_stack 0
		.amdhsa_system_sgpr_private_segment_wavefront_offset 0
		.amdhsa_system_sgpr_workgroup_id_x 1
		.amdhsa_system_sgpr_workgroup_id_y 1
		.amdhsa_system_sgpr_workgroup_id_z 1
		.amdhsa_system_sgpr_workgroup_info 0
		.amdhsa_system_vgpr_workitem_id 0
		.amdhsa_next_free_vgpr 22
		.amdhsa_next_free_sgpr 32
		.amdhsa_accum_offset 24
		.amdhsa_reserve_vcc 1
		.amdhsa_reserve_flat_scratch 0
		.amdhsa_float_round_mode_32 0
		.amdhsa_float_round_mode_16_64 0
		.amdhsa_float_denorm_mode_32 3
		.amdhsa_float_denorm_mode_16_64 3
		.amdhsa_dx10_clamp 1
		.amdhsa_ieee_mode 1
		.amdhsa_fp16_overflow 0
		.amdhsa_tg_split 0
		.amdhsa_exception_fp_ieee_invalid_op 0
		.amdhsa_exception_fp_denorm_src 0
		.amdhsa_exception_fp_ieee_div_zero 0
		.amdhsa_exception_fp_ieee_overflow 0
		.amdhsa_exception_fp_ieee_underflow 0
		.amdhsa_exception_fp_ieee_inexact 0
		.amdhsa_exception_int_div_zero 0
	.end_amdhsa_kernel
	.section	.text._ZL33flash_attn_stream_k_fixup_generalILi64ELi1ELi2EEvPfPK15HIP_vector_typeIfLj2EEiiiiS1_IjLj3EES5_S5_S5_,"axG",@progbits,_ZL33flash_attn_stream_k_fixup_generalILi64ELi1ELi2EEvPfPK15HIP_vector_typeIfLj2EEiiiiS1_IjLj3EES5_S5_S5_,comdat
.Lfunc_end51:
	.size	_ZL33flash_attn_stream_k_fixup_generalILi64ELi1ELi2EEvPfPK15HIP_vector_typeIfLj2EEiiiiS1_IjLj3EES5_S5_S5_, .Lfunc_end51-_ZL33flash_attn_stream_k_fixup_generalILi64ELi1ELi2EEvPfPK15HIP_vector_typeIfLj2EEiiiiS1_IjLj3EES5_S5_S5_
                                        ; -- End function
	.section	.AMDGPU.csdata,"",@progbits
; Kernel info:
; codeLenInByte = 2804
; NumSgprs: 36
; NumVgprs: 22
; NumAgprs: 0
; TotalNumVgprs: 22
; ScratchSize: 0
; MemoryBound: 0
; FloatMode: 240
; IeeeMode: 1
; LDSByteSize: 0 bytes/workgroup (compile time only)
; SGPRBlocks: 4
; VGPRBlocks: 2
; NumSGPRsForWavesPerEU: 36
; NumVGPRsForWavesPerEU: 22
; AccumOffset: 24
; Occupancy: 8
; WaveLimiterHint : 0
; COMPUTE_PGM_RSRC2:SCRATCH_EN: 0
; COMPUTE_PGM_RSRC2:USER_SGPR: 6
; COMPUTE_PGM_RSRC2:TRAP_HANDLER: 0
; COMPUTE_PGM_RSRC2:TGID_X_EN: 1
; COMPUTE_PGM_RSRC2:TGID_Y_EN: 1
; COMPUTE_PGM_RSRC2:TGID_Z_EN: 1
; COMPUTE_PGM_RSRC2:TIDIG_COMP_CNT: 0
; COMPUTE_PGM_RSRC3_GFX90A:ACCUM_OFFSET: 5
; COMPUTE_PGM_RSRC3_GFX90A:TG_SPLIT: 0
	.section	.text._ZL15flash_attn_tileILi64ELi64ELi64ELi1ELb0EEvPKcS1_S1_S1_S1_PKiPfP15HIP_vector_typeIfLj2EEffffjfiS5_IjLj3EEiiiiiiiiiiiliiliiiiil,"axG",@progbits,_ZL15flash_attn_tileILi64ELi64ELi64ELi1ELb0EEvPKcS1_S1_S1_S1_PKiPfP15HIP_vector_typeIfLj2EEffffjfiS5_IjLj3EEiiiiiiiiiiiliiliiiiil,comdat
	.globl	_ZL15flash_attn_tileILi64ELi64ELi64ELi1ELb0EEvPKcS1_S1_S1_S1_PKiPfP15HIP_vector_typeIfLj2EEffffjfiS5_IjLj3EEiiiiiiiiiiiliiliiiiil ; -- Begin function _ZL15flash_attn_tileILi64ELi64ELi64ELi1ELb0EEvPKcS1_S1_S1_S1_PKiPfP15HIP_vector_typeIfLj2EEffffjfiS5_IjLj3EEiiiiiiiiiiiliiliiiiil
	.p2align	8
	.type	_ZL15flash_attn_tileILi64ELi64ELi64ELi1ELb0EEvPKcS1_S1_S1_S1_PKiPfP15HIP_vector_typeIfLj2EEffffjfiS5_IjLj3EEiiiiiiiiiiiliiliiiiil,@function
_ZL15flash_attn_tileILi64ELi64ELi64ELi1ELb0EEvPKcS1_S1_S1_S1_PKiPfP15HIP_vector_typeIfLj2EEffffjfiS5_IjLj3EEiiiiiiiiiiiliiliiiiil: ; @_ZL15flash_attn_tileILi64ELi64ELi64ELi1ELb0EEvPKcS1_S1_S1_S1_PKiPfP15HIP_vector_typeIfLj2EEffffjfiS5_IjLj3EEiiiiiiiiiiiliiliiiiil
; %bb.0:
	s_load_dwordx4 s[36:39], s[6:7], 0x5c
	s_load_dwordx2 s[46:47], s[6:7], 0x80
	s_add_u32 flat_scratch_lo, s8, s13
	s_addc_u32 flat_scratch_hi, s9, 0
	s_add_u32 s0, s0, s13
	s_waitcnt lgkmcnt(0)
	v_cvt_f32_u32_e32 v1, s39
	s_addc_u32 s1, s1, 0
	s_sub_i32 s8, 0, s39
	s_load_dwordx16 s[16:31], s[6:7], 0x0
	v_rcp_iflag_f32_e32 v1, v1
	s_load_dwordx2 s[48:49], s[6:7], 0xb8
	s_mov_b64 s[44:45], 0
	v_mul_f32_e32 v1, 0x4f7ffffe, v1
	v_cvt_u32_f32_e32 v1, v1
	v_readfirstlane_b32 s9, v1
	s_mul_i32 s8, s8, s9
	s_mul_hi_u32 s8, s9, s8
	s_add_i32 s9, s9, s8
	s_mul_hi_u32 s8, s12, s9
	s_mul_i32 s9, s8, s39
	s_sub_i32 s9, s12, s9
	s_add_i32 s13, s8, 1
	s_sub_i32 s14, s9, s39
	s_cmp_ge_u32 s9, s39
	s_cselect_b32 s8, s13, s8
	s_cselect_b32 s9, s14, s9
	s_add_i32 s13, s8, 1
	s_cmp_ge_u32 s9, s39
	s_cselect_b32 s33, s13, s8
	s_abs_i32 s8, s47
	v_cvt_f32_u32_e32 v1, s8
	s_mul_i32 s14, s33, s39
	s_sub_i32 s15, 0, s8
	s_sub_i32 s34, s12, s14
	v_rcp_iflag_f32_e32 v1, v1
	s_abs_i32 s13, s39
	s_xor_b32 s9, s39, s47
	s_ashr_i32 s9, s9, 31
	v_mul_f32_e32 v1, 0x4f7ffffe, v1
	v_cvt_u32_f32_e32 v1, v1
	v_readfirstlane_b32 s12, v1
	s_mul_i32 s15, s15, s12
	s_mul_hi_u32 s14, s12, s15
	s_add_i32 s12, s12, s14
	s_mul_hi_u32 s12, s13, s12
	s_mul_i32 s14, s12, s8
	s_sub_i32 s13, s13, s14
	s_add_i32 s15, s12, 1
	s_sub_i32 s14, s13, s8
	s_cmp_ge_u32 s13, s8
	s_cselect_b32 s12, s15, s12
	s_cselect_b32 s13, s14, s13
	s_add_i32 s14, s12, 1
	s_cmp_ge_u32 s13, s8
	s_cselect_b32 s8, s14, s12
	s_xor_b32 s8, s8, s9
	s_sub_i32 s51, s8, s9
	s_abs_i32 s47, s51
	v_cvt_f32_u32_e32 v1, s47
	s_sub_i32 s8, 0, s47
	s_abs_i32 s50, s34
	v_rcp_iflag_f32_e32 v1, v1
	v_mul_f32_e32 v1, 0x4f7ffffe, v1
	v_cvt_u32_f32_e32 v1, v1
	v_readfirstlane_b32 s9, v1
	s_mul_i32 s8, s8, s9
	s_mul_hi_u32 s8, s9, s8
	s_add_i32 s8, s9, s8
	s_waitcnt lgkmcnt(0)
	s_cmp_eq_u64 s[22:23], 0
	s_cbranch_scc1 .LBB52_2
; %bb.1:
	s_abs_i32 s9, s48
	v_cvt_f32_u32_e32 v1, s9
	s_sub_i32 s35, 0, s9
	s_abs_i32 s15, s33
	s_ashr_i32 s14, s33, 31
	v_rcp_iflag_f32_e32 v1, v1
	s_load_dwordx2 s[12:13], s[6:7], 0xc8
	v_mul_f32_e32 v1, 0x4f7ffffe, v1
	v_cvt_u32_f32_e32 v1, v1
	v_readfirstlane_b32 s40, v1
	s_mul_i32 s35, s35, s40
	s_mul_hi_u32 s35, s40, s35
	s_add_i32 s40, s40, s35
	s_mul_hi_u32 s35, s15, s40
	s_mul_i32 s35, s35, s9
	s_sub_i32 s15, s15, s35
	s_sub_i32 s35, s15, s9
	s_cmp_ge_u32 s15, s9
	s_cselect_b32 s15, s35, s15
	s_sub_i32 s35, s15, s9
	s_cmp_ge_u32 s15, s9
	s_cselect_b32 s9, s35, s15
	s_xor_b32 s9, s9, s14
	s_sub_i32 s9, s9, s14
	s_ashr_i32 s14, s9, 31
	s_waitcnt lgkmcnt(0)
	s_mul_i32 s13, s9, s13
	s_mul_hi_u32 s15, s9, s12
	s_add_i32 s13, s15, s13
	s_mul_i32 s14, s14, s12
	s_add_i32 s13, s13, s14
	s_mul_i32 s9, s9, s12
	s_add_u32 s44, s22, s9
	s_addc_u32 s45, s23, s13
.LBB52_2:
	s_load_dwordx4 s[40:43], s[6:7], 0x40
	s_mul_hi_u32 s23, s50, s8
	s_load_dword s8, s[6:7], 0x50
	v_mov_b32_e32 v68, 1.0
	s_waitcnt lgkmcnt(0)
	v_cmp_le_f32_e64 s[12:13], s41, 0
	s_and_b64 vcc, exec, s[12:13]
	s_cbranch_vccnz .LBB52_4
; %bb.3:
	s_sub_i32 s9, s34, s8
	s_lshl_b32 s9, s9, 1
	s_add_i32 s12, s34, 1
	s_or_b32 s13, s9, 1
	s_cmp_lt_u32 s34, s8
	s_cselect_b64 vcc, -1, 0
	s_and_b64 s[8:9], vcc, exec
	v_mov_b32_e32 v1, s43
	v_mov_b32_e32 v2, s42
	s_cselect_b32 s8, s12, s13
	v_cndmask_b32_e32 v18, v1, v2, vcc
	v_cvt_f32_i32_e32 v1, s8
	v_cmp_neq_f32_e32 vcc, 1.0, v18
	s_mov_b32 s8, 0x3f2aaaab
	s_movk_i32 s12, 0x204
	v_cndmask_b32_e32 v19, 1.0, v1, vcc
	v_cmp_eq_f32_e32 vcc, 0, v19
	v_cndmask_b32_e64 v20, |v18|, 1.0, vcc
	v_frexp_mant_f32_e32 v1, v20
	v_cmp_gt_f32_e64 s[8:9], s8, v1
	v_cndmask_b32_e64 v2, 1.0, 2.0, s[8:9]
	v_mul_f32_e32 v1, v1, v2
	v_add_f32_e32 v2, 1.0, v1
	v_rcp_f32_e32 v10, v2
	v_add_f32_e32 v3, -1.0, v2
	v_sub_f32_e32 v5, v1, v3
	v_add_f32_e32 v3, -1.0, v1
	v_mul_f32_e32 v1, v3, v10
	v_mul_f32_e32 v4, v2, v1
	v_fma_f32 v6, v1, v2, -v4
	v_fmac_f32_e32 v6, v1, v5
	v_add_f32_e32 v2, v4, v6
	v_sub_f32_e32 v5, v3, v2
	v_pk_add_f32 v[8:9], v[2:3], v[4:5] neg_lo:[0,1] neg_hi:[0,1]
	v_mov_b32_e32 v7, v2
	v_pk_add_f32 v[2:3], v[8:9], v[6:7] neg_lo:[0,1] neg_hi:[0,1]
	v_add_f32_e32 v2, v2, v3
	v_add_f32_e32 v2, v5, v2
	v_mul_f32_e32 v3, v10, v2
	v_add_f32_e32 v2, v1, v3
	v_sub_f32_e32 v1, v2, v1
	v_sub_f32_e32 v1, v3, v1
	v_mul_f32_e32 v3, v2, v2
	v_fma_f32 v5, v2, v2, -v3
	v_add_f32_e32 v4, v1, v1
	v_fmac_f32_e32 v5, v2, v4
	v_add_f32_e32 v4, v3, v5
	v_mov_b32_e32 v6, 0x3e91f4c4
	v_fmac_f32_e32 v6, 0x3e76c4e1, v4
	v_mov_b32_e32 v7, 0x3ecccdef
	v_fmac_f32_e32 v7, v4, v6
	v_sub_f32_e32 v3, v4, v3
	v_sub_f32_e32 v12, v5, v3
	v_mul_f32_e32 v3, v4, v7
	v_fma_f32 v5, v4, v7, -v3
	v_fmac_f32_e32 v5, v12, v7
	v_add_f32_e32 v6, v3, v5
	v_add_f32_e32 v7, 0x3f2aaaaa, v6
	v_sub_f32_e32 v3, v6, v3
	v_sub_f32_e32 v3, v5, v3
	v_add_f32_e32 v5, 0xbf2aaaaa, v7
	v_add_f32_e32 v3, 0x31739010, v3
	v_sub_f32_e32 v5, v6, v5
	v_pk_mul_f32 v[8:9], v[2:3], v[4:5]
	v_fma_f32 v6, v4, v2, -v8
	v_pk_add_f32 v[10:11], v[2:3], v[4:5]
	v_fmac_f32_e32 v6, v4, v1
	v_mov_b32_e32 v9, v11
	v_fmac_f32_e32 v6, v12, v2
	v_pk_add_f32 v[4:5], v[8:9], v[6:7]
	v_sub_f32_e32 v3, v4, v8
	v_sub_f32_e32 v3, v6, v3
	v_sub_f32_e32 v6, v7, v5
	v_add_f32_e32 v9, v11, v6
	v_mov_b32_e32 v6, v5
	v_pk_mul_f32 v[6:7], v[4:5], v[6:7]
	v_cvt_f64_f32_e32 v[10:11], v20
	v_frexp_exp_i32_f64_e32 v7, v[10:11]
	v_subbrev_co_u32_e64 v7, s[8:9], 0, v7, s[8:9]
	v_cvt_f32_i32_e32 v7, v7
	v_fma_f32 v8, v4, v5, -v6
	v_fmac_f32_e32 v8, v4, v9
	s_mov_b32 s8, 0x3f317218
	v_mul_f32_e32 v4, 0x3f317218, v7
	v_fmac_f32_e32 v8, v3, v5
	v_fma_f32 v10, v7, s8, -v4
	v_fmac_f32_e32 v10, 0xb102e308, v7
	v_ldexp_f32 v11, v2, 1
	v_add_f32_e32 v5, v6, v8
	v_pk_add_f32 v[2:3], v[4:5], v[10:11]
	v_mov_b32_e32 v12, v5
	v_mov_b32_e32 v13, v3
	;; [unrolled: 1-line block ×3, first 2 shown]
	v_pk_add_f32 v[6:7], v[12:13], v[6:7] neg_lo:[0,1] neg_hi:[0,1]
	v_mov_b32_e32 v9, v5
	v_ldexp_f32 v1, v1, 1
	v_pk_add_f32 v[6:7], v[8:9], v[6:7] neg_lo:[0,1] neg_hi:[0,1]
	v_add_f32_e32 v1, v1, v6
	v_add_f32_e32 v5, v1, v7
	v_pk_add_f32 v[6:7], v[2:3], v[4:5] neg_lo:[0,1] neg_hi:[0,1]
	v_pk_add_f32 v[8:9], v[2:3], v[4:5]
	v_mov_b32_e32 v12, v6
	v_mov_b32_e32 v13, v9
	;; [unrolled: 1-line block ×3, first 2 shown]
	v_pk_add_f32 v[12:13], v[10:11], v[12:13]
	v_mov_b32_e32 v4, v13
	v_pk_add_f32 v[14:15], v[4:5], v[2:3] neg_lo:[0,1] neg_hi:[0,1]
	v_mov_b32_e32 v1, v14
	v_mov_b32_e32 v12, v9
	;; [unrolled: 1-line block ×4, first 2 shown]
	v_pk_add_f32 v[6:7], v[10:11], v[6:7] neg_lo:[0,1] neg_hi:[0,1]
	v_pk_add_f32 v[16:17], v[8:9], v[0:1] neg_lo:[0,1] neg_hi:[0,1]
	;; [unrolled: 1-line block ×3, first 2 shown]
	v_mov_b32_e32 v10, v5
	v_pk_add_f32 v[2:3], v[10:11], v[2:3] neg_lo:[0,1] neg_hi:[0,1]
	v_mov_b32_e32 v16, v6
	v_pk_add_f32 v[8:9], v[16:17], v[2:3]
	v_mov_b32_e32 v10, v9
	v_pk_add_f32 v[10:11], v[8:9], v[10:11]
	v_pk_add_f32 v[4:5], v[4:5], v[10:11]
	v_mov_b32_e32 v7, v13
	v_mov_b32_e32 v9, v4
	v_pk_add_f32 v[12:13], v[8:9], v[6:7] neg_lo:[0,1] neg_hi:[0,1]
	v_mov_b32_e32 v3, v10
	v_sub_f32_e32 v1, v8, v12
	v_pk_add_f32 v[2:3], v[2:3], v[12:13] neg_lo:[0,1] neg_hi:[0,1]
	v_sub_f32_e32 v1, v6, v1
	v_add_f32_e32 v1, v2, v1
	v_add_f32_e32 v1, v1, v3
	;; [unrolled: 1-line block ×3, first 2 shown]
	v_sub_f32_e32 v3, v2, v4
	v_sub_f32_e32 v1, v1, v3
	v_mul_f32_e32 v3, v19, v2
	v_fma_f32 v2, v19, v2, -v3
	v_fmac_f32_e32 v2, v19, v1
	v_add_f32_e32 v1, v3, v2
	v_cmp_class_f32_e64 s[8:9], v3, s12
	v_sub_f32_e32 v4, v1, v3
	v_cndmask_b32_e64 v1, v1, v3, s[8:9]
	s_mov_b32 s14, 0x42b17218
	v_mov_b32_e32 v3, 0x37000000
	v_cmp_eq_f32_e64 s[8:9], s14, v1
	v_cndmask_b32_e64 v3, 0, v3, s[8:9]
	v_sub_f32_e32 v2, v2, v4
	v_sub_f32_e32 v4, v1, v3
	s_mov_b32 s8, 0x3fb8aa3b
	v_mul_f32_e32 v5, 0x3fb8aa3b, v4
	v_fma_f32 v6, v4, s8, -v5
	v_rndne_f32_e32 v7, v5
	v_fmac_f32_e32 v6, 0x32a5705f, v4
	v_sub_f32_e32 v5, v5, v7
	v_add_f32_e32 v5, v5, v6
	v_exp_f32_e32 v5, v5
	v_cvt_i32_f32_e32 v6, v7
	s_mov_b32 s13, 0x7f800000
	v_cmp_neq_f32_e64 s[8:9], |v1|, s13
	v_cndmask_b32_e64 v1, 0, v2, s[8:9]
	s_mov_b32 s8, 0xc2ce8ed0
	v_ldexp_f32 v2, v5, v6
	v_cmp_ngt_f32_e64 s[8:9], s8, v4
	v_add_f32_e32 v1, v3, v1
	v_cndmask_b32_e64 v2, 0, v2, s[8:9]
	v_mov_b32_e32 v3, 0x7f800000
	v_cmp_nlt_f32_e64 s[8:9], s14, v4
	v_cndmask_b32_e64 v2, v3, v2, s[8:9]
	v_fma_f32 v1, v2, v1, v2
	v_cmp_class_f32_e64 s[8:9], v2, s12
	v_trunc_f32_e32 v4, v19
	v_cndmask_b32_e64 v1, v1, v2, s[8:9]
	v_cndmask_b32_e64 v2, v18, 1.0, vcc
	v_cmp_eq_f32_e32 vcc, v4, v19
	v_mul_f32_e32 v4, 0.5, v19
	v_trunc_f32_e32 v6, v4
	v_cmp_neq_f32_e64 s[8:9], v6, v4
	s_and_b64 s[8:9], vcc, s[8:9]
	v_cndmask_b32_e64 v4, 1.0, v2, s[8:9]
	s_brev_b32 s22, -2
	v_mov_b32_e32 v5, 0x7fc00000
	v_bfi_b32 v1, s22, v1, v4
	v_cndmask_b32_e32 v4, v5, v1, vcc
	v_cmp_gt_f32_e32 vcc, 0, v2
	v_cndmask_b32_e32 v1, v1, v4, vcc
	v_cmp_eq_f32_e32 vcc, s13, v20
	v_cmp_eq_f32_e64 s[12:13], 0, v2
	v_cmp_gt_f32_e64 s[14:15], 0, v19
	s_xor_b64 s[14:15], s[14:15], s[12:13]
	v_cndmask_b32_e64 v3, v3, 0, s[14:15]
	v_cndmask_b32_e64 v4, 0, v2, s[8:9]
	v_bfi_b32 v3, s22, v3, v4
	s_or_b64 vcc, vcc, s[12:13]
	v_cndmask_b32_e32 v1, v1, v3, vcc
	v_cmp_o_f32_e32 vcc, v2, v2
	v_cndmask_b32_e32 v68, v5, v1, vcc
.LBB52_4:
	s_load_dwordx4 s[12:15], s[6:7], 0x70
	s_ashr_i32 s35, s34, 31
	s_ashr_i32 s8, s51, 31
	s_lshl_b32 s22, s10, 6
	v_bfe_u32 v65, v0, 10, 10
	s_waitcnt lgkmcnt(0)
	s_mul_i32 s9, s33, s14
	s_ashr_i32 s14, s9, 31
	s_add_u32 s9, s16, s9
	s_mul_i32 s13, s34, s13
	v_and_b32_e32 v56, 0x3ff, v0
	s_addc_u32 s14, s17, s14
	s_ashr_i32 s15, s13, 31
	v_lshlrev_b32_e32 v57, 3, v65
	s_add_u32 s9, s9, s13
	v_lshlrev_b32_e32 v1, 3, v56
	v_add_u32_e32 v58, s22, v57
	v_add_co_u32_e32 v22, vcc, s9, v1
	v_mul_hi_u32 v1, v58, s36
	s_addc_u32 s13, s14, s15
	v_add_u32_e32 v1, v58, v1
	v_mov_b32_e32 v2, s13
	v_lshrrev_b32_e32 v1, s37, v1
	s_ashr_i32 s14, s12, 31
	v_addc_co_u32_e32 v23, vcc, 0, v2, vcc
	v_mul_lo_u32 v1, v1, s38
	v_mov_b32_e32 v2, s12
	v_sub_u32_e32 v1, v58, v1
	v_alignbit_b32 v24, s14, v2, 2
	v_mad_u64_u32 v[2:3], s[12:13], v24, v1, 0
	v_mov_b32_e32 v4, v3
	s_lshr_b32 s9, s14, 2
	v_or_b32_e32 v54, 1, v57
	v_mad_u64_u32 v[4:5], s[12:13], s9, v1, v[4:5]
	v_add_u32_e32 v55, s22, v54
	v_mov_b32_e32 v3, v4
	v_mul_hi_u32 v4, v55, s36
	v_add_u32_e32 v4, v55, v4
	v_lshrrev_b32_e32 v4, s37, v4
	v_mul_lo_u32 v4, v4, s38
	v_sub_u32_e32 v7, v55, v4
	v_mad_u64_u32 v[4:5], s[12:13], v24, v7, 0
	v_mov_b32_e32 v6, v5
	v_or_b32_e32 v52, 2, v57
	v_mad_u64_u32 v[6:7], s[12:13], s9, v7, v[6:7]
	v_add_u32_e32 v53, s22, v52
	v_mov_b32_e32 v5, v6
	v_mul_hi_u32 v6, v53, s36
	v_add_u32_e32 v6, v53, v6
	v_lshrrev_b32_e32 v6, s37, v6
	v_mul_lo_u32 v6, v6, s38
	v_sub_u32_e32 v9, v53, v6
	v_mad_u64_u32 v[6:7], s[12:13], v24, v9, 0
	v_mov_b32_e32 v8, v7
	v_or_b32_e32 v50, 3, v57
	v_mad_u64_u32 v[8:9], s[12:13], s9, v9, v[8:9]
	v_add_u32_e32 v51, s22, v50
	v_mov_b32_e32 v7, v8
	v_mul_hi_u32 v8, v51, s36
	v_add_u32_e32 v8, v51, v8
	v_lshrrev_b32_e32 v8, s37, v8
	v_lshlrev_b64 v[2:3], 2, v[2:3]
	v_mul_lo_u32 v8, v8, s38
	v_add_co_u32_e32 v2, vcc, v22, v2
	v_sub_u32_e32 v11, v51, v8
	v_addc_co_u32_e32 v3, vcc, v23, v3, vcc
	v_lshlrev_b64 v[4:5], 2, v[4:5]
	v_mad_u64_u32 v[8:9], s[12:13], v24, v11, 0
	v_add_co_u32_e32 v4, vcc, v22, v4
	v_mov_b32_e32 v10, v9
	v_addc_co_u32_e32 v5, vcc, v23, v5, vcc
	v_lshlrev_b64 v[6:7], 2, v[6:7]
	v_mad_u64_u32 v[10:11], s[12:13], s9, v11, v[10:11]
	v_add_co_u32_e32 v6, vcc, v22, v6
	v_mov_b32_e32 v9, v10
	v_addc_co_u32_e32 v7, vcc, v23, v7, vcc
	v_lshlrev_b64 v[8:9], 2, v[8:9]
	v_or_b32_e32 v48, 4, v57
	v_add_co_u32_e32 v8, vcc, v22, v8
	v_add_u32_e32 v49, s22, v48
	v_addc_co_u32_e32 v9, vcc, v23, v9, vcc
	global_load_dwordx2 v[10:11], v[2:3], off
	global_load_dwordx2 v[12:13], v[4:5], off
	;; [unrolled: 1-line block ×4, first 2 shown]
	v_mul_hi_u32 v2, v49, s36
	v_add_u32_e32 v2, v49, v2
	v_lshrrev_b32_e32 v2, s37, v2
	v_mul_lo_u32 v2, v2, s38
	v_sub_u32_e32 v5, v49, v2
	v_mad_u64_u32 v[2:3], s[12:13], v24, v5, 0
	v_mov_b32_e32 v4, v3
	v_or_b32_e32 v46, 5, v57
	v_mad_u64_u32 v[4:5], s[12:13], s9, v5, v[4:5]
	v_add_u32_e32 v47, s22, v46
	v_mov_b32_e32 v3, v4
	v_mul_hi_u32 v4, v47, s36
	v_add_u32_e32 v4, v47, v4
	v_lshrrev_b32_e32 v4, s37, v4
	v_mul_lo_u32 v4, v4, s38
	v_sub_u32_e32 v7, v47, v4
	v_mad_u64_u32 v[4:5], s[12:13], v24, v7, 0
	v_mov_b32_e32 v6, v5
	v_or_b32_e32 v44, 6, v57
	v_mad_u64_u32 v[6:7], s[12:13], s9, v7, v[6:7]
	v_add_u32_e32 v45, s22, v44
	v_mov_b32_e32 v5, v6
	v_mul_hi_u32 v6, v45, s36
	v_add_u32_e32 v6, v45, v6
	v_lshrrev_b32_e32 v6, s37, v6
	v_mul_lo_u32 v6, v6, s38
	v_sub_u32_e32 v9, v45, v6
	v_lshlrev_b64 v[2:3], 2, v[2:3]
	v_mad_u64_u32 v[6:7], s[12:13], v24, v9, 0
	v_add_co_u32_e32 v2, vcc, v22, v2
	v_mov_b32_e32 v8, v7
	v_addc_co_u32_e32 v3, vcc, v23, v3, vcc
	v_lshlrev_b64 v[4:5], 2, v[4:5]
	v_mad_u64_u32 v[8:9], s[12:13], s9, v9, v[8:9]
	v_add_co_u32_e32 v4, vcc, v22, v4
	v_mov_b32_e32 v7, v8
	v_addc_co_u32_e32 v5, vcc, v23, v5, vcc
	v_lshlrev_b64 v[6:7], 2, v[6:7]
	v_or_b32_e32 v42, 7, v57
	v_add_co_u32_e32 v6, vcc, v22, v6
	v_add_u32_e32 v43, s22, v42
	v_addc_co_u32_e32 v7, vcc, v23, v7, vcc
	global_load_dwordx2 v[8:9], v[2:3], off
	global_load_dwordx2 v[18:19], v[4:5], off
	global_load_dwordx2 v[20:21], v[6:7], off
	v_mul_hi_u32 v2, v43, s36
	v_add_u32_e32 v2, v43, v2
	v_lshrrev_b32_e32 v2, s37, v2
	v_mul_lo_u32 v2, v2, s38
	v_sub_u32_e32 v5, v43, v2
	v_mad_u64_u32 v[2:3], s[12:13], v24, v5, 0
	v_mov_b32_e32 v4, v3
	v_mad_u64_u32 v[4:5], s[12:13], s9, v5, v[4:5]
	v_mov_b32_e32 v3, v4
	v_lshlrev_b64 v[2:3], 2, v[2:3]
	v_add_co_u32_e32 v2, vcc, v22, v2
	v_addc_co_u32_e32 v3, vcc, v23, v3, vcc
	global_load_dwordx2 v[2:3], v[2:3], off
	v_lshlrev_b32_e32 v59, 2, v56
	v_lshl_or_b32 v5, v65, 10, v59
	s_cmp_eq_u64 s[26:27], 0
	s_waitcnt vmcnt(7)
	v_fma_mixlo_f16 v4, v10, s40, 0
	v_fma_mixhi_f16 v4, v11, s40, 0
	ds_write_b32 v5, v4 offset:17408
	s_waitcnt vmcnt(6)
	v_fma_mixlo_f16 v4, v12, s40, 0
	v_lshlrev_b32_e32 v5, 5, v54
	v_fma_mixhi_f16 v4, v13, s40, 0
	v_add_lshl_u32 v5, v5, v56, 2
	ds_write_b32 v5, v4 offset:17408
	s_waitcnt vmcnt(5)
	v_fma_mixlo_f16 v4, v14, s40, 0
	v_lshlrev_b32_e32 v5, 5, v52
	v_fma_mixhi_f16 v4, v15, s40, 0
	v_add_lshl_u32 v5, v5, v56, 2
	;; [unrolled: 6-line block ×3, first 2 shown]
	ds_write_b32 v5, v4 offset:17408
	v_lshlrev_b32_e32 v5, 5, v48
	v_add_lshl_u32 v5, v5, v56, 2
	s_waitcnt vmcnt(3)
	v_fma_mixlo_f16 v4, v8, s40, 0
	v_fma_mixhi_f16 v4, v9, s40, 0
	ds_write_b32 v5, v4 offset:17408
	s_waitcnt vmcnt(2)
	v_fma_mixlo_f16 v4, v18, s40, 0
	v_lshlrev_b32_e32 v5, 5, v46
	v_fma_mixhi_f16 v4, v19, s40, 0
	v_add_lshl_u32 v5, v5, v56, 2
	ds_write_b32 v5, v4 offset:17408
	s_waitcnt vmcnt(1)
	v_fma_mixlo_f16 v4, v20, s40, 0
	v_lshlrev_b32_e32 v5, 5, v44
	v_fma_mixhi_f16 v4, v21, s40, 0
	v_add_lshl_u32 v5, v5, v56, 2
	ds_write_b32 v5, v4 offset:17408
	s_waitcnt vmcnt(0)
	v_fma_mixlo_f16 v2, v2, s40, 0
	v_fma_mixhi_f16 v2, v3, s40, 0
	v_lshlrev_b32_e32 v3, 5, v42
	v_add_lshl_u32 v3, v3, v56, 2
	ds_write_b32 v3, v2 offset:17408
	s_waitcnt lgkmcnt(0)
	s_barrier
	s_cbranch_scc1 .LBB52_6
; %bb.5:
	s_load_dword s9, s[6:7], 0xd0
	s_mov_b32 s13, 0
	s_waitcnt lgkmcnt(0)
	s_mul_i32 s9, s9, s33
	s_add_i32 s12, s9, s10
	s_lshl_b64 s[12:13], s[12:13], 2
	s_add_u32 s12, s26, s12
	s_addc_u32 s13, s27, s13
	s_load_dword s46, s[12:13], 0x0
.LBB52_6:
	s_nop 0
	s_load_dwordx2 s[12:13], s[6:7], 0x8c
	s_load_dwordx4 s[52:55], s[6:7], 0x98
	s_load_dwordx2 s[26:27], s[6:7], 0xa8
	s_ashr_i32 s9, s33, 31
	s_ashr_i32 s40, s49, 1
	s_waitcnt lgkmcnt(0)
	s_ashr_i32 s14, s12, 2
	s_mul_i32 s12, s33, s53
	s_mul_hi_u32 s15, s33, s52
	s_add_i32 s12, s15, s12
	s_mul_i32 s15, s9, s52
	s_ashr_i32 s10, s54, 2
	s_add_i32 s12, s12, s15
	s_mul_i32 s15, s33, s52
	s_add_u32 s15, s18, s15
	s_mul_i32 s16, s23, s47
	s_addc_u32 s12, s19, s12
	s_sub_i32 s16, s50, s16
	s_xor_b32 s8, s35, s8
	s_add_i32 s17, s23, 1
	s_sub_i32 s18, s16, s47
	s_cmp_ge_u32 s16, s47
	s_cselect_b32 s17, s17, s23
	s_cselect_b32 s16, s18, s16
	s_add_i32 s18, s17, 1
	s_cmp_ge_u32 s16, s47
	s_cselect_b32 s16, s18, s17
	s_xor_b32 s16, s16, s8
	s_sub_i32 s8, s16, s8
	s_mul_i32 s13, s8, s13
	s_ashr_i32 s16, s13, 31
	s_add_u32 s15, s15, s13
	s_addc_u32 s16, s12, s16
	s_mul_i32 s12, s33, s27
	s_mul_hi_u32 s13, s33, s26
	s_add_i32 s12, s13, s12
	s_mul_i32 s9, s9, s26
	s_add_i32 s12, s12, s9
	s_mul_i32 s9, s33, s26
	s_add_u32 s9, s20, s9
	s_mul_i32 s8, s8, s55
	s_addc_u32 s12, s21, s12
	s_ashr_i32 s13, s8, 31
	s_add_u32 s23, s9, s8
	s_addc_u32 s26, s12, s13
	s_lshl_b32 s27, s11, 6
	s_sub_i32 s17, s46, 64
	s_mov_b32 s48, 0xfeffffff
	s_cmp_ge_i32 s27, s17
	v_mov_b32_e32 v25, 0
	v_mov_b32_e32 v70, 0
	v_mul_lo_u32 v40, v1, s40
	v_lshrrev_b32_e32 v1, 3, v56
	v_lshlrev_b32_e32 v60, 10, v65
	v_or_b32_e32 v77, 1, v58
	v_or_b32_e32 v76, 2, v58
	;; [unrolled: 1-line block ×7, first 2 shown]
	v_mbcnt_lo_u32_b32 v78, -1, 0
	s_cbranch_scc1 .LBB52_43
; %bb.7:
	v_mul_hi_u32 v9, s36, v77
	v_add_u32_e32 v9, v77, v9
	v_lshrrev_b32_e32 v9, s37, v9
	v_mul_lo_u32 v9, v9, s38
	v_sub_u32_e32 v9, v77, v9
	v_mul_lo_u32 v82, v9, s40
	v_mul_hi_u32 v9, s36, v76
	v_add_u32_e32 v9, v76, v9
	v_lshrrev_b32_e32 v9, s37, v9
	v_mul_lo_u32 v9, v9, s38
	v_sub_u32_e32 v9, v76, v9
	v_mul_lo_u32 v83, v9, s40
	;; [unrolled: 6-line block ×6, first 2 shown]
	v_mul_hi_u32 v9, s36, v71
	v_and_b32_e32 v4, 28, v59
	v_add_u32_e32 v9, v71, v9
	v_lshl_add_u32 v5, v65, 2, v1
	v_lshlrev_b32_e32 v8, 2, v4
	s_movk_i32 s8, 0x90
	s_cmp_lg_u64 s[44:45], 0
	v_lshrrev_b32_e32 v9, s37, v9
	v_mad_u32_u24 v41, v5, s8, v8
	v_mul_lo_u32 v2, s14, v5
	v_mul_lo_u32 v9, v9, s38
	v_lshl_or_b32 v90, v5, 7, v8
	v_mul_lo_u32 v8, s10, v5
	s_cselect_b64 s[8:9], -1, 0
	s_add_u32 s12, s6, 0xd0
	v_lshl_add_u32 v6, s14, 5, v2
	v_sub_u32_e32 v9, v71, v9
	v_lshl_add_u32 v10, s10, 5, v8
	s_addc_u32 s13, s7, 0
	v_mov_b32_e32 v63, 0
	v_ashrrev_i32_e32 v3, 31, v2
	v_ashrrev_i32_e32 v7, 31, v6
	v_mul_lo_u32 v88, v9, s40
	v_add_u32_e32 v89, 0x2400, v60
	v_lshlrev_b32_e32 v12, 4, v56
	v_ashrrev_i32_e32 v9, 31, v8
	v_ashrrev_i32_e32 v11, 31, v10
	s_add_u32 s18, s44, 64
	v_mov_b32_e32 v14, 0xfeffffff
	v_cndmask_b32_e64 v13, 0, 1, s[8:9]
	v_add_u32_e32 v79, 0x1200, v41
	v_mul_u32_u24_e32 v80, 0x90, v56
	v_add_u32_e32 v81, 0x4400, v60
	v_add_u32_e32 v91, 0x1000, v90
	s_addc_u32 s19, s45, 0
	v_lshlrev_b64 v[2:3], 2, v[2:3]
	v_lshlrev_b32_e32 v92, 2, v4
	v_lshlrev_b64 v[4:5], 2, v[6:7]
	v_mbcnt_hi_u32_b32 v93, -1, v78
	s_mov_b32 s20, 0x3fb8aa3b
	s_mov_b32 s21, 0xc2ce8ed0
	;; [unrolled: 1-line block ×3, first 2 shown]
	v_add_u32_e32 v94, v89, v12
	v_lshlrev_b64 v[6:7], 2, v[8:9]
	v_lshlrev_b64 v[8:9], 2, v[10:11]
	v_cmp_ne_u32_e64 s[8:9], 1, v13
	v_mov_b32_e32 v95, 0x7f800000
	v_mov_b32_e32 v66, 0
	;; [unrolled: 1-line block ×23, first 2 shown]
.LBB52_8:                               ; =>This Inner Loop Header: Depth=1
	s_mul_hi_i32 s43, s27, s14
	s_mul_i32 s42, s27, s14
	s_lshl_b64 s[42:43], s[42:43], 2
	s_add_u32 s42, s15, s42
	s_addc_u32 s43, s16, s43
	v_mov_b32_e32 v26, s43
	v_add_co_u32_e32 v27, vcc, s42, v2
	v_addc_co_u32_e32 v28, vcc, v26, v3, vcc
	v_add_co_u32_e32 v26, vcc, v27, v92
	v_addc_co_u32_e32 v27, vcc, 0, v28, vcc
	v_mov_b32_e32 v28, s43
	v_add_co_u32_e32 v29, vcc, s42, v4
	v_addc_co_u32_e32 v30, vcc, v28, v5, vcc
	v_add_co_u32_e32 v28, vcc, v29, v92
	v_addc_co_u32_e32 v29, vcc, 0, v30, vcc
	global_load_dwordx4 v[100:103], v[26:27], off
	global_load_dwordx4 v[104:107], v[28:29], off
	v_mov_b32_e32 v30, 0
	v_mov_b32_e32 v31, 0
	;; [unrolled: 1-line block ×16, first 2 shown]
	s_and_b64 vcc, exec, s[8:9]
	s_waitcnt vmcnt(1)
	ds_write_b128 v41, v[100:103]
	s_waitcnt vmcnt(0)
	ds_write_b128 v79, v[104:107]
	s_waitcnt lgkmcnt(0)
	s_barrier
	ds_read_b128 v[100:103], v80
	ds_read_b128 v[104:107], v80 offset:4608
	ds_read_b128 v[108:111], v81
	ds_read_b128 v[112:115], v81 offset:128
	ds_read_b128 v[116:119], v81 offset:256
	;; [unrolled: 1-line block ×7, first 2 shown]
	s_waitcnt lgkmcnt(7)
	;;#ASMSTART
	v_dot2_f32_f16 v30, v100, v108, v30
	;;#ASMEND
	;;#ASMSTART
	v_dot2_f32_f16 v30, v101, v109, v30
	;;#ASMEND
	;;#ASMSTART
	v_dot2_f32_f16 v30, v102, v110, v30
	;;#ASMEND
	;;#ASMSTART
	v_dot2_f32_f16 v30, v103, v111, v30
	;;#ASMEND
	s_waitcnt lgkmcnt(6)
	;;#ASMSTART
	v_dot2_f32_f16 v31, v100, v112, v31
	;;#ASMEND
	;;#ASMSTART
	v_dot2_f32_f16 v31, v101, v113, v31
	;;#ASMEND
	;;#ASMSTART
	v_dot2_f32_f16 v31, v102, v114, v31
	;;#ASMEND
	;;#ASMSTART
	v_dot2_f32_f16 v31, v103, v115, v31
	;;#ASMEND
	;; [unrolled: 13-line block ×8, first 2 shown]
	;;#ASMSTART
	v_dot2_f32_f16 v99, v104, v108, v99
	;;#ASMEND
	;;#ASMSTART
	v_dot2_f32_f16 v99, v105, v109, v99
	;;#ASMEND
	;; [unrolled: 3-line block ×32, first 2 shown]
	ds_read_b128 v[100:103], v80 offset:16
	ds_read_b128 v[104:107], v80 offset:4624
	;; [unrolled: 1-line block ×10, first 2 shown]
	s_waitcnt lgkmcnt(7)
	;;#ASMSTART
	v_dot2_f32_f16 v30, v100, v108, v30
	;;#ASMEND
	;;#ASMSTART
	v_dot2_f32_f16 v30, v101, v109, v30
	;;#ASMEND
	;;#ASMSTART
	v_dot2_f32_f16 v30, v102, v110, v30
	;;#ASMEND
	;;#ASMSTART
	v_dot2_f32_f16 v30, v103, v111, v30
	;;#ASMEND
	s_waitcnt lgkmcnt(6)
	;;#ASMSTART
	v_dot2_f32_f16 v31, v100, v112, v31
	;;#ASMEND
	;;#ASMSTART
	v_dot2_f32_f16 v31, v101, v113, v31
	;;#ASMEND
	;;#ASMSTART
	v_dot2_f32_f16 v31, v102, v114, v31
	;;#ASMEND
	;;#ASMSTART
	v_dot2_f32_f16 v31, v103, v115, v31
	;;#ASMEND
	;; [unrolled: 13-line block ×8, first 2 shown]
	;;#ASMSTART
	v_dot2_f32_f16 v99, v104, v108, v99
	;;#ASMEND
	;;#ASMSTART
	v_dot2_f32_f16 v99, v105, v109, v99
	;;#ASMEND
	;; [unrolled: 3-line block ×32, first 2 shown]
	ds_read_b128 v[100:103], v80 offset:32
	ds_read_b128 v[104:107], v80 offset:4640
	;; [unrolled: 1-line block ×10, first 2 shown]
	s_waitcnt lgkmcnt(7)
	;;#ASMSTART
	v_dot2_f32_f16 v30, v100, v108, v30
	;;#ASMEND
	;;#ASMSTART
	v_dot2_f32_f16 v30, v101, v109, v30
	;;#ASMEND
	;;#ASMSTART
	v_dot2_f32_f16 v30, v102, v110, v30
	;;#ASMEND
	;;#ASMSTART
	v_dot2_f32_f16 v30, v103, v111, v30
	;;#ASMEND
	s_waitcnt lgkmcnt(6)
	;;#ASMSTART
	v_dot2_f32_f16 v31, v100, v112, v31
	;;#ASMEND
	;;#ASMSTART
	v_dot2_f32_f16 v31, v101, v113, v31
	;;#ASMEND
	;;#ASMSTART
	v_dot2_f32_f16 v31, v102, v114, v31
	;;#ASMEND
	;;#ASMSTART
	v_dot2_f32_f16 v31, v103, v115, v31
	;;#ASMEND
	;; [unrolled: 13-line block ×8, first 2 shown]
	;;#ASMSTART
	v_dot2_f32_f16 v99, v104, v108, v99
	;;#ASMEND
	;;#ASMSTART
	v_dot2_f32_f16 v99, v105, v109, v99
	;;#ASMEND
	;;#ASMSTART
	v_dot2_f32_f16 v99, v106, v110, v99
	;;#ASMEND
	;;#ASMSTART
	v_dot2_f32_f16 v99, v107, v111, v99
	;;#ASMEND
	;;#ASMSTART
	v_dot2_f32_f16 v98, v104, v112, v98
	;;#ASMEND
	;;#ASMSTART
	v_dot2_f32_f16 v98, v105, v113, v98
	;;#ASMEND
	;;#ASMSTART
	v_dot2_f32_f16 v98, v106, v114, v98
	;;#ASMEND
	;;#ASMSTART
	v_dot2_f32_f16 v98, v107, v115, v98
	;;#ASMEND
	;;#ASMSTART
	v_dot2_f32_f16 v38, v104, v116, v38
	;;#ASMEND
	;;#ASMSTART
	v_dot2_f32_f16 v38, v105, v117, v38
	;;#ASMEND
	;;#ASMSTART
	v_dot2_f32_f16 v38, v106, v118, v38
	;;#ASMEND
	;;#ASMSTART
	v_dot2_f32_f16 v38, v107, v119, v38
	;;#ASMEND
	;;#ASMSTART
	v_dot2_f32_f16 v37, v104, v120, v37
	;;#ASMEND
	;;#ASMSTART
	v_dot2_f32_f16 v37, v105, v121, v37
	;;#ASMEND
	;;#ASMSTART
	v_dot2_f32_f16 v37, v106, v122, v37
	;;#ASMEND
	;;#ASMSTART
	v_dot2_f32_f16 v37, v107, v123, v37
	;;#ASMEND
	;;#ASMSTART
	v_dot2_f32_f16 v39, v104, v124, v39
	;;#ASMEND
	;;#ASMSTART
	v_dot2_f32_f16 v39, v105, v125, v39
	;;#ASMEND
	;;#ASMSTART
	v_dot2_f32_f16 v39, v106, v126, v39
	;;#ASMEND
	;;#ASMSTART
	v_dot2_f32_f16 v39, v107, v127, v39
	;;#ASMEND
	;;#ASMSTART
	v_dot2_f32_f16 v35, v104, v128, v35
	;;#ASMEND
	;;#ASMSTART
	v_dot2_f32_f16 v35, v105, v129, v35
	;;#ASMEND
	;;#ASMSTART
	v_dot2_f32_f16 v35, v106, v130, v35
	;;#ASMEND
	;;#ASMSTART
	v_dot2_f32_f16 v35, v107, v131, v35
	;;#ASMEND
	;;#ASMSTART
	v_dot2_f32_f16 v97, v104, v132, v97
	;;#ASMEND
	;;#ASMSTART
	v_dot2_f32_f16 v97, v105, v133, v97
	;;#ASMEND
	;;#ASMSTART
	v_dot2_f32_f16 v97, v106, v134, v97
	;;#ASMEND
	;;#ASMSTART
	v_dot2_f32_f16 v97, v107, v135, v97
	;;#ASMEND
	;;#ASMSTART
	v_dot2_f32_f16 v27, v104, v136, v27
	;;#ASMEND
	;;#ASMSTART
	v_dot2_f32_f16 v27, v105, v137, v27
	;;#ASMEND
	;;#ASMSTART
	v_dot2_f32_f16 v27, v106, v138, v27
	;;#ASMEND
	;;#ASMSTART
	v_dot2_f32_f16 v27, v107, v139, v27
	;;#ASMEND
	ds_read_b128 v[100:103], v80 offset:48
	ds_read_b128 v[104:107], v80 offset:4656
	;; [unrolled: 1-line block ×10, first 2 shown]
	s_waitcnt lgkmcnt(7)
	;;#ASMSTART
	v_dot2_f32_f16 v30, v100, v108, v30
	;;#ASMEND
	;;#ASMSTART
	v_dot2_f32_f16 v30, v101, v109, v30
	;;#ASMEND
	;;#ASMSTART
	v_dot2_f32_f16 v30, v102, v110, v30
	;;#ASMEND
	;;#ASMSTART
	v_dot2_f32_f16 v30, v103, v111, v30
	;;#ASMEND
	s_waitcnt lgkmcnt(6)
	;;#ASMSTART
	v_dot2_f32_f16 v31, v100, v112, v31
	;;#ASMEND
	;;#ASMSTART
	v_dot2_f32_f16 v31, v101, v113, v31
	;;#ASMEND
	;;#ASMSTART
	v_dot2_f32_f16 v31, v102, v114, v31
	;;#ASMEND
	;;#ASMSTART
	v_dot2_f32_f16 v31, v103, v115, v31
	;;#ASMEND
	;; [unrolled: 13-line block ×8, first 2 shown]
	;;#ASMSTART
	v_dot2_f32_f16 v99, v104, v108, v99
	;;#ASMEND
	;;#ASMSTART
	v_dot2_f32_f16 v99, v105, v109, v99
	;;#ASMEND
	;;#ASMSTART
	v_dot2_f32_f16 v99, v106, v110, v99
	;;#ASMEND
	;;#ASMSTART
	v_dot2_f32_f16 v99, v107, v111, v99
	;;#ASMEND
	;;#ASMSTART
	v_dot2_f32_f16 v98, v104, v112, v98
	;;#ASMEND
	;;#ASMSTART
	v_dot2_f32_f16 v98, v105, v113, v98
	;;#ASMEND
	;;#ASMSTART
	v_dot2_f32_f16 v98, v106, v114, v98
	;;#ASMEND
	;;#ASMSTART
	v_dot2_f32_f16 v98, v107, v115, v98
	;;#ASMEND
	;;#ASMSTART
	v_dot2_f32_f16 v38, v104, v116, v38
	;;#ASMEND
	;;#ASMSTART
	v_dot2_f32_f16 v38, v105, v117, v38
	;;#ASMEND
	;;#ASMSTART
	v_dot2_f32_f16 v38, v106, v118, v38
	;;#ASMEND
	;;#ASMSTART
	v_dot2_f32_f16 v38, v107, v119, v38
	;;#ASMEND
	;;#ASMSTART
	v_dot2_f32_f16 v37, v104, v120, v37
	;;#ASMEND
	;;#ASMSTART
	v_dot2_f32_f16 v37, v105, v121, v37
	;;#ASMEND
	;;#ASMSTART
	v_dot2_f32_f16 v37, v106, v122, v37
	;;#ASMEND
	;;#ASMSTART
	v_dot2_f32_f16 v37, v107, v123, v37
	;;#ASMEND
	;;#ASMSTART
	v_dot2_f32_f16 v39, v104, v124, v39
	;;#ASMEND
	;;#ASMSTART
	v_dot2_f32_f16 v39, v105, v125, v39
	;;#ASMEND
	;;#ASMSTART
	v_dot2_f32_f16 v39, v106, v126, v39
	;;#ASMEND
	;;#ASMSTART
	v_dot2_f32_f16 v39, v107, v127, v39
	;;#ASMEND
	;;#ASMSTART
	v_dot2_f32_f16 v35, v104, v128, v35
	;;#ASMEND
	;;#ASMSTART
	v_dot2_f32_f16 v35, v105, v129, v35
	;;#ASMEND
	;;#ASMSTART
	v_dot2_f32_f16 v35, v106, v130, v35
	;;#ASMEND
	;;#ASMSTART
	v_dot2_f32_f16 v35, v107, v131, v35
	;;#ASMEND
	;;#ASMSTART
	v_dot2_f32_f16 v97, v104, v132, v97
	;;#ASMEND
	;;#ASMSTART
	v_dot2_f32_f16 v97, v105, v133, v97
	;;#ASMEND
	;;#ASMSTART
	v_dot2_f32_f16 v97, v106, v134, v97
	;;#ASMEND
	;;#ASMSTART
	v_dot2_f32_f16 v97, v107, v135, v97
	;;#ASMEND
	;;#ASMSTART
	v_dot2_f32_f16 v27, v104, v136, v27
	;;#ASMEND
	;;#ASMSTART
	v_dot2_f32_f16 v27, v105, v137, v27
	;;#ASMEND
	;;#ASMSTART
	v_dot2_f32_f16 v27, v106, v138, v27
	;;#ASMEND
	;;#ASMSTART
	v_dot2_f32_f16 v27, v107, v139, v27
	;;#ASMEND
	ds_read_b128 v[100:103], v80 offset:64
	ds_read_b128 v[104:107], v80 offset:4672
	;; [unrolled: 1-line block ×10, first 2 shown]
	s_waitcnt lgkmcnt(7)
	;;#ASMSTART
	v_dot2_f32_f16 v30, v100, v108, v30
	;;#ASMEND
	;;#ASMSTART
	v_dot2_f32_f16 v30, v101, v109, v30
	;;#ASMEND
	;;#ASMSTART
	v_dot2_f32_f16 v30, v102, v110, v30
	;;#ASMEND
	;;#ASMSTART
	v_dot2_f32_f16 v30, v103, v111, v30
	;;#ASMEND
	s_waitcnt lgkmcnt(6)
	;;#ASMSTART
	v_dot2_f32_f16 v31, v100, v112, v31
	;;#ASMEND
	;;#ASMSTART
	v_dot2_f32_f16 v31, v101, v113, v31
	;;#ASMEND
	;;#ASMSTART
	v_dot2_f32_f16 v31, v102, v114, v31
	;;#ASMEND
	;;#ASMSTART
	v_dot2_f32_f16 v31, v103, v115, v31
	;;#ASMEND
	;; [unrolled: 13-line block ×8, first 2 shown]
	;;#ASMSTART
	v_dot2_f32_f16 v99, v104, v108, v99
	;;#ASMEND
	;;#ASMSTART
	v_dot2_f32_f16 v99, v105, v109, v99
	;;#ASMEND
	;;#ASMSTART
	v_dot2_f32_f16 v99, v106, v110, v99
	;;#ASMEND
	;;#ASMSTART
	v_dot2_f32_f16 v99, v107, v111, v99
	;;#ASMEND
	;;#ASMSTART
	v_dot2_f32_f16 v98, v104, v112, v98
	;;#ASMEND
	;;#ASMSTART
	v_dot2_f32_f16 v98, v105, v113, v98
	;;#ASMEND
	;;#ASMSTART
	v_dot2_f32_f16 v98, v106, v114, v98
	;;#ASMEND
	;;#ASMSTART
	v_dot2_f32_f16 v98, v107, v115, v98
	;;#ASMEND
	;;#ASMSTART
	v_dot2_f32_f16 v38, v104, v116, v38
	;;#ASMEND
	;;#ASMSTART
	v_dot2_f32_f16 v38, v105, v117, v38
	;;#ASMEND
	;;#ASMSTART
	v_dot2_f32_f16 v38, v106, v118, v38
	;;#ASMEND
	;;#ASMSTART
	v_dot2_f32_f16 v38, v107, v119, v38
	;;#ASMEND
	;;#ASMSTART
	v_dot2_f32_f16 v37, v104, v120, v37
	;;#ASMEND
	;;#ASMSTART
	v_dot2_f32_f16 v37, v105, v121, v37
	;;#ASMEND
	;;#ASMSTART
	v_dot2_f32_f16 v37, v106, v122, v37
	;;#ASMEND
	;;#ASMSTART
	v_dot2_f32_f16 v37, v107, v123, v37
	;;#ASMEND
	;;#ASMSTART
	v_dot2_f32_f16 v39, v104, v124, v39
	;;#ASMEND
	;;#ASMSTART
	v_dot2_f32_f16 v39, v105, v125, v39
	;;#ASMEND
	;;#ASMSTART
	v_dot2_f32_f16 v39, v106, v126, v39
	;;#ASMEND
	;;#ASMSTART
	v_dot2_f32_f16 v39, v107, v127, v39
	;;#ASMEND
	;;#ASMSTART
	v_dot2_f32_f16 v35, v104, v128, v35
	;;#ASMEND
	;;#ASMSTART
	v_dot2_f32_f16 v35, v105, v129, v35
	;;#ASMEND
	;;#ASMSTART
	v_dot2_f32_f16 v35, v106, v130, v35
	;;#ASMEND
	;;#ASMSTART
	v_dot2_f32_f16 v35, v107, v131, v35
	;;#ASMEND
	;;#ASMSTART
	v_dot2_f32_f16 v97, v104, v132, v97
	;;#ASMEND
	;;#ASMSTART
	v_dot2_f32_f16 v97, v105, v133, v97
	;;#ASMEND
	;;#ASMSTART
	v_dot2_f32_f16 v97, v106, v134, v97
	;;#ASMEND
	;;#ASMSTART
	v_dot2_f32_f16 v97, v107, v135, v97
	;;#ASMEND
	;;#ASMSTART
	v_dot2_f32_f16 v27, v104, v136, v27
	;;#ASMEND
	;;#ASMSTART
	v_dot2_f32_f16 v27, v105, v137, v27
	;;#ASMEND
	;;#ASMSTART
	v_dot2_f32_f16 v27, v106, v138, v27
	;;#ASMEND
	;;#ASMSTART
	v_dot2_f32_f16 v27, v107, v139, v27
	;;#ASMEND
	ds_read_b128 v[100:103], v80 offset:80
	ds_read_b128 v[104:107], v80 offset:4688
	;; [unrolled: 1-line block ×10, first 2 shown]
	s_waitcnt lgkmcnt(7)
	;;#ASMSTART
	v_dot2_f32_f16 v30, v100, v108, v30
	;;#ASMEND
	;;#ASMSTART
	v_dot2_f32_f16 v30, v101, v109, v30
	;;#ASMEND
	;;#ASMSTART
	v_dot2_f32_f16 v30, v102, v110, v30
	;;#ASMEND
	;;#ASMSTART
	v_dot2_f32_f16 v30, v103, v111, v30
	;;#ASMEND
	s_waitcnt lgkmcnt(6)
	;;#ASMSTART
	v_dot2_f32_f16 v31, v100, v112, v31
	;;#ASMEND
	;;#ASMSTART
	v_dot2_f32_f16 v31, v101, v113, v31
	;;#ASMEND
	;;#ASMSTART
	v_dot2_f32_f16 v31, v102, v114, v31
	;;#ASMEND
	;;#ASMSTART
	v_dot2_f32_f16 v31, v103, v115, v31
	;;#ASMEND
	;; [unrolled: 13-line block ×8, first 2 shown]
	;;#ASMSTART
	v_dot2_f32_f16 v99, v104, v108, v99
	;;#ASMEND
	;;#ASMSTART
	v_dot2_f32_f16 v99, v105, v109, v99
	;;#ASMEND
	;;#ASMSTART
	v_dot2_f32_f16 v99, v106, v110, v99
	;;#ASMEND
	;;#ASMSTART
	v_dot2_f32_f16 v99, v107, v111, v99
	;;#ASMEND
	;;#ASMSTART
	v_dot2_f32_f16 v98, v104, v112, v98
	;;#ASMEND
	;;#ASMSTART
	v_dot2_f32_f16 v98, v105, v113, v98
	;;#ASMEND
	;;#ASMSTART
	v_dot2_f32_f16 v98, v106, v114, v98
	;;#ASMEND
	;;#ASMSTART
	v_dot2_f32_f16 v98, v107, v115, v98
	;;#ASMEND
	;;#ASMSTART
	v_dot2_f32_f16 v38, v104, v116, v38
	;;#ASMEND
	;;#ASMSTART
	v_dot2_f32_f16 v38, v105, v117, v38
	;;#ASMEND
	;;#ASMSTART
	v_dot2_f32_f16 v38, v106, v118, v38
	;;#ASMEND
	;;#ASMSTART
	v_dot2_f32_f16 v38, v107, v119, v38
	;;#ASMEND
	;;#ASMSTART
	v_dot2_f32_f16 v37, v104, v120, v37
	;;#ASMEND
	;;#ASMSTART
	v_dot2_f32_f16 v37, v105, v121, v37
	;;#ASMEND
	;;#ASMSTART
	v_dot2_f32_f16 v37, v106, v122, v37
	;;#ASMEND
	;;#ASMSTART
	v_dot2_f32_f16 v37, v107, v123, v37
	;;#ASMEND
	;;#ASMSTART
	v_dot2_f32_f16 v39, v104, v124, v39
	;;#ASMEND
	;;#ASMSTART
	v_dot2_f32_f16 v39, v105, v125, v39
	;;#ASMEND
	;;#ASMSTART
	v_dot2_f32_f16 v39, v106, v126, v39
	;;#ASMEND
	;;#ASMSTART
	v_dot2_f32_f16 v39, v107, v127, v39
	;;#ASMEND
	;;#ASMSTART
	v_dot2_f32_f16 v35, v104, v128, v35
	;;#ASMEND
	;;#ASMSTART
	v_dot2_f32_f16 v35, v105, v129, v35
	;;#ASMEND
	;;#ASMSTART
	v_dot2_f32_f16 v35, v106, v130, v35
	;;#ASMEND
	;;#ASMSTART
	v_dot2_f32_f16 v35, v107, v131, v35
	;;#ASMEND
	;;#ASMSTART
	v_dot2_f32_f16 v97, v104, v132, v97
	;;#ASMEND
	;;#ASMSTART
	v_dot2_f32_f16 v97, v105, v133, v97
	;;#ASMEND
	;;#ASMSTART
	v_dot2_f32_f16 v97, v106, v134, v97
	;;#ASMEND
	;;#ASMSTART
	v_dot2_f32_f16 v97, v107, v135, v97
	;;#ASMEND
	;;#ASMSTART
	v_dot2_f32_f16 v27, v104, v136, v27
	;;#ASMEND
	;;#ASMSTART
	v_dot2_f32_f16 v27, v105, v137, v27
	;;#ASMEND
	;;#ASMSTART
	v_dot2_f32_f16 v27, v106, v138, v27
	;;#ASMEND
	;;#ASMSTART
	v_dot2_f32_f16 v27, v107, v139, v27
	;;#ASMEND
	ds_read_b128 v[100:103], v80 offset:96
	ds_read_b128 v[104:107], v80 offset:4704
	ds_read_b128 v[108:111], v81 offset:96
	ds_read_b128 v[112:115], v81 offset:224
	ds_read_b128 v[116:119], v81 offset:352
	ds_read_b128 v[120:123], v81 offset:480
	ds_read_b128 v[124:127], v81 offset:608
	ds_read_b128 v[128:131], v81 offset:736
	ds_read_b128 v[132:135], v81 offset:864
	ds_read_b128 v[136:139], v81 offset:992
	s_waitcnt lgkmcnt(7)
	;;#ASMSTART
	v_dot2_f32_f16 v30, v100, v108, v30
	;;#ASMEND
	;;#ASMSTART
	v_dot2_f32_f16 v30, v101, v109, v30
	;;#ASMEND
	;;#ASMSTART
	v_dot2_f32_f16 v30, v102, v110, v30
	;;#ASMEND
	;;#ASMSTART
	v_dot2_f32_f16 v30, v103, v111, v30
	;;#ASMEND
	s_waitcnt lgkmcnt(6)
	;;#ASMSTART
	v_dot2_f32_f16 v31, v100, v112, v31
	;;#ASMEND
	;;#ASMSTART
	v_dot2_f32_f16 v31, v101, v113, v31
	;;#ASMEND
	;;#ASMSTART
	v_dot2_f32_f16 v31, v102, v114, v31
	;;#ASMEND
	;;#ASMSTART
	v_dot2_f32_f16 v31, v103, v115, v31
	;;#ASMEND
	;; [unrolled: 13-line block ×8, first 2 shown]
	;;#ASMSTART
	v_dot2_f32_f16 v99, v104, v108, v99
	;;#ASMEND
	;;#ASMSTART
	v_dot2_f32_f16 v99, v105, v109, v99
	;;#ASMEND
	;; [unrolled: 3-line block ×32, first 2 shown]
	ds_read_b128 v[100:103], v80 offset:112
	ds_read_b128 v[104:107], v80 offset:4720
	;; [unrolled: 1-line block ×10, first 2 shown]
	s_waitcnt lgkmcnt(7)
	;;#ASMSTART
	v_dot2_f32_f16 v30, v100, v108, v30
	;;#ASMEND
	;;#ASMSTART
	v_dot2_f32_f16 v30, v101, v109, v30
	;;#ASMEND
	;;#ASMSTART
	v_dot2_f32_f16 v30, v102, v110, v30
	;;#ASMEND
	;;#ASMSTART
	v_dot2_f32_f16 v30, v103, v111, v30
	;;#ASMEND
	s_waitcnt lgkmcnt(6)
	;;#ASMSTART
	v_dot2_f32_f16 v31, v100, v112, v31
	;;#ASMEND
	;;#ASMSTART
	v_dot2_f32_f16 v31, v101, v113, v31
	;;#ASMEND
	;;#ASMSTART
	v_dot2_f32_f16 v31, v102, v114, v31
	;;#ASMEND
	;;#ASMSTART
	v_dot2_f32_f16 v31, v103, v115, v31
	;;#ASMEND
	;; [unrolled: 13-line block ×8, first 2 shown]
	;;#ASMSTART
	v_dot2_f32_f16 v99, v104, v108, v99
	;;#ASMEND
	;;#ASMSTART
	v_dot2_f32_f16 v99, v105, v109, v99
	;;#ASMEND
	;; [unrolled: 3-line block ×29, first 2 shown]
	v_add_u32_e32 v113, s27, v56
	;;#ASMSTART
	v_dot2_f32_f16 v27, v105, v137, v27
	;;#ASMEND
	v_add_u32_e32 v28, v113, v40
	;;#ASMSTART
	v_dot2_f32_f16 v27, v106, v138, v27
	;;#ASMEND
	v_ashrrev_i32_e32 v29, 31, v28
	v_mov_b32_e32 v100, 0
	;;#ASMSTART
	v_dot2_f32_f16 v27, v107, v139, v27
	;;#ASMEND
	s_cbranch_vccnz .LBB52_10
; %bb.9:                                ;   in Loop: Header=BB52_8 Depth=1
	v_lshlrev_b64 v[100:101], 1, v[28:29]
	v_mov_b32_e32 v102, s45
	v_add_co_u32_e32 v100, vcc, s44, v100
	v_addc_co_u32_e32 v101, vcc, v102, v101, vcc
	flat_load_ushort v100, v[100:101]
	s_waitcnt vmcnt(0) lgkmcnt(0)
	v_cvt_f32_f16_e32 v100, v100
	v_mul_f32_e32 v100, v68, v100
.LBB52_10:                              ;   in Loop: Header=BB52_8 Depth=1
	s_and_b64 vcc, exec, s[8:9]
	v_mov_b32_e32 v103, 0
	v_mov_b32_e32 v101, 0
	s_cbranch_vccnz .LBB52_12
; %bb.11:                               ;   in Loop: Header=BB52_8 Depth=1
	v_lshlrev_b64 v[28:29], 1, v[28:29]
	v_mov_b32_e32 v101, s19
	v_add_co_u32_e32 v28, vcc, s18, v28
	v_addc_co_u32_e32 v29, vcc, v101, v29, vcc
	flat_load_ushort v28, v[28:29]
	s_waitcnt vmcnt(0) lgkmcnt(0)
	v_cvt_f32_f16_e32 v28, v28
	v_mul_f32_e32 v101, v68, v28
.LBB52_12:                              ;   in Loop: Header=BB52_8 Depth=1
	v_and_b32_e32 v29, 0x60, v93
	v_add_f32_e32 v100, v30, v100
	v_add_u32_e32 v29, 32, v29
	v_xor_b32_e32 v30, 16, v93
	v_cmp_lt_i32_e32 vcc, v30, v29
	v_cndmask_b32_e32 v30, v93, v30, vcc
	v_lshlrev_b32_e32 v110, 2, v30
	v_add_f32_e32 v30, v99, v101
	v_add_f32_e32 v28, 0x40051340, v100
	;; [unrolled: 1-line block ×3, first 2 shown]
	v_max3_f32 v28, v14, v28, v99
	ds_bpermute_b32 v99, v110, v28
	v_xor_b32_e32 v101, 8, v93
	v_cmp_lt_i32_e32 vcc, v101, v29
	v_cndmask_b32_e32 v101, v93, v101, vcc
	v_lshlrev_b32_e32 v116, 2, v101
	s_waitcnt lgkmcnt(0)
	v_max_f32_e32 v99, v99, v99
	v_max_f32_e32 v28, v28, v99
	ds_bpermute_b32 v99, v116, v28
	v_xor_b32_e32 v101, 4, v93
	v_cmp_lt_i32_e32 vcc, v101, v29
	v_cndmask_b32_e32 v101, v93, v101, vcc
	v_lshlrev_b32_e32 v114, 2, v101
	s_waitcnt lgkmcnt(0)
	v_max_f32_e32 v99, v99, v99
	v_max_f32_e32 v28, v28, v99
	;; [unrolled: 8-line block ×4, first 2 shown]
	ds_bpermute_b32 v102, v108, v101
	v_add_u32_e32 v28, v113, v82
	s_and_b64 vcc, exec, s[8:9]
	v_ashrrev_i32_e32 v29, 31, v28
	s_cbranch_vccnz .LBB52_14
; %bb.13:                               ;   in Loop: Header=BB52_8 Depth=1
	v_lshlrev_b64 v[104:105], 1, v[28:29]
	v_mov_b32_e32 v99, s45
	v_add_co_u32_e32 v104, vcc, s44, v104
	v_addc_co_u32_e32 v105, vcc, v99, v105, vcc
	flat_load_ushort v99, v[104:105]
	s_waitcnt vmcnt(0) lgkmcnt(0)
	v_cvt_f32_f16_e32 v99, v99
	v_mul_f32_e32 v103, v68, v99
.LBB52_14:                              ;   in Loop: Header=BB52_8 Depth=1
	s_and_b64 vcc, exec, s[8:9]
	v_mov_b32_e32 v99, 0
	v_mov_b32_e32 v104, 0
	s_cbranch_vccnz .LBB52_16
; %bb.15:                               ;   in Loop: Header=BB52_8 Depth=1
	v_lshlrev_b64 v[28:29], 1, v[28:29]
	v_mov_b32_e32 v104, s19
	v_add_co_u32_e32 v28, vcc, s18, v28
	v_addc_co_u32_e32 v29, vcc, v104, v29, vcc
	flat_load_ushort v28, v[28:29]
	s_waitcnt vmcnt(0) lgkmcnt(0)
	v_cvt_f32_f16_e32 v28, v28
	v_mul_f32_e32 v104, v68, v28
.LBB52_16:                              ;   in Loop: Header=BB52_8 Depth=1
	v_add_f32_e32 v103, v31, v103
	v_add_f32_e32 v31, v98, v104
	v_add_f32_e32 v28, 0x40051340, v103
	v_add_f32_e32 v29, 0x40051340, v31
	v_max3_f32 v28, v15, v28, v29
	ds_bpermute_b32 v29, v110, v28
	s_and_b64 vcc, exec, s[8:9]
	s_waitcnt lgkmcnt(0)
	v_max_f32_e32 v29, v29, v29
	v_max_f32_e32 v28, v28, v29
	ds_bpermute_b32 v29, v116, v28
	s_waitcnt lgkmcnt(0)
	v_max_f32_e32 v29, v29, v29
	v_max_f32_e32 v28, v28, v29
	ds_bpermute_b32 v29, v114, v28
	s_waitcnt lgkmcnt(0)
	v_max_f32_e32 v29, v29, v29
	v_max_f32_e32 v28, v28, v29
	ds_bpermute_b32 v29, v111, v28
	s_waitcnt lgkmcnt(0)
	v_max_f32_e32 v29, v29, v29
	v_max_f32_e32 v106, v28, v29
	ds_bpermute_b32 v107, v108, v106
	v_add_u32_e32 v28, v113, v83
	v_ashrrev_i32_e32 v29, 31, v28
	s_cbranch_vccnz .LBB52_18
; %bb.17:                               ;   in Loop: Header=BB52_8 Depth=1
	v_lshlrev_b64 v[98:99], 1, v[28:29]
	v_mov_b32_e32 v104, s45
	v_add_co_u32_e32 v98, vcc, s44, v98
	v_addc_co_u32_e32 v99, vcc, v104, v99, vcc
	flat_load_ushort v98, v[98:99]
	s_waitcnt vmcnt(0) lgkmcnt(0)
	v_cvt_f32_f16_e32 v98, v98
	v_mul_f32_e32 v99, v68, v98
.LBB52_18:                              ;   in Loop: Header=BB52_8 Depth=1
	s_and_b64 vcc, exec, s[8:9]
	v_mov_b32_e32 v98, 0
	v_mov_b32_e32 v104, 0
	s_cbranch_vccnz .LBB52_20
; %bb.19:                               ;   in Loop: Header=BB52_8 Depth=1
	v_lshlrev_b64 v[28:29], 1, v[28:29]
	v_mov_b32_e32 v104, s19
	v_add_co_u32_e32 v28, vcc, s18, v28
	v_addc_co_u32_e32 v29, vcc, v104, v29, vcc
	flat_load_ushort v28, v[28:29]
	s_waitcnt vmcnt(0) lgkmcnt(0)
	v_cvt_f32_f16_e32 v28, v28
	v_mul_f32_e32 v104, v68, v28
.LBB52_20:                              ;   in Loop: Header=BB52_8 Depth=1
	v_add_f32_e32 v109, v36, v99
	v_add_f32_e32 v36, v38, v104
	v_add_f32_e32 v28, 0x40051340, v109
	v_add_f32_e32 v29, 0x40051340, v36
	v_max3_f32 v28, v12, v28, v29
	ds_bpermute_b32 v29, v110, v28
	s_and_b64 vcc, exec, s[8:9]
	s_waitcnt lgkmcnt(0)
	v_max_f32_e32 v29, v29, v29
	v_max_f32_e32 v28, v28, v29
	ds_bpermute_b32 v29, v116, v28
	s_waitcnt lgkmcnt(0)
	v_max_f32_e32 v29, v29, v29
	v_max_f32_e32 v28, v28, v29
	ds_bpermute_b32 v29, v114, v28
	s_waitcnt lgkmcnt(0)
	v_max_f32_e32 v29, v29, v29
	v_max_f32_e32 v28, v28, v29
	ds_bpermute_b32 v29, v111, v28
	s_waitcnt lgkmcnt(0)
	v_max_f32_e32 v29, v29, v29
	v_max_f32_e32 v112, v28, v29
	ds_bpermute_b32 v115, v108, v112
	v_add_u32_e32 v28, v113, v84
	;; [unrolled: 50-line block ×4, first 2 shown]
	v_ashrrev_i32_e32 v29, 31, v28
	s_cbranch_vccnz .LBB52_30
; %bb.29:                               ;   in Loop: Header=BB52_8 Depth=1
	v_lshlrev_b64 v[104:105], 1, v[28:29]
	v_mov_b32_e32 v33, s45
	v_add_co_u32_e32 v104, vcc, s44, v104
	v_addc_co_u32_e32 v105, vcc, v33, v105, vcc
	flat_load_ushort v33, v[104:105]
	s_waitcnt vmcnt(0) lgkmcnt(0)
	v_cvt_f32_f16_e32 v33, v33
	v_mul_f32_e32 v104, v68, v33
.LBB52_30:                              ;   in Loop: Header=BB52_8 Depth=1
	s_and_b64 vcc, exec, s[8:9]
	v_mov_b32_e32 v120, 0
	v_mov_b32_e32 v33, 0
	s_cbranch_vccnz .LBB52_32
; %bb.31:                               ;   in Loop: Header=BB52_8 Depth=1
	v_lshlrev_b64 v[28:29], 1, v[28:29]
	v_mov_b32_e32 v33, s19
	v_add_co_u32_e32 v28, vcc, s18, v28
	v_addc_co_u32_e32 v29, vcc, v33, v29, vcc
	flat_load_ushort v28, v[28:29]
	s_waitcnt vmcnt(0) lgkmcnt(0)
	v_cvt_f32_f16_e32 v28, v28
	v_mul_f32_e32 v33, v68, v28
.LBB52_32:                              ;   in Loop: Header=BB52_8 Depth=1
	v_add_f32_e32 v39, v32, v104
	v_add_f32_e32 v35, v35, v33
	;; [unrolled: 1-line block ×4, first 2 shown]
	v_max3_f32 v28, v11, v28, v29
	ds_bpermute_b32 v29, v110, v28
	v_add_u32_e32 v32, v113, v87
	s_and_b64 vcc, exec, s[8:9]
	v_ashrrev_i32_e32 v33, 31, v32
	s_waitcnt lgkmcnt(0)
	v_max_f32_e32 v29, v29, v29
	v_max_f32_e32 v28, v28, v29
	ds_bpermute_b32 v29, v116, v28
	s_waitcnt lgkmcnt(0)
	v_max_f32_e32 v29, v29, v29
	v_max_f32_e32 v28, v28, v29
	ds_bpermute_b32 v29, v114, v28
	;; [unrolled: 4-line block ×4, first 2 shown]
	s_cbranch_vccnz .LBB52_34
; %bb.33:                               ;   in Loop: Header=BB52_8 Depth=1
	v_lshlrev_b64 v[28:29], 1, v[32:33]
	v_mov_b32_e32 v120, s45
	v_add_co_u32_e32 v28, vcc, s44, v28
	v_addc_co_u32_e32 v29, vcc, v120, v29, vcc
	flat_load_ushort v28, v[28:29]
	s_waitcnt vmcnt(0) lgkmcnt(0)
	v_cvt_f32_f16_e32 v28, v28
	v_mul_f32_e32 v120, v68, v28
.LBB52_34:                              ;   in Loop: Header=BB52_8 Depth=1
	s_and_b64 vcc, exec, s[8:9]
	v_mov_b32_e32 v28, 0
	v_mov_b32_e32 v29, 0
	s_cbranch_vccnz .LBB52_36
; %bb.35:                               ;   in Loop: Header=BB52_8 Depth=1
	v_lshlrev_b64 v[32:33], 1, v[32:33]
	v_mov_b32_e32 v29, s19
	v_add_co_u32_e32 v32, vcc, s18, v32
	v_addc_co_u32_e32 v33, vcc, v29, v33, vcc
	flat_load_ushort v29, v[32:33]
	s_waitcnt vmcnt(0) lgkmcnt(0)
	v_cvt_f32_f16_e32 v29, v29
	v_mul_f32_e32 v29, v68, v29
.LBB52_36:                              ;   in Loop: Header=BB52_8 Depth=1
	v_add_f32_e32 v120, v96, v120
	v_add_f32_e32 v96, v97, v29
	;; [unrolled: 1-line block ×4, first 2 shown]
	v_max3_f32 v29, v16, v32, v29
	ds_bpermute_b32 v32, v110, v29
	s_and_b64 vcc, exec, s[8:9]
	s_waitcnt lgkmcnt(0)
	v_max_f32_e32 v32, v32, v32
	v_max_f32_e32 v29, v29, v32
	ds_bpermute_b32 v32, v116, v29
	s_waitcnt lgkmcnt(0)
	v_max_f32_e32 v32, v32, v32
	v_max_f32_e32 v29, v29, v32
	ds_bpermute_b32 v32, v114, v29
	s_waitcnt lgkmcnt(0)
	v_max_f32_e32 v32, v32, v32
	v_max_f32_e32 v29, v29, v32
	ds_bpermute_b32 v32, v111, v29
	s_waitcnt lgkmcnt(0)
	v_max_f32_e32 v32, v32, v32
	v_max_f32_e32 v97, v29, v32
	ds_bpermute_b32 v121, v108, v97
	v_add_u32_e32 v32, v113, v88
	v_ashrrev_i32_e32 v33, 31, v32
	s_cbranch_vccnz .LBB52_38
; %bb.37:                               ;   in Loop: Header=BB52_8 Depth=1
	v_lshlrev_b64 v[28:29], 1, v[32:33]
	v_mov_b32_e32 v113, s45
	v_add_co_u32_e32 v28, vcc, s44, v28
	v_addc_co_u32_e32 v29, vcc, v113, v29, vcc
	flat_load_ushort v28, v[28:29]
	s_waitcnt vmcnt(0) lgkmcnt(0)
	v_cvt_f32_f16_e32 v28, v28
	v_mul_f32_e32 v28, v68, v28
.LBB52_38:                              ;   in Loop: Header=BB52_8 Depth=1
	s_and_b64 vcc, exec, s[8:9]
	s_cbranch_vccnz .LBB52_40
; %bb.39:                               ;   in Loop: Header=BB52_8 Depth=1
	v_lshlrev_b64 v[32:33], 1, v[32:33]
	v_mov_b32_e32 v29, s19
	v_add_co_u32_e32 v32, vcc, s18, v32
	v_addc_co_u32_e32 v33, vcc, v29, v33, vcc
	flat_load_ushort v29, v[32:33]
	s_waitcnt vmcnt(0) lgkmcnt(0)
	v_cvt_f32_f16_e32 v29, v29
	v_mul_f32_e32 v29, v68, v29
	s_branch .LBB52_41
.LBB52_40:                              ;   in Loop: Header=BB52_8 Depth=1
	v_mov_b32_e32 v29, 0
.LBB52_41:                              ;   in Loop: Header=BB52_8 Depth=1
	v_pk_add_f32 v[26:27], v[26:27], v[28:29]
	v_add_f32_e32 v28, 0x40051340, v26
	v_add_f32_e32 v29, 0x40051340, v27
	v_max3_f32 v28, v17, v28, v29
	ds_bpermute_b32 v29, v110, v28
	s_waitcnt lgkmcnt(1)
	v_max_f32_e32 v32, v121, v121
	v_max_f32_e32 v33, v97, v97
	v_max_f32_e32 v32, v33, v32
	v_sub_f32_e32 v97, v120, v32
	s_waitcnt lgkmcnt(0)
	v_max_f32_e32 v29, v29, v29
	v_max_f32_e32 v28, v28, v29
	ds_bpermute_b32 v29, v116, v28
	v_mul_f32_e32 v33, 0x3fb8aa3b, v97
	v_fma_f32 v110, v97, s20, -v33
	v_rndne_f32_e32 v113, v33
	v_fmac_f32_e32 v110, 0x32a5705f, v97
	s_waitcnt lgkmcnt(0)
	v_max_f32_e32 v29, v29, v29
	v_max_f32_e32 v28, v28, v29
	ds_bpermute_b32 v29, v114, v28
	v_sub_f32_e32 v33, v33, v113
	v_add_f32_e32 v33, v33, v110
	v_exp_f32_e32 v33, v33
	v_cmp_ngt_f32_e32 vcc, s21, v97
	s_waitcnt lgkmcnt(0)
	v_max_f32_e32 v29, v29, v29
	v_max_f32_e32 v28, v28, v29
	ds_bpermute_b32 v29, v111, v28
	v_cvt_i32_f32_e32 v111, v113
	s_mul_hi_i32 s43, s27, s10
	s_mul_i32 s42, s27, s10
	s_lshl_b64 s[42:43], s[42:43], 2
	s_waitcnt lgkmcnt(0)
	v_max_f32_e32 v29, v29, v29
	v_max_f32_e32 v28, v28, v29
	ds_bpermute_b32 v29, v108, v28
	v_sub_f32_e32 v108, v96, v32
	v_ldexp_f32 v33, v33, v111
	v_cndmask_b32_e32 v96, 0, v33, vcc
	v_cmp_nlt_f32_e32 vcc, s41, v97
	s_waitcnt lgkmcnt(0)
	v_max_f32_e32 v29, v29, v29
	v_max_f32_e32 v33, v28, v29
	v_mul_f32_e32 v28, 0x3fb8aa3b, v108
	v_fma_f32 v29, v108, s20, -v28
	v_rndne_f32_e32 v110, v28
	v_fmac_f32_e32 v29, 0x32a5705f, v108
	v_sub_f32_e32 v28, v28, v110
	v_add_f32_e32 v28, v28, v29
	v_exp_f32_e32 v29, v28
	v_cvt_i32_f32_e32 v110, v110
	v_cndmask_b32_e32 v28, v95, v96, vcc
	v_cmp_ngt_f32_e32 vcc, s21, v108
	v_pk_add_f32 v[16:17], v[16:17], v[32:33] neg_lo:[0,1] neg_hi:[0,1]
	v_ldexp_f32 v29, v29, v110
	v_cndmask_b32_e32 v29, 0, v29, vcc
	v_cmp_nlt_f32_e32 vcc, s41, v108
	v_cndmask_b32_e32 v110, v95, v29, vcc
	v_mul_f32_e32 v29, 0x3fb8aa3b, v17
	v_fma_f32 v108, v17, s20, -v29
	v_rndne_f32_e32 v111, v29
	v_fmac_f32_e32 v108, 0x32a5705f, v17
	v_sub_f32_e32 v29, v29, v111
	v_add_f32_e32 v29, v29, v108
	v_cvt_i32_f32_e32 v108, v111
	v_mul_f32_e32 v111, 0x3fb8aa3b, v16
	v_fma_f32 v113, v16, s20, -v111
	v_rndne_f32_e32 v114, v111
	v_fmac_f32_e32 v113, 0x32a5705f, v16
	v_sub_f32_e32 v111, v111, v114
	v_exp_f32_e32 v29, v29
	v_add_f32_e32 v111, v111, v113
	v_exp_f32_e32 v111, v111
	v_cvt_i32_f32_e32 v113, v114
	v_ldexp_f32 v29, v29, v108
	v_cmp_ngt_f32_e32 vcc, s21, v17
	v_cndmask_b32_e32 v29, 0, v29, vcc
	v_ldexp_f32 v108, v111, v113
	v_cmp_ngt_f32_e32 vcc, s21, v16
	v_cndmask_b32_e32 v108, 0, v108, vcc
	v_cmp_nlt_f32_e32 vcc, s41, v16
	v_mov_b32_e32 v16, v33
	v_cndmask_b32_e32 v120, v95, v108, vcc
	v_pk_add_f32 v[26:27], v[26:27], v[16:17] op_sel_hi:[1,0] neg_lo:[0,1] neg_hi:[0,1]
	v_cvt_f16_f32_e32 v108, v120
	v_mul_f32_e32 v16, 0x3fb8aa3b, v27
	v_fma_f32 v111, v27, s20, -v16
	v_rndne_f32_e32 v113, v16
	v_fmac_f32_e32 v111, 0x32a5705f, v27
	v_sub_f32_e32 v16, v16, v113
	v_cmp_nlt_f32_e32 vcc, s41, v17
	v_add_f32_e32 v16, v16, v111
	v_cndmask_b32_e32 v121, v95, v29, vcc
	v_mul_f32_e32 v29, 0x3fb8aa3b, v26
	v_exp_f32_e32 v111, v16
	v_pk_mul_f16 v16, v108, v66 op_sel_hi:[0,1]
	v_fma_f32 v66, v26, s20, -v29
	v_rndne_f32_e32 v108, v29
	v_cvt_i32_f32_e32 v113, v113
	v_fmac_f32_e32 v66, 0x32a5705f, v26
	v_sub_f32_e32 v29, v29, v108
	v_add_f32_e32 v29, v29, v66
	v_exp_f32_e32 v29, v29
	v_cvt_i32_f32_e32 v66, v108
	v_ldexp_f32 v17, v111, v113
	v_cmp_ngt_f32_e32 vcc, s21, v27
	v_cndmask_b32_e32 v17, 0, v17, vcc
	v_cmp_nlt_f32_e32 vcc, s41, v27
	v_cndmask_b32_e32 v111, v95, v17, vcc
	v_ldexp_f32 v17, v29, v66
	v_cmp_ngt_f32_e32 vcc, s21, v26
	v_cndmask_b32_e32 v17, 0, v17, vcc
	v_cmp_nlt_f32_e32 vcc, s41, v26
	v_cndmask_b32_e32 v29, v95, v17, vcc
	v_cvt_f16_f32_e32 v17, v121
	v_pk_add_f32 v[26:27], v[28:29], v[110:111]
	v_pk_fma_f32 v[24:25], v[24:25], v[120:121], v[26:27]
	v_max_f32_e32 v26, v115, v115
	v_max_f32_e32 v27, v112, v112
	v_cvt_f16_f32_e32 v96, v28
	v_max_f32_e32 v28, v27, v26
	v_max_f32_e32 v26, v119, v119
	;; [unrolled: 1-line block ×3, first 2 shown]
	v_cvt_f16_f32_e32 v66, v29
	v_max_f32_e32 v29, v27, v26
	v_max_f32_e32 v26, v107, v107
	;; [unrolled: 1-line block ×3, first 2 shown]
	v_pk_mul_f16 v17, v17, v63 op_sel_hi:[0,1]
	v_max_f32_e32 v27, v27, v26
	v_max_f32_e32 v26, v102, v102
	;; [unrolled: 1-line block ×4, first 2 shown]
	v_sub_f32_e32 v63, v109, v28
	v_mul_f32_e32 v101, 0x3fb8aa3b, v63
	v_fma_f32 v102, v63, s20, -v101
	v_rndne_f32_e32 v106, v101
	v_fmac_f32_e32 v102, 0x32a5705f, v63
	v_sub_f32_e32 v101, v101, v106
	v_add_f32_e32 v101, v101, v102
	v_exp_f32_e32 v101, v101
	v_cvt_i32_f32_e32 v102, v106
	v_sub_f32_e32 v107, v117, v29
	v_sub_f32_e32 v106, v100, v26
	;; [unrolled: 1-line block ×3, first 2 shown]
	v_ldexp_f32 v100, v101, v102
	v_mul_f32_e32 v101, 0x3fb8aa3b, v107
	v_fma_f32 v102, v107, s20, -v101
	v_rndne_f32_e32 v109, v101
	v_fmac_f32_e32 v102, 0x32a5705f, v107
	v_sub_f32_e32 v101, v101, v109
	v_add_f32_e32 v101, v101, v102
	v_exp_f32_e32 v101, v101
	v_cvt_i32_f32_e32 v102, v109
	v_cmp_ngt_f32_e32 vcc, s21, v63
	v_cndmask_b32_e32 v100, 0, v100, vcc
	v_cmp_nlt_f32_e32 vcc, s41, v63
	v_ldexp_f32 v63, v101, v102
	v_mul_f32_e32 v101, 0x3fb8aa3b, v103
	v_fma_f32 v102, v103, s20, -v101
	v_rndne_f32_e32 v109, v101
	v_fmac_f32_e32 v102, 0x32a5705f, v103
	v_sub_f32_e32 v101, v101, v109
	v_add_f32_e32 v101, v101, v102
	v_exp_f32_e32 v102, v101
	v_cvt_i32_f32_e32 v109, v109
	v_cndmask_b32_e32 v100, v95, v100, vcc
	v_cmp_ngt_f32_e32 vcc, s21, v107
	v_cndmask_b32_e32 v63, 0, v63, vcc
	v_cmp_nlt_f32_e32 vcc, s41, v107
	v_cndmask_b32_e32 v101, v95, v63, vcc
	v_ldexp_f32 v63, v102, v109
	v_mul_f32_e32 v102, 0x3fb8aa3b, v106
	v_fma_f32 v107, v106, s20, -v102
	v_rndne_f32_e32 v109, v102
	v_fmac_f32_e32 v107, 0x32a5705f, v106
	v_sub_f32_e32 v102, v102, v109
	v_add_f32_e32 v102, v102, v107
	v_exp_f32_e32 v102, v102
	v_cvt_i32_f32_e32 v107, v109
	v_cmp_ngt_f32_e32 vcc, s21, v103
	v_cndmask_b32_e32 v63, 0, v63, vcc
	v_cmp_nlt_f32_e32 vcc, s41, v103
	v_pk_add_f32 v[30:31], v[30:31], v[26:27] neg_lo:[0,1] neg_hi:[0,1]
	v_cndmask_b32_e32 v103, v95, v63, vcc
	v_ldexp_f32 v63, v102, v107
	v_mul_f32_e32 v102, 0x3fb8aa3b, v31
	v_fma_f32 v107, v31, s20, -v102
	v_rndne_f32_e32 v109, v102
	v_fmac_f32_e32 v107, 0x32a5705f, v31
	v_sub_f32_e32 v102, v102, v109
	v_add_f32_e32 v102, v102, v107
	v_exp_f32_e32 v107, v102
	v_cvt_i32_f32_e32 v109, v109
	v_cmp_ngt_f32_e32 vcc, s21, v106
	v_cndmask_b32_e32 v63, 0, v63, vcc
	v_cmp_nlt_f32_e32 vcc, s41, v106
	v_mul_f32_e32 v106, 0x3fb8aa3b, v30
	v_cndmask_b32_e32 v102, v95, v63, vcc
	v_ldexp_f32 v63, v107, v109
	v_fma_f32 v107, v30, s20, -v106
	v_rndne_f32_e32 v109, v106
	v_fmac_f32_e32 v107, 0x32a5705f, v30
	v_sub_f32_e32 v106, v106, v109
	v_add_f32_e32 v106, v106, v107
	v_exp_f32_e32 v106, v106
	v_cvt_i32_f32_e32 v107, v109
	v_cmp_ngt_f32_e32 vcc, s21, v31
	v_cndmask_b32_e32 v63, 0, v63, vcc
	v_cmp_nlt_f32_e32 vcc, s41, v31
	v_cndmask_b32_e32 v31, v95, v63, vcc
	v_ldexp_f32 v63, v106, v107
	v_cmp_ngt_f32_e32 vcc, s21, v30
	v_cndmask_b32_e32 v63, 0, v63, vcc
	v_cmp_nlt_f32_e32 vcc, s41, v30
	v_cndmask_b32_e32 v30, v95, v63, vcc
	v_pk_add_f32 v[14:15], v[14:15], v[26:27] neg_lo:[0,1] neg_hi:[0,1]
	v_cvt_f16_f32_e32 v109, v30
	v_pk_add_f32 v[106:107], v[102:103], v[30:31]
	v_mul_f32_e32 v30, 0x3fb8aa3b, v15
	v_cvt_f16_f32_e32 v97, v110
	v_fma_f32 v63, v15, s20, -v30
	v_rndne_f32_e32 v110, v30
	v_fmac_f32_e32 v63, 0x32a5705f, v15
	v_sub_f32_e32 v30, v30, v110
	v_add_f32_e32 v30, v30, v63
	v_cvt_i32_f32_e32 v63, v110
	v_mul_f32_e32 v110, 0x3fb8aa3b, v14
	v_cvt_f16_f32_e32 v108, v111
	v_fma_f32 v111, v14, s20, -v110
	v_rndne_f32_e32 v112, v110
	v_fmac_f32_e32 v111, 0x32a5705f, v14
	v_sub_f32_e32 v110, v110, v112
	v_exp_f32_e32 v30, v30
	v_add_f32_e32 v110, v110, v111
	v_exp_f32_e32 v110, v110
	v_cvt_i32_f32_e32 v111, v112
	v_ldexp_f32 v30, v30, v63
	v_cmp_ngt_f32_e32 vcc, s21, v15
	v_cndmask_b32_e32 v30, 0, v30, vcc
	v_ldexp_f32 v63, v110, v111
	v_cmp_ngt_f32_e32 vcc, s21, v14
	v_cndmask_b32_e32 v63, 0, v63, vcc
	v_cmp_nlt_f32_e32 vcc, s41, v14
	v_cndmask_b32_e32 v14, v95, v63, vcc
	v_cmp_nlt_f32_e32 vcc, s41, v15
	v_cndmask_b32_e32 v15, v95, v30, vcc
	v_cvt_f16_f32_e32 v30, v15
	v_cvt_f16_f32_e32 v63, v14
	v_pk_fma_f32 v[18:19], v[18:19], v[14:15], v[106:107]
	v_pk_add_f32 v[14:15], v[36:37], v[28:29] neg_lo:[0,1] neg_hi:[0,1]
	v_pk_mul_f16 v69, v30, v69 op_sel_hi:[0,1]
	v_mul_f32_e32 v30, 0x3fb8aa3b, v15
	v_cvt_f16_f32_e32 v106, v31
	v_fma_f32 v31, v15, s20, -v30
	v_rndne_f32_e32 v36, v30
	v_fmac_f32_e32 v31, 0x32a5705f, v15
	v_sub_f32_e32 v30, v30, v36
	v_add_f32_e32 v30, v30, v31
	v_exp_f32_e32 v30, v30
	v_cvt_i32_f32_e32 v31, v36
	v_cmp_ngt_f32_e32 vcc, s21, v15
	v_pk_add_f32 v[12:13], v[12:13], v[28:29] neg_lo:[0,1] neg_hi:[0,1]
	v_pk_mul_f16 v70, v63, v70 op_sel_hi:[0,1]
	v_ldexp_f32 v30, v30, v31
	v_mul_f32_e32 v31, 0x3fb8aa3b, v14
	v_fma_f32 v36, v14, s20, -v31
	v_rndne_f32_e32 v37, v31
	v_fmac_f32_e32 v36, 0x32a5705f, v14
	v_sub_f32_e32 v31, v31, v37
	v_add_f32_e32 v31, v31, v36
	v_exp_f32_e32 v31, v31
	v_cvt_i32_f32_e32 v36, v37
	v_cndmask_b32_e32 v30, 0, v30, vcc
	v_cmp_nlt_f32_e32 vcc, s41, v15
	v_cndmask_b32_e32 v15, v95, v30, vcc
	v_ldexp_f32 v30, v31, v36
	v_mul_f32_e32 v31, 0x3fb8aa3b, v13
	v_fma_f32 v36, v13, s20, -v31
	v_rndne_f32_e32 v37, v31
	v_fmac_f32_e32 v36, 0x32a5705f, v13
	v_sub_f32_e32 v31, v31, v37
	v_add_f32_e32 v31, v31, v36
	v_exp_f32_e32 v36, v31
	v_cvt_i32_f32_e32 v37, v37
	v_cmp_ngt_f32_e32 vcc, s21, v14
	v_cndmask_b32_e32 v30, 0, v30, vcc
	v_cmp_nlt_f32_e32 vcc, s41, v14
	v_cndmask_b32_e32 v14, v95, v30, vcc
	v_cvt_f16_f32_e32 v113, v14
	v_pk_add_f32 v[30:31], v[100:101], v[14:15]
	v_ldexp_f32 v14, v36, v37
	v_mul_f32_e32 v36, 0x3fb8aa3b, v12
	v_fma_f32 v37, v12, s20, -v36
	v_rndne_f32_e32 v63, v36
	v_fmac_f32_e32 v37, 0x32a5705f, v12
	v_sub_f32_e32 v36, v36, v63
	v_add_f32_e32 v36, v36, v37
	v_exp_f32_e32 v36, v36
	v_cvt_i32_f32_e32 v37, v63
	v_cmp_ngt_f32_e32 vcc, s21, v13
	v_cndmask_b32_e32 v14, 0, v14, vcc
	v_cmp_nlt_f32_e32 vcc, s41, v13
	v_cndmask_b32_e32 v13, v95, v14, vcc
	v_ldexp_f32 v14, v36, v37
	v_cmp_ngt_f32_e32 vcc, s21, v12
	v_cndmask_b32_e32 v14, 0, v14, vcc
	v_cmp_nlt_f32_e32 vcc, s41, v12
	v_cndmask_b32_e32 v12, v95, v14, vcc
	v_pk_fma_f32 v[20:21], v[20:21], v[12:13], v[30:31]
	v_max_f32_e32 v14, v105, v105
	v_max_f32_e32 v30, v104, v104
	;; [unrolled: 1-line block ×6, first 2 shown]
	v_pk_add_f32 v[98:99], v[38:39], v[30:31] neg_lo:[0,1] neg_hi:[0,1]
	v_mul_f32_e32 v14, 0x3fb8aa3b, v99
	v_fma_f32 v36, v99, s20, -v14
	v_rndne_f32_e32 v37, v14
	v_fmac_f32_e32 v36, 0x32a5705f, v99
	v_sub_f32_e32 v14, v14, v37
	v_add_f32_e32 v14, v14, v36
	v_cvt_f16_f32_e32 v12, v12
	v_exp_f32_e32 v14, v14
	v_cvt_i32_f32_e32 v36, v37
	v_cvt_f16_f32_e32 v13, v13
	v_pk_mul_f16 v67, v12, v67 op_sel_hi:[0,1]
	v_cmp_ngt_f32_e32 vcc, s21, v99
	v_ldexp_f32 v12, v14, v36
	v_cndmask_b32_e32 v12, 0, v12, vcc
	v_cmp_nlt_f32_e32 vcc, s41, v99
	v_cndmask_b32_e32 v99, v95, v12, vcc
	v_mul_f32_e32 v12, 0x3fb8aa3b, v98
	v_pk_mul_f16 v64, v13, v64 op_sel_hi:[0,1]
	v_fma_f32 v13, v98, s20, -v12
	v_rndne_f32_e32 v14, v12
	v_fmac_f32_e32 v13, 0x32a5705f, v98
	v_sub_f32_e32 v12, v12, v14
	s_add_u32 s42, s23, s42
	v_add_f32_e32 v12, v12, v13
	s_addc_u32 s43, s26, s43
	v_exp_f32_e32 v63, v12
	v_mov_b32_e32 v12, s43
	v_add_co_u32_e32 v13, vcc, s42, v6
	v_addc_co_u32_e32 v12, vcc, v12, v7, vcc
	v_cvt_f16_f32_e32 v112, v100
	v_add_co_u32_e32 v100, vcc, v13, v92
	v_cvt_f16_f32_e32 v111, v101
	v_addc_co_u32_e32 v101, vcc, 0, v12, vcc
	v_mov_b32_e32 v12, s43
	v_add_co_u32_e32 v13, vcc, s42, v8
	v_addc_co_u32_e32 v12, vcc, v12, v9, vcc
	v_cvt_f16_f32_e32 v110, v102
	v_add_co_u32_e32 v102, vcc, v13, v92
	s_barrier
	v_cvt_f16_f32_e32 v107, v103
	v_cvt_f16_f32_e32 v104, v15
	v_cvt_i32_f32_e32 v105, v14
	v_addc_co_u32_e32 v103, vcc, 0, v12, vcc
	global_load_dwordx4 v[12:15], v[100:101], off
	global_load_dwordx4 v[36:39], v[102:103], off
	v_pk_add_f32 v[34:35], v[34:35], v[30:31] neg_lo:[0,1] neg_hi:[0,1]
	v_mul_f32_e32 v100, 0x3fb8aa3b, v35
	v_fma_f32 v101, v35, s20, -v100
	v_rndne_f32_e32 v102, v100
	v_fmac_f32_e32 v101, 0x32a5705f, v35
	v_sub_f32_e32 v100, v100, v102
	v_add_f32_e32 v100, v100, v101
	v_exp_f32_e32 v100, v100
	v_cvt_i32_f32_e32 v101, v102
	v_ldexp_f32 v63, v63, v105
	v_cmp_ngt_f32_e32 vcc, s21, v98
	v_cndmask_b32_e32 v63, 0, v63, vcc
	v_cmp_nlt_f32_e32 vcc, s41, v98
	v_cndmask_b32_e32 v98, v95, v63, vcc
	v_ldexp_f32 v63, v100, v101
	v_mul_f32_e32 v100, 0x3fb8aa3b, v34
	v_fma_f32 v101, v34, s20, -v100
	v_rndne_f32_e32 v105, v100
	v_fmac_f32_e32 v101, 0x32a5705f, v34
	v_sub_f32_e32 v100, v100, v105
	v_add_f32_e32 v100, v100, v101
	v_exp_f32_e32 v100, v100
	v_cvt_i32_f32_e32 v101, v105
	v_cmp_ngt_f32_e32 vcc, s21, v35
	v_cndmask_b32_e32 v63, 0, v63, vcc
	v_cmp_nlt_f32_e32 vcc, s41, v35
	v_pk_add_f32 v[10:11], v[10:11], v[30:31] neg_lo:[0,1] neg_hi:[0,1]
	v_cndmask_b32_e32 v35, v95, v63, vcc
	v_ldexp_f32 v63, v100, v101
	v_mul_f32_e32 v100, 0x3fb8aa3b, v11
	v_fma_f32 v101, v11, s20, -v100
	v_rndne_f32_e32 v105, v100
	v_fmac_f32_e32 v101, 0x32a5705f, v11
	v_sub_f32_e32 v100, v100, v105
	v_add_f32_e32 v100, v100, v101
	v_cvt_i32_f32_e32 v101, v105
	v_mul_f32_e32 v105, 0x3fb8aa3b, v10
	v_fma_f32 v114, v10, s20, -v105
	v_rndne_f32_e32 v115, v105
	v_fmac_f32_e32 v114, 0x32a5705f, v10
	v_sub_f32_e32 v105, v105, v115
	v_add_f32_e32 v105, v105, v114
	v_exp_f32_e32 v100, v100
	v_exp_f32_e32 v105, v105
	v_cvt_i32_f32_e32 v114, v115
	v_cmp_ngt_f32_e32 vcc, s21, v34
	v_cndmask_b32_e32 v63, 0, v63, vcc
	v_cmp_nlt_f32_e32 vcc, s41, v34
	v_cndmask_b32_e32 v34, v95, v63, vcc
	v_ldexp_f32 v63, v100, v101
	v_ldexp_f32 v100, v105, v114
	v_cmp_ngt_f32_e32 vcc, s21, v10
	v_cndmask_b32_e32 v100, 0, v100, vcc
	v_cmp_nlt_f32_e32 vcc, s41, v10
	v_cndmask_b32_e32 v10, v95, v100, vcc
	v_cvt_f16_f32_e32 v100, v10
	v_cmp_ngt_f32_e32 vcc, s21, v11
	v_cvt_f16_f32_e32 v102, v99
	v_cvt_f16_f32_e32 v103, v98
	v_cndmask_b32_e32 v63, 0, v63, vcc
	v_cmp_nlt_f32_e32 vcc, s41, v11
	v_cvt_f16_f32_e32 v115, v34
	v_cndmask_b32_e32 v11, v95, v63, vcc
	v_pk_mul_f16 v105, v100, v62 op_sel_hi:[0,1]
	v_pk_add_f32 v[62:63], v[98:99], v[34:35]
	v_cvt_f16_f32_e32 v34, v35
	v_pack_b32_f16 v101, v96, v66
	v_pack_b32_f16 v100, v103, v102
	;; [unrolled: 1-line block ×4, first 2 shown]
	ds_write_b128 v94, v[98:101]
	v_pack_b32_f16 v99, v97, v108
	v_pack_b32_f16 v98, v115, v34
	;; [unrolled: 1-line block ×4, first 2 shown]
	v_pk_fma_f32 v[22:23], v[22:23], v[10:11], v[62:63]
	v_cvt_f16_f32_e32 v35, v11
	ds_write_b128 v94, v[96:99] offset:512
	s_waitcnt vmcnt(1)
	ds_write_b128 v90, v[12:15]
	s_waitcnt vmcnt(0)
	ds_write_b128 v91, v[36:39]
	s_waitcnt lgkmcnt(0)
	s_barrier
	ds_read2_b32 v[14:15], v59 offset1:32
	ds_read_b128 v[10:13], v89
	v_pk_mul_f16 v38, v35, v61 op_sel_hi:[0,1]
	ds_read_b128 v[34:37], v89 offset:16
	ds_read_b128 v[96:99], v89 offset:32
	;; [unrolled: 1-line block ×3, first 2 shown]
	s_waitcnt lgkmcnt(3)
	v_pk_fma_f16 v62, v14, v12, v105 op_sel_hi:[1,0,1]
	v_pk_fma_f16 v12, v14, v12, v38 op_sel:[0,1,0]
	v_pk_fma_f16 v38, v14, v13, v16 op_sel_hi:[1,0,1]
	v_pk_fma_f16 v13, v14, v13, v17 op_sel:[0,1,0]
	ds_read2_b32 v[16:17], v59 offset0:64 offset1:96
	v_pk_fma_f16 v39, v14, v10, v70 op_sel_hi:[1,0,1]
	v_pk_fma_f16 v10, v14, v10, v69 op_sel:[0,1,0]
	v_pk_fma_f16 v61, v14, v11, v67 op_sel_hi:[1,0,1]
	v_pk_fma_f16 v11, v14, v11, v64 op_sel:[0,1,0]
	s_waitcnt lgkmcnt(3)
	v_pk_fma_f16 v14, v15, v34, v39 op_sel_hi:[1,0,1]
	v_pk_fma_f16 v10, v15, v34, v10 op_sel:[0,1,0]
	v_pk_fma_f16 v34, v15, v35, v61 op_sel_hi:[1,0,1]
	v_pk_fma_f16 v11, v15, v35, v11 op_sel:[0,1,0]
	v_pk_fma_f16 v35, v15, v36, v62 op_sel_hi:[1,0,1]
	v_pk_fma_f16 v12, v15, v36, v12 op_sel:[0,1,0]
	v_pk_fma_f16 v36, v15, v37, v38 op_sel_hi:[1,0,1]
	v_pk_fma_f16 v13, v15, v37, v13 op_sel:[0,1,0]
	s_waitcnt lgkmcnt(0)
	v_pk_fma_f16 v10, v16, v96, v10 op_sel:[0,1,0]
	v_pk_fma_f16 v15, v16, v97, v34 op_sel_hi:[1,0,1]
	v_pk_fma_f16 v11, v16, v97, v11 op_sel:[0,1,0]
	v_pk_fma_f16 v34, v16, v98, v35 op_sel_hi:[1,0,1]
	v_pk_fma_f16 v14, v16, v96, v14 op_sel_hi:[1,0,1]
	v_pk_fma_f16 v37, v16, v98, v12 op_sel:[0,1,0]
	v_pk_fma_f16 v36, v16, v99, v36 op_sel_hi:[1,0,1]
	v_pk_fma_f16 v16, v16, v99, v13 op_sel:[0,1,0]
	v_pk_fma_f16 v39, v17, v100, v10 op_sel:[0,1,0]
	;; [unrolled: 1-line block ×3, first 2 shown]
	v_pk_fma_f16 v63, v17, v102, v34 op_sel_hi:[1,0,1]
	ds_read2_b32 v[34:35], v59 offset0:128 offset1:160
	ds_read_b128 v[10:13], v89 offset:64
	v_pk_fma_f16 v38, v17, v100, v14 op_sel_hi:[1,0,1]
	v_pk_fma_f16 v61, v17, v101, v15 op_sel_hi:[1,0,1]
	v_pk_fma_f16 v37, v17, v102, v37 op_sel:[0,1,0]
	v_pk_fma_f16 v36, v17, v103, v36 op_sel_hi:[1,0,1]
	v_pk_fma_f16 v64, v17, v103, v16 op_sel:[0,1,0]
	ds_read_b128 v[14:17], v89 offset:80
	s_waitcnt lgkmcnt(1)
	v_pk_fma_f16 v38, v34, v10, v38 op_sel_hi:[1,0,1]
	v_pk_fma_f16 v10, v34, v10, v39 op_sel:[0,1,0]
	v_pk_fma_f16 v39, v34, v11, v61 op_sel_hi:[1,0,1]
	v_pk_fma_f16 v11, v34, v11, v62 op_sel:[0,1,0]
	;; [unrolled: 2-line block ×4, first 2 shown]
	s_waitcnt lgkmcnt(0)
	v_pk_fma_f16 v64, v35, v14, v10 op_sel:[0,1,0]
	v_pk_fma_f16 v66, v35, v15, v11 op_sel:[0,1,0]
	ds_read2_b32 v[36:37], v59 offset0:192 offset1:224
	ds_read_b128 v[10:13], v89 offset:96
	v_pk_fma_f16 v38, v35, v14, v38 op_sel_hi:[1,0,1]
	v_pk_fma_f16 v39, v35, v15, v39 op_sel_hi:[1,0,1]
	;; [unrolled: 1-line block ×3, first 2 shown]
	v_pk_fma_f16 v62, v35, v16, v62 op_sel:[0,1,0]
	v_pk_fma_f16 v63, v35, v17, v63 op_sel_hi:[1,0,1]
	v_pk_fma_f16 v34, v35, v17, v34 op_sel:[0,1,0]
	ds_read_b128 v[14:17], v89 offset:112
	s_waitcnt lgkmcnt(1)
	v_pk_fma_f16 v35, v36, v10, v38 op_sel_hi:[1,0,1]
	v_pk_fma_f16 v10, v36, v10, v64 op_sel:[0,1,0]
	v_pk_fma_f16 v38, v36, v11, v39 op_sel_hi:[1,0,1]
	v_pk_fma_f16 v11, v36, v11, v66 op_sel:[0,1,0]
	v_add_u32_e32 v67, 0x400, v59
	v_pk_fma_f16 v39, v36, v12, v61 op_sel_hi:[1,0,1]
	v_pk_fma_f16 v61, v36, v12, v62 op_sel:[0,1,0]
	v_pk_fma_f16 v62, v36, v13, v63 op_sel_hi:[1,0,1]
	v_pk_fma_f16 v36, v36, v13, v34 op_sel:[0,1,0]
	s_waitcnt lgkmcnt(0)
	v_pk_fma_f16 v63, v37, v14, v35 op_sel_hi:[1,0,1]
	v_pk_fma_f16 v64, v37, v14, v10 op_sel:[0,1,0]
	v_pk_fma_f16 v66, v37, v15, v11 op_sel:[0,1,0]
	ds_read2_b32 v[34:35], v67 offset1:32
	ds_read_b128 v[10:13], v89 offset:128
	v_pk_fma_f16 v38, v37, v15, v38 op_sel_hi:[1,0,1]
	v_pk_fma_f16 v39, v37, v16, v39 op_sel_hi:[1,0,1]
	v_pk_fma_f16 v61, v37, v16, v61 op_sel:[0,1,0]
	v_pk_fma_f16 v62, v37, v17, v62 op_sel_hi:[1,0,1]
	v_pk_fma_f16 v36, v37, v17, v36 op_sel:[0,1,0]
	ds_read_b128 v[14:17], v89 offset:144
	s_waitcnt lgkmcnt(1)
	v_pk_fma_f16 v37, v34, v10, v63 op_sel_hi:[1,0,1]
	v_pk_fma_f16 v10, v34, v10, v64 op_sel:[0,1,0]
	v_pk_fma_f16 v38, v34, v11, v38 op_sel_hi:[1,0,1]
	v_pk_fma_f16 v11, v34, v11, v66 op_sel:[0,1,0]
	v_pk_fma_f16 v39, v34, v12, v39 op_sel_hi:[1,0,1]
	v_pk_fma_f16 v61, v34, v12, v61 op_sel:[0,1,0]
	v_pk_fma_f16 v62, v34, v13, v62 op_sel_hi:[1,0,1]
	v_pk_fma_f16 v34, v34, v13, v36 op_sel:[0,1,0]
	s_waitcnt lgkmcnt(0)
	v_pk_fma_f16 v63, v35, v14, v37 op_sel_hi:[1,0,1]
	v_pk_fma_f16 v64, v35, v14, v10 op_sel:[0,1,0]
	v_pk_fma_f16 v66, v35, v15, v11 op_sel:[0,1,0]
	ds_read2_b32 v[36:37], v67 offset0:64 offset1:96
	ds_read_b128 v[10:13], v89 offset:160
	v_pk_fma_f16 v38, v35, v15, v38 op_sel_hi:[1,0,1]
	v_pk_fma_f16 v39, v35, v16, v39 op_sel_hi:[1,0,1]
	v_pk_fma_f16 v61, v35, v16, v61 op_sel:[0,1,0]
	v_pk_fma_f16 v62, v35, v17, v62 op_sel_hi:[1,0,1]
	v_pk_fma_f16 v34, v35, v17, v34 op_sel:[0,1,0]
	ds_read_b128 v[14:17], v89 offset:176
	s_waitcnt lgkmcnt(1)
	v_pk_fma_f16 v35, v36, v10, v63 op_sel_hi:[1,0,1]
	v_pk_fma_f16 v10, v36, v10, v64 op_sel:[0,1,0]
	v_pk_fma_f16 v38, v36, v11, v38 op_sel_hi:[1,0,1]
	v_pk_fma_f16 v11, v36, v11, v66 op_sel:[0,1,0]
	v_pk_fma_f16 v39, v36, v12, v39 op_sel_hi:[1,0,1]
	v_pk_fma_f16 v61, v36, v12, v61 op_sel:[0,1,0]
	v_pk_fma_f16 v62, v36, v13, v62 op_sel_hi:[1,0,1]
	v_pk_fma_f16 v36, v36, v13, v34 op_sel:[0,1,0]
	s_waitcnt lgkmcnt(0)
	v_pk_fma_f16 v63, v37, v14, v35 op_sel_hi:[1,0,1]
	v_pk_fma_f16 v64, v37, v14, v10 op_sel:[0,1,0]
	v_pk_fma_f16 v66, v37, v15, v11 op_sel:[0,1,0]
	ds_read2_b32 v[34:35], v67 offset0:128 offset1:160
	ds_read_b128 v[10:13], v89 offset:192
	v_pk_fma_f16 v38, v37, v15, v38 op_sel_hi:[1,0,1]
	v_pk_fma_f16 v39, v37, v16, v39 op_sel_hi:[1,0,1]
	v_pk_fma_f16 v61, v37, v16, v61 op_sel:[0,1,0]
	v_pk_fma_f16 v62, v37, v17, v62 op_sel_hi:[1,0,1]
	v_pk_fma_f16 v36, v37, v17, v36 op_sel:[0,1,0]
	ds_read_b128 v[14:17], v89 offset:208
	s_waitcnt lgkmcnt(1)
	v_pk_fma_f16 v37, v34, v10, v63 op_sel_hi:[1,0,1]
	v_pk_fma_f16 v10, v34, v10, v64 op_sel:[0,1,0]
	v_pk_fma_f16 v38, v34, v11, v38 op_sel_hi:[1,0,1]
	v_pk_fma_f16 v11, v34, v11, v66 op_sel:[0,1,0]
	v_pk_fma_f16 v39, v34, v12, v39 op_sel_hi:[1,0,1]
	v_pk_fma_f16 v61, v34, v12, v61 op_sel:[0,1,0]
	v_pk_fma_f16 v62, v34, v13, v62 op_sel_hi:[1,0,1]
	v_pk_fma_f16 v34, v34, v13, v36 op_sel:[0,1,0]
	s_waitcnt lgkmcnt(0)
	v_pk_fma_f16 v63, v35, v14, v37 op_sel_hi:[1,0,1]
	v_pk_fma_f16 v64, v35, v14, v10 op_sel:[0,1,0]
	v_pk_fma_f16 v66, v35, v15, v11 op_sel:[0,1,0]
	ds_read2_b32 v[36:37], v67 offset0:192 offset1:224
	ds_read_b128 v[10:13], v89 offset:224
	v_pk_fma_f16 v38, v35, v15, v38 op_sel_hi:[1,0,1]
	v_pk_fma_f16 v39, v35, v16, v39 op_sel_hi:[1,0,1]
	v_pk_fma_f16 v61, v35, v16, v61 op_sel:[0,1,0]
	v_pk_fma_f16 v62, v35, v17, v62 op_sel_hi:[1,0,1]
	v_pk_fma_f16 v34, v35, v17, v34 op_sel:[0,1,0]
	ds_read_b128 v[14:17], v89 offset:240
	s_waitcnt lgkmcnt(1)
	v_pk_fma_f16 v35, v36, v10, v63 op_sel_hi:[1,0,1]
	v_pk_fma_f16 v10, v36, v10, v64 op_sel:[0,1,0]
	v_pk_fma_f16 v38, v36, v11, v38 op_sel_hi:[1,0,1]
	v_pk_fma_f16 v11, v36, v11, v66 op_sel:[0,1,0]
	v_add_u32_e32 v67, 0x800, v59
	v_pk_fma_f16 v39, v36, v12, v39 op_sel_hi:[1,0,1]
	v_pk_fma_f16 v61, v36, v12, v61 op_sel:[0,1,0]
	v_pk_fma_f16 v62, v36, v13, v62 op_sel_hi:[1,0,1]
	v_pk_fma_f16 v36, v36, v13, v34 op_sel:[0,1,0]
	s_waitcnt lgkmcnt(0)
	v_pk_fma_f16 v63, v37, v14, v35 op_sel_hi:[1,0,1]
	v_pk_fma_f16 v64, v37, v14, v10 op_sel:[0,1,0]
	v_pk_fma_f16 v66, v37, v15, v11 op_sel:[0,1,0]
	ds_read2_b32 v[34:35], v67 offset1:32
	ds_read_b128 v[10:13], v89 offset:256
	v_pk_fma_f16 v38, v37, v15, v38 op_sel_hi:[1,0,1]
	v_pk_fma_f16 v39, v37, v16, v39 op_sel_hi:[1,0,1]
	v_pk_fma_f16 v61, v37, v16, v61 op_sel:[0,1,0]
	v_pk_fma_f16 v62, v37, v17, v62 op_sel_hi:[1,0,1]
	v_pk_fma_f16 v36, v37, v17, v36 op_sel:[0,1,0]
	ds_read_b128 v[14:17], v89 offset:272
	s_waitcnt lgkmcnt(1)
	v_pk_fma_f16 v37, v34, v10, v63 op_sel_hi:[1,0,1]
	v_pk_fma_f16 v10, v34, v10, v64 op_sel:[0,1,0]
	v_pk_fma_f16 v38, v34, v11, v38 op_sel_hi:[1,0,1]
	v_pk_fma_f16 v11, v34, v11, v66 op_sel:[0,1,0]
	v_pk_fma_f16 v39, v34, v12, v39 op_sel_hi:[1,0,1]
	v_pk_fma_f16 v61, v34, v12, v61 op_sel:[0,1,0]
	v_pk_fma_f16 v62, v34, v13, v62 op_sel_hi:[1,0,1]
	v_pk_fma_f16 v34, v34, v13, v36 op_sel:[0,1,0]
	s_waitcnt lgkmcnt(0)
	v_pk_fma_f16 v63, v35, v14, v37 op_sel_hi:[1,0,1]
	v_pk_fma_f16 v64, v35, v14, v10 op_sel:[0,1,0]
	v_pk_fma_f16 v66, v35, v15, v11 op_sel:[0,1,0]
	ds_read2_b32 v[36:37], v67 offset0:64 offset1:96
	ds_read_b128 v[10:13], v89 offset:288
	v_pk_fma_f16 v38, v35, v15, v38 op_sel_hi:[1,0,1]
	v_pk_fma_f16 v39, v35, v16, v39 op_sel_hi:[1,0,1]
	v_pk_fma_f16 v61, v35, v16, v61 op_sel:[0,1,0]
	v_pk_fma_f16 v62, v35, v17, v62 op_sel_hi:[1,0,1]
	v_pk_fma_f16 v34, v35, v17, v34 op_sel:[0,1,0]
	ds_read_b128 v[14:17], v89 offset:304
	s_waitcnt lgkmcnt(1)
	v_pk_fma_f16 v35, v36, v10, v63 op_sel_hi:[1,0,1]
	v_pk_fma_f16 v10, v36, v10, v64 op_sel:[0,1,0]
	v_pk_fma_f16 v38, v36, v11, v38 op_sel_hi:[1,0,1]
	v_pk_fma_f16 v11, v36, v11, v66 op_sel:[0,1,0]
	v_pk_fma_f16 v39, v36, v12, v39 op_sel_hi:[1,0,1]
	v_pk_fma_f16 v61, v36, v12, v61 op_sel:[0,1,0]
	v_pk_fma_f16 v62, v36, v13, v62 op_sel_hi:[1,0,1]
	v_pk_fma_f16 v36, v36, v13, v34 op_sel:[0,1,0]
	s_waitcnt lgkmcnt(0)
	v_pk_fma_f16 v63, v37, v14, v35 op_sel_hi:[1,0,1]
	v_pk_fma_f16 v64, v37, v14, v10 op_sel:[0,1,0]
	v_pk_fma_f16 v66, v37, v15, v11 op_sel:[0,1,0]
	ds_read2_b32 v[34:35], v67 offset0:128 offset1:160
	;; [unrolled: 21-line block ×3, first 2 shown]
	ds_read_b128 v[10:13], v89 offset:352
	v_pk_fma_f16 v38, v35, v15, v38 op_sel_hi:[1,0,1]
	v_pk_fma_f16 v39, v35, v16, v39 op_sel_hi:[1,0,1]
	v_pk_fma_f16 v61, v35, v16, v61 op_sel:[0,1,0]
	v_pk_fma_f16 v62, v35, v17, v62 op_sel_hi:[1,0,1]
	v_pk_fma_f16 v34, v35, v17, v34 op_sel:[0,1,0]
	ds_read_b128 v[14:17], v89 offset:368
	s_waitcnt lgkmcnt(1)
	v_pk_fma_f16 v35, v36, v10, v63 op_sel_hi:[1,0,1]
	v_pk_fma_f16 v10, v36, v10, v64 op_sel:[0,1,0]
	v_pk_fma_f16 v38, v36, v11, v38 op_sel_hi:[1,0,1]
	v_pk_fma_f16 v11, v36, v11, v66 op_sel:[0,1,0]
	v_add_u32_e32 v67, 0xc00, v59
	v_pk_fma_f16 v39, v36, v12, v39 op_sel_hi:[1,0,1]
	v_pk_fma_f16 v61, v36, v12, v61 op_sel:[0,1,0]
	v_pk_fma_f16 v62, v36, v13, v62 op_sel_hi:[1,0,1]
	v_pk_fma_f16 v36, v36, v13, v34 op_sel:[0,1,0]
	s_waitcnt lgkmcnt(0)
	v_pk_fma_f16 v63, v37, v14, v35 op_sel_hi:[1,0,1]
	v_pk_fma_f16 v64, v37, v14, v10 op_sel:[0,1,0]
	v_pk_fma_f16 v66, v37, v15, v11 op_sel:[0,1,0]
	ds_read2_b32 v[34:35], v67 offset1:32
	ds_read_b128 v[10:13], v89 offset:384
	v_pk_fma_f16 v38, v37, v15, v38 op_sel_hi:[1,0,1]
	v_pk_fma_f16 v39, v37, v16, v39 op_sel_hi:[1,0,1]
	v_pk_fma_f16 v61, v37, v16, v61 op_sel:[0,1,0]
	v_pk_fma_f16 v62, v37, v17, v62 op_sel_hi:[1,0,1]
	v_pk_fma_f16 v36, v37, v17, v36 op_sel:[0,1,0]
	ds_read_b128 v[14:17], v89 offset:400
	s_waitcnt lgkmcnt(1)
	v_pk_fma_f16 v37, v34, v10, v63 op_sel_hi:[1,0,1]
	v_pk_fma_f16 v10, v34, v10, v64 op_sel:[0,1,0]
	v_pk_fma_f16 v38, v34, v11, v38 op_sel_hi:[1,0,1]
	v_pk_fma_f16 v11, v34, v11, v66 op_sel:[0,1,0]
	v_pk_fma_f16 v39, v34, v12, v39 op_sel_hi:[1,0,1]
	v_pk_fma_f16 v61, v34, v12, v61 op_sel:[0,1,0]
	v_pk_fma_f16 v62, v34, v13, v62 op_sel_hi:[1,0,1]
	v_pk_fma_f16 v34, v34, v13, v36 op_sel:[0,1,0]
	s_waitcnt lgkmcnt(0)
	v_pk_fma_f16 v63, v35, v14, v37 op_sel_hi:[1,0,1]
	v_pk_fma_f16 v64, v35, v14, v10 op_sel:[0,1,0]
	v_pk_fma_f16 v66, v35, v15, v11 op_sel:[0,1,0]
	ds_read2_b32 v[36:37], v67 offset0:64 offset1:96
	ds_read_b128 v[10:13], v89 offset:416
	v_pk_fma_f16 v38, v35, v15, v38 op_sel_hi:[1,0,1]
	v_pk_fma_f16 v39, v35, v16, v39 op_sel_hi:[1,0,1]
	v_pk_fma_f16 v61, v35, v16, v61 op_sel:[0,1,0]
	v_pk_fma_f16 v62, v35, v17, v62 op_sel_hi:[1,0,1]
	v_pk_fma_f16 v34, v35, v17, v34 op_sel:[0,1,0]
	ds_read_b128 v[14:17], v89 offset:432
	s_waitcnt lgkmcnt(1)
	v_pk_fma_f16 v35, v36, v10, v63 op_sel_hi:[1,0,1]
	v_pk_fma_f16 v10, v36, v10, v64 op_sel:[0,1,0]
	v_pk_fma_f16 v38, v36, v11, v38 op_sel_hi:[1,0,1]
	v_pk_fma_f16 v11, v36, v11, v66 op_sel:[0,1,0]
	v_pk_fma_f16 v39, v36, v12, v39 op_sel_hi:[1,0,1]
	v_pk_fma_f16 v61, v36, v12, v61 op_sel:[0,1,0]
	v_pk_fma_f16 v62, v36, v13, v62 op_sel_hi:[1,0,1]
	v_pk_fma_f16 v36, v36, v13, v34 op_sel:[0,1,0]
	s_waitcnt lgkmcnt(0)
	v_pk_fma_f16 v63, v37, v14, v35 op_sel_hi:[1,0,1]
	v_pk_fma_f16 v64, v37, v14, v10 op_sel:[0,1,0]
	v_pk_fma_f16 v66, v37, v15, v11 op_sel:[0,1,0]
	ds_read2_b32 v[34:35], v67 offset0:128 offset1:160
	;; [unrolled: 21-line block ×3, first 2 shown]
	ds_read_b128 v[10:13], v89 offset:480
	v_pk_fma_f16 v38, v35, v15, v38 op_sel_hi:[1,0,1]
	v_pk_fma_f16 v39, v35, v16, v39 op_sel_hi:[1,0,1]
	v_pk_fma_f16 v61, v35, v16, v61 op_sel:[0,1,0]
	v_pk_fma_f16 v62, v35, v17, v62 op_sel_hi:[1,0,1]
	v_pk_fma_f16 v34, v35, v17, v34 op_sel:[0,1,0]
	ds_read_b128 v[14:17], v89 offset:496
	s_waitcnt lgkmcnt(1)
	v_pk_fma_f16 v35, v36, v10, v63 op_sel_hi:[1,0,1]
	v_pk_fma_f16 v10, v36, v10, v64 op_sel:[0,1,0]
	v_pk_fma_f16 v38, v36, v11, v38 op_sel_hi:[1,0,1]
	v_pk_fma_f16 v11, v36, v11, v66 op_sel:[0,1,0]
	v_add_u32_e32 v67, 0x1000, v59
	v_pk_fma_f16 v39, v36, v12, v39 op_sel_hi:[1,0,1]
	v_pk_fma_f16 v61, v36, v12, v61 op_sel:[0,1,0]
	v_pk_fma_f16 v62, v36, v13, v62 op_sel_hi:[1,0,1]
	v_pk_fma_f16 v36, v36, v13, v34 op_sel:[0,1,0]
	s_waitcnt lgkmcnt(0)
	v_pk_fma_f16 v63, v37, v14, v35 op_sel_hi:[1,0,1]
	v_pk_fma_f16 v64, v37, v14, v10 op_sel:[0,1,0]
	v_pk_fma_f16 v66, v37, v15, v11 op_sel:[0,1,0]
	ds_read2_b32 v[34:35], v67 offset1:32
	ds_read_b128 v[10:13], v89 offset:512
	v_pk_fma_f16 v38, v37, v15, v38 op_sel_hi:[1,0,1]
	v_pk_fma_f16 v39, v37, v16, v39 op_sel_hi:[1,0,1]
	v_pk_fma_f16 v61, v37, v16, v61 op_sel:[0,1,0]
	v_pk_fma_f16 v62, v37, v17, v62 op_sel_hi:[1,0,1]
	v_pk_fma_f16 v36, v37, v17, v36 op_sel:[0,1,0]
	ds_read_b128 v[14:17], v89 offset:528
	s_waitcnt lgkmcnt(1)
	v_pk_fma_f16 v37, v34, v10, v63 op_sel_hi:[1,0,1]
	v_pk_fma_f16 v10, v34, v10, v64 op_sel:[0,1,0]
	v_pk_fma_f16 v38, v34, v11, v38 op_sel_hi:[1,0,1]
	v_pk_fma_f16 v11, v34, v11, v66 op_sel:[0,1,0]
	v_pk_fma_f16 v39, v34, v12, v39 op_sel_hi:[1,0,1]
	v_pk_fma_f16 v61, v34, v12, v61 op_sel:[0,1,0]
	v_pk_fma_f16 v62, v34, v13, v62 op_sel_hi:[1,0,1]
	v_pk_fma_f16 v34, v34, v13, v36 op_sel:[0,1,0]
	s_waitcnt lgkmcnt(0)
	v_pk_fma_f16 v63, v35, v14, v37 op_sel_hi:[1,0,1]
	v_pk_fma_f16 v64, v35, v14, v10 op_sel:[0,1,0]
	v_pk_fma_f16 v66, v35, v15, v11 op_sel:[0,1,0]
	ds_read2_b32 v[36:37], v67 offset0:64 offset1:96
	ds_read_b128 v[10:13], v89 offset:544
	v_pk_fma_f16 v38, v35, v15, v38 op_sel_hi:[1,0,1]
	v_pk_fma_f16 v39, v35, v16, v39 op_sel_hi:[1,0,1]
	v_pk_fma_f16 v61, v35, v16, v61 op_sel:[0,1,0]
	v_pk_fma_f16 v62, v35, v17, v62 op_sel_hi:[1,0,1]
	v_pk_fma_f16 v34, v35, v17, v34 op_sel:[0,1,0]
	ds_read_b128 v[14:17], v89 offset:560
	s_waitcnt lgkmcnt(1)
	v_pk_fma_f16 v35, v36, v10, v63 op_sel_hi:[1,0,1]
	v_pk_fma_f16 v10, v36, v10, v64 op_sel:[0,1,0]
	v_pk_fma_f16 v38, v36, v11, v38 op_sel_hi:[1,0,1]
	v_pk_fma_f16 v11, v36, v11, v66 op_sel:[0,1,0]
	v_pk_fma_f16 v39, v36, v12, v39 op_sel_hi:[1,0,1]
	v_pk_fma_f16 v61, v36, v12, v61 op_sel:[0,1,0]
	v_pk_fma_f16 v62, v36, v13, v62 op_sel_hi:[1,0,1]
	v_pk_fma_f16 v36, v36, v13, v34 op_sel:[0,1,0]
	s_waitcnt lgkmcnt(0)
	v_pk_fma_f16 v63, v37, v14, v35 op_sel_hi:[1,0,1]
	v_pk_fma_f16 v64, v37, v14, v10 op_sel:[0,1,0]
	v_pk_fma_f16 v66, v37, v15, v11 op_sel:[0,1,0]
	ds_read2_b32 v[34:35], v67 offset0:128 offset1:160
	;; [unrolled: 21-line block ×3, first 2 shown]
	ds_read_b128 v[10:13], v89 offset:608
	v_pk_fma_f16 v38, v35, v15, v38 op_sel_hi:[1,0,1]
	v_pk_fma_f16 v39, v35, v16, v39 op_sel_hi:[1,0,1]
	v_pk_fma_f16 v61, v35, v16, v61 op_sel:[0,1,0]
	v_pk_fma_f16 v62, v35, v17, v62 op_sel_hi:[1,0,1]
	v_pk_fma_f16 v34, v35, v17, v34 op_sel:[0,1,0]
	ds_read_b128 v[14:17], v89 offset:624
	s_waitcnt lgkmcnt(1)
	v_pk_fma_f16 v35, v36, v10, v63 op_sel_hi:[1,0,1]
	v_pk_fma_f16 v10, v36, v10, v64 op_sel:[0,1,0]
	v_pk_fma_f16 v38, v36, v11, v38 op_sel_hi:[1,0,1]
	v_pk_fma_f16 v11, v36, v11, v66 op_sel:[0,1,0]
	v_add_u32_e32 v67, 0x1400, v59
	v_pk_fma_f16 v39, v36, v12, v39 op_sel_hi:[1,0,1]
	v_pk_fma_f16 v61, v36, v12, v61 op_sel:[0,1,0]
	v_pk_fma_f16 v62, v36, v13, v62 op_sel_hi:[1,0,1]
	v_pk_fma_f16 v36, v36, v13, v34 op_sel:[0,1,0]
	s_waitcnt lgkmcnt(0)
	v_pk_fma_f16 v63, v37, v14, v35 op_sel_hi:[1,0,1]
	v_pk_fma_f16 v64, v37, v14, v10 op_sel:[0,1,0]
	v_pk_fma_f16 v66, v37, v15, v11 op_sel:[0,1,0]
	ds_read2_b32 v[34:35], v67 offset1:32
	ds_read_b128 v[10:13], v89 offset:640
	v_pk_fma_f16 v38, v37, v15, v38 op_sel_hi:[1,0,1]
	v_pk_fma_f16 v39, v37, v16, v39 op_sel_hi:[1,0,1]
	v_pk_fma_f16 v61, v37, v16, v61 op_sel:[0,1,0]
	v_pk_fma_f16 v62, v37, v17, v62 op_sel_hi:[1,0,1]
	v_pk_fma_f16 v36, v37, v17, v36 op_sel:[0,1,0]
	ds_read_b128 v[14:17], v89 offset:656
	s_waitcnt lgkmcnt(1)
	v_pk_fma_f16 v37, v34, v10, v63 op_sel_hi:[1,0,1]
	v_pk_fma_f16 v10, v34, v10, v64 op_sel:[0,1,0]
	v_pk_fma_f16 v38, v34, v11, v38 op_sel_hi:[1,0,1]
	v_pk_fma_f16 v11, v34, v11, v66 op_sel:[0,1,0]
	v_pk_fma_f16 v39, v34, v12, v39 op_sel_hi:[1,0,1]
	v_pk_fma_f16 v61, v34, v12, v61 op_sel:[0,1,0]
	v_pk_fma_f16 v62, v34, v13, v62 op_sel_hi:[1,0,1]
	v_pk_fma_f16 v34, v34, v13, v36 op_sel:[0,1,0]
	s_waitcnt lgkmcnt(0)
	v_pk_fma_f16 v63, v35, v14, v37 op_sel_hi:[1,0,1]
	v_pk_fma_f16 v64, v35, v14, v10 op_sel:[0,1,0]
	v_pk_fma_f16 v66, v35, v15, v11 op_sel:[0,1,0]
	ds_read2_b32 v[36:37], v67 offset0:64 offset1:96
	ds_read_b128 v[10:13], v89 offset:672
	v_pk_fma_f16 v38, v35, v15, v38 op_sel_hi:[1,0,1]
	v_pk_fma_f16 v39, v35, v16, v39 op_sel_hi:[1,0,1]
	v_pk_fma_f16 v61, v35, v16, v61 op_sel:[0,1,0]
	v_pk_fma_f16 v62, v35, v17, v62 op_sel_hi:[1,0,1]
	v_pk_fma_f16 v34, v35, v17, v34 op_sel:[0,1,0]
	ds_read_b128 v[14:17], v89 offset:688
	s_waitcnt lgkmcnt(1)
	v_pk_fma_f16 v35, v36, v10, v63 op_sel_hi:[1,0,1]
	v_pk_fma_f16 v10, v36, v10, v64 op_sel:[0,1,0]
	v_pk_fma_f16 v38, v36, v11, v38 op_sel_hi:[1,0,1]
	v_pk_fma_f16 v11, v36, v11, v66 op_sel:[0,1,0]
	v_pk_fma_f16 v39, v36, v12, v39 op_sel_hi:[1,0,1]
	v_pk_fma_f16 v61, v36, v12, v61 op_sel:[0,1,0]
	v_pk_fma_f16 v62, v36, v13, v62 op_sel_hi:[1,0,1]
	v_pk_fma_f16 v36, v36, v13, v34 op_sel:[0,1,0]
	s_waitcnt lgkmcnt(0)
	v_pk_fma_f16 v63, v37, v14, v35 op_sel_hi:[1,0,1]
	v_pk_fma_f16 v64, v37, v14, v10 op_sel:[0,1,0]
	v_pk_fma_f16 v66, v37, v15, v11 op_sel:[0,1,0]
	ds_read2_b32 v[34:35], v67 offset0:128 offset1:160
	;; [unrolled: 21-line block ×3, first 2 shown]
	ds_read_b128 v[10:13], v89 offset:736
	v_pk_fma_f16 v38, v35, v15, v38 op_sel_hi:[1,0,1]
	v_pk_fma_f16 v39, v35, v16, v39 op_sel_hi:[1,0,1]
	v_pk_fma_f16 v61, v35, v16, v61 op_sel:[0,1,0]
	v_pk_fma_f16 v62, v35, v17, v62 op_sel_hi:[1,0,1]
	v_pk_fma_f16 v34, v35, v17, v34 op_sel:[0,1,0]
	ds_read_b128 v[14:17], v89 offset:752
	s_waitcnt lgkmcnt(1)
	v_pk_fma_f16 v35, v36, v10, v63 op_sel_hi:[1,0,1]
	v_pk_fma_f16 v10, v36, v10, v64 op_sel:[0,1,0]
	v_pk_fma_f16 v38, v36, v11, v38 op_sel_hi:[1,0,1]
	v_pk_fma_f16 v11, v36, v11, v66 op_sel:[0,1,0]
	v_add_u32_e32 v67, 0x1800, v59
	v_pk_fma_f16 v39, v36, v12, v39 op_sel_hi:[1,0,1]
	v_pk_fma_f16 v61, v36, v12, v61 op_sel:[0,1,0]
	v_pk_fma_f16 v62, v36, v13, v62 op_sel_hi:[1,0,1]
	v_pk_fma_f16 v36, v36, v13, v34 op_sel:[0,1,0]
	s_waitcnt lgkmcnt(0)
	v_pk_fma_f16 v63, v37, v14, v35 op_sel_hi:[1,0,1]
	v_pk_fma_f16 v64, v37, v14, v10 op_sel:[0,1,0]
	v_pk_fma_f16 v66, v37, v15, v11 op_sel:[0,1,0]
	ds_read2_b32 v[34:35], v67 offset1:32
	ds_read_b128 v[10:13], v89 offset:768
	v_pk_fma_f16 v38, v37, v15, v38 op_sel_hi:[1,0,1]
	v_pk_fma_f16 v39, v37, v16, v39 op_sel_hi:[1,0,1]
	v_pk_fma_f16 v61, v37, v16, v61 op_sel:[0,1,0]
	v_pk_fma_f16 v62, v37, v17, v62 op_sel_hi:[1,0,1]
	v_pk_fma_f16 v36, v37, v17, v36 op_sel:[0,1,0]
	ds_read_b128 v[14:17], v89 offset:784
	s_waitcnt lgkmcnt(1)
	v_pk_fma_f16 v37, v34, v10, v63 op_sel_hi:[1,0,1]
	v_pk_fma_f16 v10, v34, v10, v64 op_sel:[0,1,0]
	v_pk_fma_f16 v38, v34, v11, v38 op_sel_hi:[1,0,1]
	v_pk_fma_f16 v11, v34, v11, v66 op_sel:[0,1,0]
	v_pk_fma_f16 v39, v34, v12, v39 op_sel_hi:[1,0,1]
	v_pk_fma_f16 v61, v34, v12, v61 op_sel:[0,1,0]
	v_pk_fma_f16 v62, v34, v13, v62 op_sel_hi:[1,0,1]
	v_pk_fma_f16 v34, v34, v13, v36 op_sel:[0,1,0]
	s_waitcnt lgkmcnt(0)
	v_pk_fma_f16 v63, v35, v14, v37 op_sel_hi:[1,0,1]
	v_pk_fma_f16 v64, v35, v14, v10 op_sel:[0,1,0]
	v_pk_fma_f16 v66, v35, v15, v11 op_sel:[0,1,0]
	ds_read2_b32 v[36:37], v67 offset0:64 offset1:96
	ds_read_b128 v[10:13], v89 offset:800
	v_pk_fma_f16 v38, v35, v15, v38 op_sel_hi:[1,0,1]
	v_pk_fma_f16 v39, v35, v16, v39 op_sel_hi:[1,0,1]
	v_pk_fma_f16 v61, v35, v16, v61 op_sel:[0,1,0]
	v_pk_fma_f16 v62, v35, v17, v62 op_sel_hi:[1,0,1]
	v_pk_fma_f16 v34, v35, v17, v34 op_sel:[0,1,0]
	ds_read_b128 v[14:17], v89 offset:816
	s_waitcnt lgkmcnt(1)
	v_pk_fma_f16 v35, v36, v10, v63 op_sel_hi:[1,0,1]
	v_pk_fma_f16 v10, v36, v10, v64 op_sel:[0,1,0]
	v_pk_fma_f16 v38, v36, v11, v38 op_sel_hi:[1,0,1]
	v_pk_fma_f16 v11, v36, v11, v66 op_sel:[0,1,0]
	v_pk_fma_f16 v39, v36, v12, v39 op_sel_hi:[1,0,1]
	v_pk_fma_f16 v61, v36, v12, v61 op_sel:[0,1,0]
	v_pk_fma_f16 v62, v36, v13, v62 op_sel_hi:[1,0,1]
	v_pk_fma_f16 v36, v36, v13, v34 op_sel:[0,1,0]
	s_waitcnt lgkmcnt(0)
	v_pk_fma_f16 v63, v37, v14, v35 op_sel_hi:[1,0,1]
	v_pk_fma_f16 v64, v37, v14, v10 op_sel:[0,1,0]
	v_pk_fma_f16 v66, v37, v15, v11 op_sel:[0,1,0]
	ds_read2_b32 v[34:35], v67 offset0:128 offset1:160
	;; [unrolled: 21-line block ×3, first 2 shown]
	ds_read_b128 v[10:13], v89 offset:864
	v_pk_fma_f16 v38, v35, v15, v38 op_sel_hi:[1,0,1]
	v_pk_fma_f16 v39, v35, v16, v39 op_sel_hi:[1,0,1]
	v_pk_fma_f16 v61, v35, v16, v61 op_sel:[0,1,0]
	v_pk_fma_f16 v62, v35, v17, v62 op_sel_hi:[1,0,1]
	v_pk_fma_f16 v34, v35, v17, v34 op_sel:[0,1,0]
	ds_read_b128 v[14:17], v89 offset:880
	s_waitcnt lgkmcnt(1)
	v_pk_fma_f16 v35, v36, v10, v63 op_sel_hi:[1,0,1]
	v_pk_fma_f16 v10, v36, v10, v64 op_sel:[0,1,0]
	v_pk_fma_f16 v38, v36, v11, v38 op_sel_hi:[1,0,1]
	v_pk_fma_f16 v11, v36, v11, v66 op_sel:[0,1,0]
	v_add_u32_e32 v67, 0x1c00, v59
	v_pk_fma_f16 v39, v36, v12, v39 op_sel_hi:[1,0,1]
	v_pk_fma_f16 v61, v36, v12, v61 op_sel:[0,1,0]
	v_pk_fma_f16 v62, v36, v13, v62 op_sel_hi:[1,0,1]
	v_pk_fma_f16 v36, v36, v13, v34 op_sel:[0,1,0]
	s_waitcnt lgkmcnt(0)
	v_pk_fma_f16 v63, v37, v14, v35 op_sel_hi:[1,0,1]
	v_pk_fma_f16 v64, v37, v14, v10 op_sel:[0,1,0]
	v_pk_fma_f16 v66, v37, v15, v11 op_sel:[0,1,0]
	ds_read2_b32 v[34:35], v67 offset1:32
	ds_read_b128 v[10:13], v89 offset:896
	v_pk_fma_f16 v38, v37, v15, v38 op_sel_hi:[1,0,1]
	v_pk_fma_f16 v39, v37, v16, v39 op_sel_hi:[1,0,1]
	v_pk_fma_f16 v61, v37, v16, v61 op_sel:[0,1,0]
	v_pk_fma_f16 v62, v37, v17, v62 op_sel_hi:[1,0,1]
	v_pk_fma_f16 v36, v37, v17, v36 op_sel:[0,1,0]
	ds_read_b128 v[14:17], v89 offset:912
	s_waitcnt lgkmcnt(1)
	v_pk_fma_f16 v37, v34, v10, v63 op_sel_hi:[1,0,1]
	v_pk_fma_f16 v10, v34, v10, v64 op_sel:[0,1,0]
	v_pk_fma_f16 v38, v34, v11, v38 op_sel_hi:[1,0,1]
	v_pk_fma_f16 v11, v34, v11, v66 op_sel:[0,1,0]
	;; [unrolled: 2-line block ×4, first 2 shown]
	s_waitcnt lgkmcnt(0)
	v_pk_fma_f16 v63, v35, v14, v37 op_sel_hi:[1,0,1]
	v_pk_fma_f16 v64, v35, v14, v10 op_sel:[0,1,0]
	v_pk_fma_f16 v66, v35, v15, v11 op_sel:[0,1,0]
	ds_read2_b32 v[36:37], v67 offset0:64 offset1:96
	ds_read_b128 v[10:13], v89 offset:928
	v_pk_fma_f16 v38, v35, v15, v38 op_sel_hi:[1,0,1]
	v_pk_fma_f16 v39, v35, v16, v39 op_sel_hi:[1,0,1]
	v_pk_fma_f16 v61, v35, v16, v61 op_sel:[0,1,0]
	v_pk_fma_f16 v62, v35, v17, v62 op_sel_hi:[1,0,1]
	v_pk_fma_f16 v34, v35, v17, v34 op_sel:[0,1,0]
	ds_read_b128 v[14:17], v89 offset:944
	s_waitcnt lgkmcnt(1)
	v_pk_fma_f16 v35, v36, v10, v63 op_sel_hi:[1,0,1]
	v_pk_fma_f16 v10, v36, v10, v64 op_sel:[0,1,0]
	v_pk_fma_f16 v38, v36, v11, v38 op_sel_hi:[1,0,1]
	v_pk_fma_f16 v11, v36, v11, v66 op_sel:[0,1,0]
	;; [unrolled: 2-line block ×4, first 2 shown]
	s_waitcnt lgkmcnt(0)
	v_pk_fma_f16 v63, v37, v14, v35 op_sel_hi:[1,0,1]
	v_pk_fma_f16 v64, v37, v14, v10 op_sel:[0,1,0]
	v_pk_fma_f16 v66, v37, v15, v11 op_sel:[0,1,0]
	ds_read2_b32 v[34:35], v67 offset0:128 offset1:160
	ds_read_b128 v[10:13], v89 offset:960
	v_pk_fma_f16 v38, v37, v15, v38 op_sel_hi:[1,0,1]
	v_pk_fma_f16 v39, v37, v16, v39 op_sel_hi:[1,0,1]
	v_pk_fma_f16 v61, v37, v16, v61 op_sel:[0,1,0]
	v_pk_fma_f16 v62, v37, v17, v62 op_sel_hi:[1,0,1]
	v_pk_fma_f16 v36, v37, v17, v36 op_sel:[0,1,0]
	ds_read_b128 v[14:17], v89 offset:976
	s_waitcnt lgkmcnt(1)
	v_pk_fma_f16 v37, v34, v10, v63 op_sel_hi:[1,0,1]
	v_pk_fma_f16 v10, v34, v10, v64 op_sel:[0,1,0]
	v_pk_fma_f16 v38, v34, v11, v38 op_sel_hi:[1,0,1]
	v_pk_fma_f16 v11, v34, v11, v66 op_sel:[0,1,0]
	;; [unrolled: 2-line block ×4, first 2 shown]
	s_waitcnt lgkmcnt(0)
	v_pk_fma_f16 v63, v35, v14, v37 op_sel_hi:[1,0,1]
	v_pk_fma_f16 v64, v35, v14, v10 op_sel:[0,1,0]
	v_pk_fma_f16 v38, v35, v15, v38 op_sel_hi:[1,0,1]
	v_pk_fma_f16 v66, v35, v15, v11 op_sel:[0,1,0]
	v_pk_fma_f16 v39, v35, v16, v39 op_sel_hi:[1,0,1]
	ds_read2_b32 v[36:37], v67 offset0:192 offset1:224
	ds_read_b128 v[10:13], v89 offset:992
	v_pk_fma_f16 v61, v35, v16, v61 op_sel:[0,1,0]
	v_pk_fma_f16 v62, v35, v17, v62 op_sel_hi:[1,0,1]
	v_pk_fma_f16 v34, v35, v17, v34 op_sel:[0,1,0]
	ds_read_b128 v[14:17], v89 offset:1008
	s_waitcnt lgkmcnt(0)
	s_barrier
	s_load_dword s42, s[12:13], 0x4
	v_pk_fma_f16 v35, v36, v10, v63 op_sel_hi:[1,0,1]
	v_pk_fma_f16 v10, v36, v10, v64 op_sel:[0,1,0]
	v_pk_fma_f16 v38, v36, v11, v38 op_sel_hi:[1,0,1]
	v_pk_fma_f16 v11, v36, v11, v66 op_sel:[0,1,0]
	s_waitcnt lgkmcnt(0)
	s_lshl_b32 s42, s42, 6
	v_pk_fma_f16 v39, v36, v12, v39 op_sel_hi:[1,0,1]
	v_pk_fma_f16 v12, v36, v12, v61 op_sel:[0,1,0]
	v_pk_fma_f16 v63, v36, v13, v62 op_sel_hi:[1,0,1]
	v_pk_fma_f16 v13, v36, v13, v34 op_sel:[0,1,0]
	s_add_i32 s27, s42, s27
	v_pk_fma_f16 v70, v37, v14, v35 op_sel_hi:[1,0,1]
	v_pk_fma_f16 v69, v37, v14, v10 op_sel:[0,1,0]
	v_pk_fma_f16 v67, v37, v15, v38 op_sel_hi:[1,0,1]
	v_pk_fma_f16 v64, v37, v15, v11 op_sel:[0,1,0]
	v_pk_fma_f16 v62, v37, v16, v39 op_sel_hi:[1,0,1]
	v_pk_fma_f16 v61, v37, v16, v12 op_sel:[0,1,0]
	v_pk_fma_f16 v66, v37, v17, v63 op_sel_hi:[1,0,1]
	s_cmp_lt_i32 s27, s17
	v_pk_fma_f16 v63, v37, v17, v13 op_sel:[0,1,0]
	s_cbranch_scc0 .LBB52_44
; %bb.42:                               ;   in Loop: Header=BB52_8 Depth=1
	v_mov_b32_e32 v14, v26
	v_mov_b32_e32 v15, v27
	;; [unrolled: 1-line block ×8, first 2 shown]
	s_branch .LBB52_8
.LBB52_43:
	s_mov_b32 s49, s48
	s_mov_b32 s50, s48
	;; [unrolled: 1-line block ×7, first 2 shown]
	v_pk_mov_b32 v[26:27], s[48:49], s[48:49] op_sel:[0,1]
	v_pk_mov_b32 v[28:29], s[50:51], s[50:51] op_sel:[0,1]
	;; [unrolled: 1-line block ×4, first 2 shown]
	v_mov_b32_e32 v24, v25
	v_mov_b32_e32 v23, v25
	;; [unrolled: 1-line block ×14, first 2 shown]
.LBB52_44:
	v_lshlrev_b32_e32 v17, 1, v56
	s_cmp_gt_i32 s46, s27
	s_cbranch_scc1 .LBB52_46
; %bb.45:
	v_mbcnt_hi_u32_b32 v82, -1, v78
	v_and_b32_e32 v2, 0x60, v82
	v_add_u32_e32 v83, 32, v2
	v_xor_b32_e32 v85, 16, v82
	v_xor_b32_e32 v88, 8, v82
	;; [unrolled: 1-line block ×5, first 2 shown]
	s_cbranch_execz .LBB52_47
	s_branch .LBB52_127
.LBB52_46:
                                        ; implicit-def: $vgpr82
                                        ; implicit-def: $vgpr83
                                        ; implicit-def: $vgpr85
                                        ; implicit-def: $vgpr88
                                        ; implicit-def: $vgpr86
                                        ; implicit-def: $vgpr87
                                        ; implicit-def: $vgpr84
.LBB52_47:
	s_mul_hi_i32 s9, s27, s14
	s_mul_i32 s8, s27, s14
	v_lshl_add_u32 v81, v65, 2, v1
	s_sub_i32 s41, s46, s27
	s_lshl_b64 s[8:9], s[8:9], 2
	v_mul_lo_u32 v6, s14, v81
	s_add_u32 s12, s15, s8
	v_ashrrev_i32_e32 v7, 31, v6
	s_addc_u32 s13, s16, s9
	v_and_b32_e32 v1, 28, v59
	v_lshlrev_b64 v[2:3], 2, v[6:7]
	v_lshlrev_b32_e32 v79, 2, v1
	v_mov_b32_e32 v1, s13
	v_add_co_u32_e32 v2, vcc, s12, v2
	v_addc_co_u32_e32 v1, vcc, v1, v3, vcc
	s_mov_b64 s[8:9], src_private_base
	v_add_co_u32_e32 v2, vcc, v2, v79
	v_addc_co_u32_e32 v1, vcc, 0, v1, vcc
	v_mov_b32_e32 v8, s9
	v_cmp_gt_i32_e64 s[18:19], s41, v81
	v_mov_b32_e32 v82, 0
	v_cndmask_b32_e64 v3, v8, v1, s[18:19]
	v_mov_b32_e32 v1, 0
	buffer_store_dword v82, off, s[0:3], 0
	buffer_store_dword v82, off, s[0:3], 0 offset:8
	buffer_store_dword v82, off, s[0:3], 0 offset:4
	buffer_store_dword v82, off, s[0:3], 0 offset:12
	v_cndmask_b32_e64 v2, v1, v2, s[18:19]
	flat_load_dwordx4 v[2:5], v[2:3]
	v_lshl_add_u32 v6, s14, 5, v6
	v_ashrrev_i32_e32 v7, 31, v6
	v_lshlrev_b64 v[6:7], 2, v[6:7]
	v_mov_b32_e32 v9, s13
	v_add_co_u32_e32 v6, vcc, s12, v6
	v_addc_co_u32_e32 v7, vcc, v9, v7, vcc
	s_movk_i32 s8, 0x90
	v_add_u32_e32 v80, 32, v81
	v_add_co_u32_e32 v6, vcc, v6, v79
	v_mad_u32_u24 v35, v81, s8, v79
	v_addc_co_u32_e32 v7, vcc, 0, v7, vcc
	v_cmp_gt_i32_e64 s[8:9], s41, v80
	v_cndmask_b32_e64 v7, v8, v7, s[8:9]
	v_cndmask_b32_e64 v6, v1, v6, s[8:9]
	buffer_store_dword v82, off, s[0:3], 0
	buffer_store_dword v82, off, s[0:3], 0 offset:8
	buffer_store_dword v82, off, s[0:3], 0 offset:4
	;; [unrolled: 1-line block ×3, first 2 shown]
	v_mul_u32_u24_e32 v34, 0x90, v56
	v_mov_b32_e32 v8, 0
	v_mov_b32_e32 v1, 0
	;; [unrolled: 1-line block ×6, first 2 shown]
	s_cmp_lg_u64 s[44:45], 0
	s_cselect_b64 s[12:13], -1, 0
	v_add_u32_e32 v83, s27, v40
	v_cmp_gt_i32_e64 s[14:15], s41, v56
	s_waitcnt vmcnt(0) lgkmcnt(0)
	ds_write_b128 v35, v[2:5]
	flat_load_dwordx4 v[12:15], v[6:7]
	v_mov_b32_e32 v2, 0
	v_mov_b32_e32 v3, 0
	;; [unrolled: 1-line block ×6, first 2 shown]
	s_waitcnt vmcnt(0) lgkmcnt(0)
	ds_write_b128 v35, v[12:15] offset:4608
	s_waitcnt lgkmcnt(0)
	s_barrier
	ds_read_b128 v[12:15], v34
	ds_read_b128 v[36:39], v34 offset:4608
	ds_read_b128 v[84:87], v60 offset:17408
	;; [unrolled: 1-line block ×9, first 2 shown]
	s_waitcnt lgkmcnt(7)
	;;#ASMSTART
	v_dot2_f32_f16 v8, v12, v84, v8
	;;#ASMEND
	;;#ASMSTART
	v_dot2_f32_f16 v8, v13, v85, v8
	;;#ASMEND
	;;#ASMSTART
	v_dot2_f32_f16 v8, v14, v86, v8
	;;#ASMEND
	;;#ASMSTART
	v_dot2_f32_f16 v8, v15, v87, v8
	;;#ASMEND
	s_waitcnt lgkmcnt(6)
	;;#ASMSTART
	v_dot2_f32_f16 v1, v12, v88, v1
	;;#ASMEND
	;;#ASMSTART
	v_dot2_f32_f16 v1, v13, v89, v1
	;;#ASMEND
	;;#ASMSTART
	v_dot2_f32_f16 v1, v14, v90, v1
	;;#ASMEND
	;;#ASMSTART
	v_dot2_f32_f16 v1, v15, v91, v1
	;;#ASMEND
	;; [unrolled: 13-line block ×8, first 2 shown]
	;;#ASMSTART
	v_dot2_f32_f16 v16, v36, v84, v16
	;;#ASMEND
	;;#ASMSTART
	v_dot2_f32_f16 v16, v37, v85, v16
	;;#ASMEND
	;; [unrolled: 3-line block ×14, first 2 shown]
	v_mov_b32_e32 v12, 0
	;;#ASMSTART
	v_dot2_f32_f16 v11, v38, v98, v11
	;;#ASMEND
	;;#ASMSTART
	v_dot2_f32_f16 v11, v39, v99, v11
	;;#ASMEND
	;; [unrolled: 3-line block ×5, first 2 shown]
	v_mov_b32_e32 v13, 0
	;;#ASMSTART
	v_dot2_f32_f16 v12, v39, v103, v12
	;;#ASMEND
	;;#ASMSTART
	v_dot2_f32_f16 v13, v36, v104, v13
	;;#ASMEND
	;;#ASMSTART
	v_dot2_f32_f16 v13, v37, v105, v13
	;;#ASMEND
	;;#ASMSTART
	v_dot2_f32_f16 v13, v38, v106, v13
	;;#ASMEND
	v_mov_b32_e32 v14, 0
	;;#ASMSTART
	v_dot2_f32_f16 v13, v39, v107, v13
	;;#ASMEND
	;;#ASMSTART
	v_dot2_f32_f16 v14, v36, v108, v14
	;;#ASMEND
	;;#ASMSTART
	v_dot2_f32_f16 v14, v37, v109, v14
	;;#ASMEND
	;;#ASMSTART
	v_dot2_f32_f16 v14, v38, v110, v14
	;;#ASMEND
	;; [unrolled: 13-line block ×3, first 2 shown]
	;;#ASMSTART
	v_dot2_f32_f16 v15, v39, v115, v15
	;;#ASMEND
	ds_read_b128 v[36:39], v34 offset:16
	ds_read_b128 v[84:87], v34 offset:4624
	;; [unrolled: 1-line block ×10, first 2 shown]
	s_waitcnt lgkmcnt(7)
	;;#ASMSTART
	v_dot2_f32_f16 v8, v36, v88, v8
	;;#ASMEND
	;;#ASMSTART
	v_dot2_f32_f16 v8, v37, v89, v8
	;;#ASMEND
	;;#ASMSTART
	v_dot2_f32_f16 v8, v38, v90, v8
	;;#ASMEND
	;;#ASMSTART
	v_dot2_f32_f16 v8, v39, v91, v8
	;;#ASMEND
	s_waitcnt lgkmcnt(6)
	;;#ASMSTART
	v_dot2_f32_f16 v1, v36, v92, v1
	;;#ASMEND
	;;#ASMSTART
	v_dot2_f32_f16 v1, v37, v93, v1
	;;#ASMEND
	;;#ASMSTART
	v_dot2_f32_f16 v1, v38, v94, v1
	;;#ASMEND
	;;#ASMSTART
	v_dot2_f32_f16 v1, v39, v95, v1
	;;#ASMEND
	s_waitcnt lgkmcnt(5)
	;;#ASMSTART
	v_dot2_f32_f16 v2, v36, v96, v2
	;;#ASMEND
	;;#ASMSTART
	v_dot2_f32_f16 v2, v37, v97, v2
	;;#ASMEND
	;;#ASMSTART
	v_dot2_f32_f16 v2, v38, v98, v2
	;;#ASMEND
	;;#ASMSTART
	v_dot2_f32_f16 v2, v39, v99, v2
	;;#ASMEND
	s_waitcnt lgkmcnt(4)
	;;#ASMSTART
	v_dot2_f32_f16 v3, v36, v100, v3
	;;#ASMEND
	;;#ASMSTART
	v_dot2_f32_f16 v3, v37, v101, v3
	;;#ASMEND
	;;#ASMSTART
	v_dot2_f32_f16 v3, v38, v102, v3
	;;#ASMEND
	;;#ASMSTART
	v_dot2_f32_f16 v3, v39, v103, v3
	;;#ASMEND
	s_waitcnt lgkmcnt(3)
	;;#ASMSTART
	v_dot2_f32_f16 v4, v36, v104, v4
	;;#ASMEND
	;;#ASMSTART
	v_dot2_f32_f16 v4, v37, v105, v4
	;;#ASMEND
	;;#ASMSTART
	v_dot2_f32_f16 v4, v38, v106, v4
	;;#ASMEND
	;;#ASMSTART
	v_dot2_f32_f16 v4, v39, v107, v4
	;;#ASMEND
	s_waitcnt lgkmcnt(2)
	;;#ASMSTART
	v_dot2_f32_f16 v5, v36, v108, v5
	;;#ASMEND
	;;#ASMSTART
	v_dot2_f32_f16 v5, v37, v109, v5
	;;#ASMEND
	;;#ASMSTART
	v_dot2_f32_f16 v5, v38, v110, v5
	;;#ASMEND
	;;#ASMSTART
	v_dot2_f32_f16 v5, v39, v111, v5
	;;#ASMEND
	s_waitcnt lgkmcnt(1)
	;;#ASMSTART
	v_dot2_f32_f16 v6, v36, v112, v6
	;;#ASMEND
	;;#ASMSTART
	v_dot2_f32_f16 v6, v37, v113, v6
	;;#ASMEND
	;;#ASMSTART
	v_dot2_f32_f16 v6, v38, v114, v6
	;;#ASMEND
	;;#ASMSTART
	v_dot2_f32_f16 v6, v39, v115, v6
	;;#ASMEND
	s_waitcnt lgkmcnt(0)
	;;#ASMSTART
	v_dot2_f32_f16 v7, v36, v116, v7
	;;#ASMEND
	;;#ASMSTART
	v_dot2_f32_f16 v7, v37, v117, v7
	;;#ASMEND
	;;#ASMSTART
	v_dot2_f32_f16 v7, v38, v118, v7
	;;#ASMEND
	;;#ASMSTART
	v_dot2_f32_f16 v7, v39, v119, v7
	;;#ASMEND
	;;#ASMSTART
	v_dot2_f32_f16 v16, v84, v88, v16
	;;#ASMEND
	;;#ASMSTART
	v_dot2_f32_f16 v16, v85, v89, v16
	;;#ASMEND
	;; [unrolled: 3-line block ×32, first 2 shown]
	ds_read_b128 v[36:39], v34 offset:32
	ds_read_b128 v[84:87], v34 offset:4640
	;; [unrolled: 1-line block ×10, first 2 shown]
	s_waitcnt lgkmcnt(7)
	;;#ASMSTART
	v_dot2_f32_f16 v8, v36, v88, v8
	;;#ASMEND
	;;#ASMSTART
	v_dot2_f32_f16 v8, v37, v89, v8
	;;#ASMEND
	;;#ASMSTART
	v_dot2_f32_f16 v8, v38, v90, v8
	;;#ASMEND
	;;#ASMSTART
	v_dot2_f32_f16 v8, v39, v91, v8
	;;#ASMEND
	s_waitcnt lgkmcnt(6)
	;;#ASMSTART
	v_dot2_f32_f16 v1, v36, v92, v1
	;;#ASMEND
	;;#ASMSTART
	v_dot2_f32_f16 v1, v37, v93, v1
	;;#ASMEND
	;;#ASMSTART
	v_dot2_f32_f16 v1, v38, v94, v1
	;;#ASMEND
	;;#ASMSTART
	v_dot2_f32_f16 v1, v39, v95, v1
	;;#ASMEND
	;; [unrolled: 13-line block ×8, first 2 shown]
	;;#ASMSTART
	v_dot2_f32_f16 v16, v84, v88, v16
	;;#ASMEND
	;;#ASMSTART
	v_dot2_f32_f16 v16, v85, v89, v16
	;;#ASMEND
	;; [unrolled: 3-line block ×32, first 2 shown]
	ds_read_b128 v[36:39], v34 offset:48
	ds_read_b128 v[84:87], v34 offset:4656
	;; [unrolled: 1-line block ×10, first 2 shown]
	s_waitcnt lgkmcnt(7)
	;;#ASMSTART
	v_dot2_f32_f16 v8, v36, v88, v8
	;;#ASMEND
	;;#ASMSTART
	v_dot2_f32_f16 v8, v37, v89, v8
	;;#ASMEND
	;;#ASMSTART
	v_dot2_f32_f16 v8, v38, v90, v8
	;;#ASMEND
	;;#ASMSTART
	v_dot2_f32_f16 v8, v39, v91, v8
	;;#ASMEND
	s_waitcnt lgkmcnt(6)
	;;#ASMSTART
	v_dot2_f32_f16 v1, v36, v92, v1
	;;#ASMEND
	;;#ASMSTART
	v_dot2_f32_f16 v1, v37, v93, v1
	;;#ASMEND
	;;#ASMSTART
	v_dot2_f32_f16 v1, v38, v94, v1
	;;#ASMEND
	;;#ASMSTART
	v_dot2_f32_f16 v1, v39, v95, v1
	;;#ASMEND
	;; [unrolled: 13-line block ×8, first 2 shown]
	;;#ASMSTART
	v_dot2_f32_f16 v16, v84, v88, v16
	;;#ASMEND
	;;#ASMSTART
	v_dot2_f32_f16 v16, v85, v89, v16
	;;#ASMEND
	;; [unrolled: 3-line block ×32, first 2 shown]
	ds_read_b128 v[36:39], v34 offset:64
	ds_read_b128 v[84:87], v34 offset:4672
	;; [unrolled: 1-line block ×10, first 2 shown]
	s_waitcnt lgkmcnt(7)
	;;#ASMSTART
	v_dot2_f32_f16 v8, v36, v88, v8
	;;#ASMEND
	;;#ASMSTART
	v_dot2_f32_f16 v8, v37, v89, v8
	;;#ASMEND
	;;#ASMSTART
	v_dot2_f32_f16 v8, v38, v90, v8
	;;#ASMEND
	;;#ASMSTART
	v_dot2_f32_f16 v8, v39, v91, v8
	;;#ASMEND
	s_waitcnt lgkmcnt(6)
	;;#ASMSTART
	v_dot2_f32_f16 v1, v36, v92, v1
	;;#ASMEND
	;;#ASMSTART
	v_dot2_f32_f16 v1, v37, v93, v1
	;;#ASMEND
	;;#ASMSTART
	v_dot2_f32_f16 v1, v38, v94, v1
	;;#ASMEND
	;;#ASMSTART
	v_dot2_f32_f16 v1, v39, v95, v1
	;;#ASMEND
	;; [unrolled: 13-line block ×8, first 2 shown]
	;;#ASMSTART
	v_dot2_f32_f16 v16, v84, v88, v16
	;;#ASMEND
	;;#ASMSTART
	v_dot2_f32_f16 v16, v85, v89, v16
	;;#ASMEND
	;; [unrolled: 3-line block ×32, first 2 shown]
	ds_read_b128 v[36:39], v34 offset:80
	ds_read_b128 v[84:87], v34 offset:4688
	;; [unrolled: 1-line block ×10, first 2 shown]
	s_waitcnt lgkmcnt(7)
	;;#ASMSTART
	v_dot2_f32_f16 v8, v36, v88, v8
	;;#ASMEND
	;;#ASMSTART
	v_dot2_f32_f16 v8, v37, v89, v8
	;;#ASMEND
	;;#ASMSTART
	v_dot2_f32_f16 v8, v38, v90, v8
	;;#ASMEND
	;;#ASMSTART
	v_dot2_f32_f16 v8, v39, v91, v8
	;;#ASMEND
	s_waitcnt lgkmcnt(6)
	;;#ASMSTART
	v_dot2_f32_f16 v1, v36, v92, v1
	;;#ASMEND
	;;#ASMSTART
	v_dot2_f32_f16 v1, v37, v93, v1
	;;#ASMEND
	;;#ASMSTART
	v_dot2_f32_f16 v1, v38, v94, v1
	;;#ASMEND
	;;#ASMSTART
	v_dot2_f32_f16 v1, v39, v95, v1
	;;#ASMEND
	;; [unrolled: 13-line block ×8, first 2 shown]
	;;#ASMSTART
	v_dot2_f32_f16 v16, v84, v88, v16
	;;#ASMEND
	;;#ASMSTART
	v_dot2_f32_f16 v16, v85, v89, v16
	;;#ASMEND
	;; [unrolled: 3-line block ×32, first 2 shown]
	ds_read_b128 v[36:39], v34 offset:96
	ds_read_b128 v[84:87], v34 offset:4704
	;; [unrolled: 1-line block ×10, first 2 shown]
	s_waitcnt lgkmcnt(7)
	;;#ASMSTART
	v_dot2_f32_f16 v8, v36, v88, v8
	;;#ASMEND
	;;#ASMSTART
	v_dot2_f32_f16 v8, v37, v89, v8
	;;#ASMEND
	;;#ASMSTART
	v_dot2_f32_f16 v8, v38, v90, v8
	;;#ASMEND
	;;#ASMSTART
	v_dot2_f32_f16 v8, v39, v91, v8
	;;#ASMEND
	s_waitcnt lgkmcnt(6)
	;;#ASMSTART
	v_dot2_f32_f16 v1, v36, v92, v1
	;;#ASMEND
	;;#ASMSTART
	v_dot2_f32_f16 v1, v37, v93, v1
	;;#ASMEND
	;;#ASMSTART
	v_dot2_f32_f16 v1, v38, v94, v1
	;;#ASMEND
	;;#ASMSTART
	v_dot2_f32_f16 v1, v39, v95, v1
	;;#ASMEND
	;; [unrolled: 13-line block ×8, first 2 shown]
	;;#ASMSTART
	v_dot2_f32_f16 v16, v84, v88, v16
	;;#ASMEND
	;;#ASMSTART
	v_dot2_f32_f16 v16, v85, v89, v16
	;;#ASMEND
	;; [unrolled: 3-line block ×32, first 2 shown]
	ds_read_b128 v[36:39], v34 offset:112
	ds_read_b128 v[84:87], v34 offset:4720
	ds_read_b128 v[88:91], v60 offset:17520
	ds_read_b128 v[92:95], v60 offset:17648
	ds_read_b128 v[96:99], v60 offset:17776
	ds_read_b128 v[100:103], v60 offset:17904
	ds_read_b128 v[104:107], v60 offset:18032
	ds_read_b128 v[108:111], v60 offset:18160
	ds_read_b128 v[112:115], v60 offset:18288
	ds_read_b128 v[116:119], v60 offset:18416
	s_waitcnt lgkmcnt(7)
	;;#ASMSTART
	v_dot2_f32_f16 v8, v36, v88, v8
	;;#ASMEND
	;;#ASMSTART
	v_dot2_f32_f16 v8, v37, v89, v8
	;;#ASMEND
	;;#ASMSTART
	v_dot2_f32_f16 v8, v38, v90, v8
	;;#ASMEND
	;;#ASMSTART
	v_dot2_f32_f16 v8, v39, v91, v8
	;;#ASMEND
	s_waitcnt lgkmcnt(6)
	;;#ASMSTART
	v_dot2_f32_f16 v1, v36, v92, v1
	;;#ASMEND
	;;#ASMSTART
	v_dot2_f32_f16 v1, v37, v93, v1
	;;#ASMEND
	;;#ASMSTART
	v_dot2_f32_f16 v1, v38, v94, v1
	;;#ASMEND
	;;#ASMSTART
	v_dot2_f32_f16 v1, v39, v95, v1
	;;#ASMEND
	;; [unrolled: 13-line block ×8, first 2 shown]
	;;#ASMSTART
	v_dot2_f32_f16 v16, v84, v88, v16
	;;#ASMEND
	;;#ASMSTART
	v_dot2_f32_f16 v16, v85, v89, v16
	;;#ASMEND
	;; [unrolled: 3-line block ×29, first 2 shown]
	v_cndmask_b32_e64 v34, 0, 1, s[12:13]
	;;#ASMSTART
	v_dot2_f32_f16 v15, v85, v117, v15
	;;#ASMEND
	v_cmp_ne_u32_e64 s[12:13], 1, v34
	v_pk_mov_b32 v[40:41], v[32:33], v[32:33] op_sel:[0,1]
	;;#ASMSTART
	v_dot2_f32_f16 v15, v86, v118, v15
	;;#ASMEND
	v_pk_mov_b32 v[38:39], v[30:31], v[30:31] op_sel:[0,1]
	v_pk_mov_b32 v[36:37], v[28:29], v[28:29] op_sel:[0,1]
	;; [unrolled: 1-line block ×3, first 2 shown]
	;;#ASMSTART
	v_dot2_f32_f16 v15, v87, v119, v15
	;;#ASMEND
	s_and_saveexec_b64 s[16:17], s[14:15]
	s_cbranch_execz .LBB52_51
; %bb.48:
	s_and_b64 vcc, exec, s[12:13]
	s_cbranch_vccnz .LBB52_50
; %bb.49:
	v_add_u32_e32 v34, v83, v56
	v_ashrrev_i32_e32 v35, 31, v34
	v_lshlrev_b64 v[34:35], 1, v[34:35]
	v_mov_b32_e32 v36, s45
	v_add_co_u32_e32 v34, vcc, s44, v34
	v_addc_co_u32_e32 v35, vcc, v36, v35, vcc
	flat_load_ushort v34, v[34:35]
	s_waitcnt vmcnt(0) lgkmcnt(0)
	v_cvt_f32_f16_e32 v34, v34
	v_mul_f32_e32 v82, v68, v34
.LBB52_50:
	v_add_f32_e32 v8, v8, v82
	v_add_f32_e32 v34, 0x40051340, v8
	v_max_f32_e32 v35, v26, v26
	v_max_f32_e32 v82, v35, v34
	v_pk_mov_b32 v[40:41], v[32:33], v[32:33] op_sel:[0,1]
	v_pk_mov_b32 v[34:35], v[26:27], v[26:27] op_sel:[0,1]
	;; [unrolled: 1-line block ×4, first 2 shown]
	v_mov_b32_e32 v34, v82
.LBB52_51:
	s_or_b64 exec, exec, s[16:17]
	v_add_u32_e32 v89, 32, v56
	v_cmp_gt_i32_e64 s[16:17], s41, v89
	s_and_saveexec_b64 s[20:21], s[16:17]
	s_cbranch_execz .LBB52_56
; %bb.52:
	s_and_b64 vcc, exec, s[12:13]
	s_cbranch_vccnz .LBB52_54
; %bb.53:
	v_ashrrev_i32_e32 v84, 31, v83
	v_add_co_u32_e32 v82, vcc, v83, v56
	v_addc_co_u32_e32 v83, vcc, 0, v84, vcc
	v_lshlrev_b64 v[82:83], 1, v[82:83]
	v_mov_b32_e32 v84, s45
	v_add_co_u32_e32 v82, vcc, s44, v82
	v_addc_co_u32_e32 v83, vcc, v84, v83, vcc
	flat_load_ushort v82, v[82:83] offset:64
	s_waitcnt vmcnt(0) lgkmcnt(0)
	v_cvt_f32_f16_e32 v82, v82
	v_mul_f32_e32 v82, v68, v82
	s_branch .LBB52_55
.LBB52_54:
	v_mov_b32_e32 v82, 0
.LBB52_55:
	v_add_f32_e32 v16, v16, v82
	v_add_f32_e32 v82, 0x40051340, v16
	v_max_f32_e32 v34, v34, v34
	v_max_f32_e32 v34, v34, v82
.LBB52_56:
	s_or_b64 exec, exec, s[20:21]
	v_mbcnt_hi_u32_b32 v82, -1, v78
	v_and_b32_e32 v78, 0x60, v82
	v_add_u32_e32 v83, 32, v78
	v_xor_b32_e32 v85, 16, v82
	v_cmp_lt_i32_e32 vcc, v85, v83
	v_cndmask_b32_e32 v78, v82, v85, vcc
	v_lshlrev_b32_e32 v78, 2, v78
	ds_bpermute_b32 v84, v78, v34
	v_xor_b32_e32 v88, 8, v82
	v_cmp_lt_i32_e32 vcc, v88, v83
	v_cndmask_b32_e32 v86, v82, v88, vcc
	v_max_f32_e32 v34, v34, v34
	s_waitcnt lgkmcnt(0)
	v_max_f32_e32 v84, v84, v84
	v_lshlrev_b32_e32 v90, 2, v86
	v_max_f32_e32 v34, v34, v84
	ds_bpermute_b32 v84, v90, v34
	v_xor_b32_e32 v86, 4, v82
	v_cmp_lt_i32_e32 vcc, v86, v83
	v_cndmask_b32_e32 v87, v82, v86, vcc
	v_lshlrev_b32_e32 v91, 2, v87
	s_waitcnt lgkmcnt(0)
	v_max_f32_e32 v84, v84, v84
	v_max_f32_e32 v34, v34, v84
	ds_bpermute_b32 v84, v91, v34
	v_xor_b32_e32 v87, 2, v82
	v_cmp_lt_i32_e32 vcc, v87, v83
	v_cndmask_b32_e32 v92, v82, v87, vcc
	v_lshlrev_b32_e32 v92, 2, v92
	s_waitcnt lgkmcnt(0)
	v_max_f32_e32 v84, v84, v84
	;; [unrolled: 8-line block ×3, first 2 shown]
	v_max_f32_e32 v34, v34, v94
	ds_bpermute_b32 v94, v93, v34
	v_mul_hi_u32 v95, s36, v77
	s_waitcnt lgkmcnt(0)
	v_max_f32_e32 v94, v94, v94
	v_max_f32_e32 v34, v34, v94
	v_add_u32_e32 v94, v77, v95
	v_lshrrev_b32_e32 v94, s37, v94
	v_mul_lo_u32 v94, v94, s38
	v_sub_u32_e32 v77, v77, v94
	v_mul_lo_u32 v77, v77, s40
	v_add_u32_e32 v77, s27, v77
	s_and_saveexec_b64 s[20:21], s[14:15]
	s_cbranch_execz .LBB52_61
; %bb.57:
	s_and_b64 vcc, exec, s[12:13]
	s_cbranch_vccnz .LBB52_59
; %bb.58:
	v_add_u32_e32 v94, v77, v56
	v_ashrrev_i32_e32 v95, 31, v94
	v_lshlrev_b64 v[94:95], 1, v[94:95]
	v_mov_b32_e32 v96, s45
	v_add_co_u32_e32 v94, vcc, s44, v94
	v_addc_co_u32_e32 v95, vcc, v96, v95, vcc
	flat_load_ushort v94, v[94:95]
	s_waitcnt vmcnt(0) lgkmcnt(0)
	v_cvt_f32_f16_e32 v94, v94
	v_mul_f32_e32 v94, v68, v94
	s_branch .LBB52_60
.LBB52_59:
	v_mov_b32_e32 v94, 0
.LBB52_60:
	v_add_f32_e32 v1, v1, v94
	v_add_f32_e32 v94, 0x40051340, v1
	v_max_f32_e32 v35, v35, v35
	v_max_f32_e32 v35, v35, v94
.LBB52_61:
	s_or_b64 exec, exec, s[20:21]
	s_and_saveexec_b64 s[20:21], s[16:17]
	s_cbranch_execz .LBB52_66
; %bb.62:
	s_and_b64 vcc, exec, s[12:13]
	s_cbranch_vccnz .LBB52_64
; %bb.63:
	v_ashrrev_i32_e32 v95, 31, v77
	v_add_co_u32_e32 v94, vcc, v77, v56
	v_addc_co_u32_e32 v95, vcc, 0, v95, vcc
	v_lshlrev_b64 v[94:95], 1, v[94:95]
	v_mov_b32_e32 v77, s45
	v_add_co_u32_e32 v94, vcc, s44, v94
	v_addc_co_u32_e32 v95, vcc, v77, v95, vcc
	flat_load_ushort v77, v[94:95] offset:64
	s_waitcnt vmcnt(0) lgkmcnt(0)
	v_cvt_f32_f16_e32 v77, v77
	v_mul_f32_e32 v77, v68, v77
	s_branch .LBB52_65
.LBB52_64:
	v_mov_b32_e32 v77, 0
.LBB52_65:
	v_add_f32_e32 v9, v9, v77
	v_add_f32_e32 v77, 0x40051340, v9
	v_max_f32_e32 v35, v35, v35
	v_max_f32_e32 v35, v35, v77
.LBB52_66:
	s_or_b64 exec, exec, s[20:21]
	ds_bpermute_b32 v77, v78, v35
	v_max_f32_e32 v35, v35, v35
	v_mul_hi_u32 v94, s36, v76
	v_add_u32_e32 v94, v76, v94
	v_lshrrev_b32_e32 v94, s37, v94
	s_waitcnt lgkmcnt(0)
	v_max_f32_e32 v77, v77, v77
	v_max_f32_e32 v35, v35, v77
	ds_bpermute_b32 v77, v90, v35
	v_mul_lo_u32 v94, v94, s38
	v_sub_u32_e32 v76, v76, v94
	v_mul_lo_u32 v76, v76, s40
	v_add_u32_e32 v76, s27, v76
	s_waitcnt lgkmcnt(0)
	v_max_f32_e32 v77, v77, v77
	v_max_f32_e32 v35, v35, v77
	ds_bpermute_b32 v77, v91, v35
	s_waitcnt lgkmcnt(0)
	v_max_f32_e32 v77, v77, v77
	v_max_f32_e32 v35, v35, v77
	ds_bpermute_b32 v77, v92, v35
	;; [unrolled: 4-line block ×3, first 2 shown]
	s_waitcnt lgkmcnt(0)
	v_max_f32_e32 v77, v77, v77
	v_max_f32_e32 v35, v35, v77
	s_and_saveexec_b64 s[20:21], s[14:15]
	s_cbranch_execz .LBB52_71
; %bb.67:
	s_and_b64 vcc, exec, s[12:13]
	s_cbranch_vccnz .LBB52_69
; %bb.68:
	v_add_u32_e32 v94, v76, v56
	v_ashrrev_i32_e32 v95, 31, v94
	v_lshlrev_b64 v[94:95], 1, v[94:95]
	v_mov_b32_e32 v77, s45
	v_add_co_u32_e32 v94, vcc, s44, v94
	v_addc_co_u32_e32 v95, vcc, v77, v95, vcc
	flat_load_ushort v77, v[94:95]
	s_waitcnt vmcnt(0) lgkmcnt(0)
	v_cvt_f32_f16_e32 v77, v77
	v_mul_f32_e32 v77, v68, v77
	s_branch .LBB52_70
.LBB52_69:
	v_mov_b32_e32 v77, 0
.LBB52_70:
	v_add_f32_e32 v2, v2, v77
	v_add_f32_e32 v77, 0x40051340, v2
	v_max_f32_e32 v36, v36, v36
	v_max_f32_e32 v36, v36, v77
.LBB52_71:
	s_or_b64 exec, exec, s[20:21]
	s_and_saveexec_b64 s[20:21], s[16:17]
	s_cbranch_execz .LBB52_76
; %bb.72:
	s_and_b64 vcc, exec, s[12:13]
	s_cbranch_vccnz .LBB52_74
; %bb.73:
	v_ashrrev_i32_e32 v77, 31, v76
	v_add_co_u32_e32 v76, vcc, v76, v56
	v_addc_co_u32_e32 v77, vcc, 0, v77, vcc
	v_lshlrev_b64 v[76:77], 1, v[76:77]
	v_mov_b32_e32 v94, s45
	v_add_co_u32_e32 v76, vcc, s44, v76
	v_addc_co_u32_e32 v77, vcc, v94, v77, vcc
	flat_load_ushort v76, v[76:77] offset:64
	s_waitcnt vmcnt(0) lgkmcnt(0)
	v_cvt_f32_f16_e32 v76, v76
	v_mul_f32_e32 v76, v68, v76
	s_branch .LBB52_75
.LBB52_74:
	v_mov_b32_e32 v76, 0
.LBB52_75:
	v_add_f32_e32 v10, v10, v76
	v_add_f32_e32 v76, 0x40051340, v10
	v_max_f32_e32 v36, v36, v36
	v_max_f32_e32 v36, v36, v76
.LBB52_76:
	s_or_b64 exec, exec, s[20:21]
	ds_bpermute_b32 v76, v78, v36
	v_max_f32_e32 v36, v36, v36
	v_mul_hi_u32 v77, s36, v75
	v_add_u32_e32 v77, v75, v77
	v_lshrrev_b32_e32 v77, s37, v77
	s_waitcnt lgkmcnt(0)
	v_max_f32_e32 v76, v76, v76
	v_max_f32_e32 v36, v36, v76
	ds_bpermute_b32 v76, v90, v36
	v_mul_lo_u32 v77, v77, s38
	v_sub_u32_e32 v75, v75, v77
	v_mul_lo_u32 v75, v75, s40
	v_add_u32_e32 v75, s27, v75
	s_waitcnt lgkmcnt(0)
	v_max_f32_e32 v76, v76, v76
	v_max_f32_e32 v36, v36, v76
	ds_bpermute_b32 v76, v91, v36
	s_waitcnt lgkmcnt(0)
	v_max_f32_e32 v76, v76, v76
	v_max_f32_e32 v36, v36, v76
	ds_bpermute_b32 v76, v92, v36
	;; [unrolled: 4-line block ×3, first 2 shown]
	s_waitcnt lgkmcnt(0)
	v_max_f32_e32 v76, v76, v76
	v_max_f32_e32 v36, v36, v76
	s_and_saveexec_b64 s[20:21], s[14:15]
	s_cbranch_execz .LBB52_81
; %bb.77:
	s_and_b64 vcc, exec, s[12:13]
	s_cbranch_vccnz .LBB52_79
; %bb.78:
	v_add_u32_e32 v76, v75, v56
	v_ashrrev_i32_e32 v77, 31, v76
	v_lshlrev_b64 v[76:77], 1, v[76:77]
	v_mov_b32_e32 v94, s45
	v_add_co_u32_e32 v76, vcc, s44, v76
	v_addc_co_u32_e32 v77, vcc, v94, v77, vcc
	flat_load_ushort v76, v[76:77]
	s_waitcnt vmcnt(0) lgkmcnt(0)
	v_cvt_f32_f16_e32 v76, v76
	v_mul_f32_e32 v76, v68, v76
	s_branch .LBB52_80
.LBB52_79:
	v_mov_b32_e32 v76, 0
.LBB52_80:
	v_add_f32_e32 v3, v3, v76
	v_add_f32_e32 v76, 0x40051340, v3
	v_max_f32_e32 v37, v37, v37
	v_max_f32_e32 v37, v37, v76
.LBB52_81:
	s_or_b64 exec, exec, s[20:21]
	s_and_saveexec_b64 s[20:21], s[16:17]
	s_cbranch_execz .LBB52_86
; %bb.82:
	s_and_b64 vcc, exec, s[12:13]
	s_cbranch_vccnz .LBB52_84
; %bb.83:
	v_ashrrev_i32_e32 v77, 31, v75
	v_add_co_u32_e32 v76, vcc, v75, v56
	v_addc_co_u32_e32 v77, vcc, 0, v77, vcc
	v_lshlrev_b64 v[76:77], 1, v[76:77]
	v_mov_b32_e32 v75, s45
	v_add_co_u32_e32 v76, vcc, s44, v76
	v_addc_co_u32_e32 v77, vcc, v75, v77, vcc
	flat_load_ushort v75, v[76:77] offset:64
	s_waitcnt vmcnt(0) lgkmcnt(0)
	v_cvt_f32_f16_e32 v75, v75
	v_mul_f32_e32 v75, v68, v75
	s_branch .LBB52_85
.LBB52_84:
	v_mov_b32_e32 v75, 0
.LBB52_85:
	v_add_f32_e32 v11, v11, v75
	v_add_f32_e32 v75, 0x40051340, v11
	v_max_f32_e32 v37, v37, v37
	v_max_f32_e32 v37, v37, v75
.LBB52_86:
	s_or_b64 exec, exec, s[20:21]
	ds_bpermute_b32 v75, v78, v37
	v_max_f32_e32 v37, v37, v37
	v_mul_hi_u32 v76, s36, v74
	v_add_u32_e32 v76, v74, v76
	v_lshrrev_b32_e32 v76, s37, v76
	s_waitcnt lgkmcnt(0)
	v_max_f32_e32 v75, v75, v75
	v_max_f32_e32 v37, v37, v75
	ds_bpermute_b32 v75, v90, v37
	v_mul_lo_u32 v76, v76, s38
	v_sub_u32_e32 v74, v74, v76
	v_mul_lo_u32 v74, v74, s40
	v_add_u32_e32 v74, s27, v74
	s_waitcnt lgkmcnt(0)
	v_max_f32_e32 v75, v75, v75
	v_max_f32_e32 v37, v37, v75
	ds_bpermute_b32 v75, v91, v37
	s_waitcnt lgkmcnt(0)
	v_max_f32_e32 v75, v75, v75
	v_max_f32_e32 v37, v37, v75
	ds_bpermute_b32 v75, v92, v37
	;; [unrolled: 4-line block ×3, first 2 shown]
	s_waitcnt lgkmcnt(0)
	v_max_f32_e32 v75, v75, v75
	v_max_f32_e32 v37, v37, v75
	s_and_saveexec_b64 s[20:21], s[14:15]
	s_cbranch_execz .LBB52_91
; %bb.87:
	s_and_b64 vcc, exec, s[12:13]
	s_cbranch_vccnz .LBB52_89
; %bb.88:
	v_add_u32_e32 v76, v74, v56
	v_ashrrev_i32_e32 v77, 31, v76
	v_lshlrev_b64 v[76:77], 1, v[76:77]
	v_mov_b32_e32 v75, s45
	v_add_co_u32_e32 v76, vcc, s44, v76
	v_addc_co_u32_e32 v77, vcc, v75, v77, vcc
	flat_load_ushort v75, v[76:77]
	s_waitcnt vmcnt(0) lgkmcnt(0)
	v_cvt_f32_f16_e32 v75, v75
	v_mul_f32_e32 v75, v68, v75
	s_branch .LBB52_90
.LBB52_89:
	v_mov_b32_e32 v75, 0
.LBB52_90:
	v_add_f32_e32 v4, v4, v75
	v_add_f32_e32 v75, 0x40051340, v4
	v_max_f32_e32 v38, v38, v38
	v_max_f32_e32 v38, v38, v75
.LBB52_91:
	s_or_b64 exec, exec, s[20:21]
	s_and_saveexec_b64 s[20:21], s[16:17]
	s_cbranch_execz .LBB52_96
; %bb.92:
	s_and_b64 vcc, exec, s[12:13]
	s_cbranch_vccnz .LBB52_94
; %bb.93:
	v_ashrrev_i32_e32 v75, 31, v74
	v_add_co_u32_e32 v74, vcc, v74, v56
	v_addc_co_u32_e32 v75, vcc, 0, v75, vcc
	v_lshlrev_b64 v[74:75], 1, v[74:75]
	v_mov_b32_e32 v76, s45
	v_add_co_u32_e32 v74, vcc, s44, v74
	v_addc_co_u32_e32 v75, vcc, v76, v75, vcc
	flat_load_ushort v74, v[74:75] offset:64
	s_waitcnt vmcnt(0) lgkmcnt(0)
	v_cvt_f32_f16_e32 v74, v74
	v_mul_f32_e32 v74, v68, v74
	s_branch .LBB52_95
.LBB52_94:
	v_mov_b32_e32 v74, 0
.LBB52_95:
	v_add_f32_e32 v12, v12, v74
	v_add_f32_e32 v74, 0x40051340, v12
	v_max_f32_e32 v38, v38, v38
	v_max_f32_e32 v38, v38, v74
.LBB52_96:
	s_or_b64 exec, exec, s[20:21]
	ds_bpermute_b32 v74, v78, v38
	v_max_f32_e32 v38, v38, v38
	v_mul_hi_u32 v75, s36, v73
	v_add_u32_e32 v75, v73, v75
	v_lshrrev_b32_e32 v75, s37, v75
	s_waitcnt lgkmcnt(0)
	v_max_f32_e32 v74, v74, v74
	v_max_f32_e32 v38, v38, v74
	ds_bpermute_b32 v74, v90, v38
	v_mul_lo_u32 v75, v75, s38
	v_sub_u32_e32 v73, v73, v75
	v_mul_lo_u32 v73, v73, s40
	v_add_u32_e32 v73, s27, v73
	s_waitcnt lgkmcnt(0)
	v_max_f32_e32 v74, v74, v74
	v_max_f32_e32 v38, v38, v74
	ds_bpermute_b32 v74, v91, v38
	s_waitcnt lgkmcnt(0)
	v_max_f32_e32 v74, v74, v74
	v_max_f32_e32 v38, v38, v74
	ds_bpermute_b32 v74, v92, v38
	;; [unrolled: 4-line block ×3, first 2 shown]
	s_waitcnt lgkmcnt(0)
	v_max_f32_e32 v74, v74, v74
	v_max_f32_e32 v38, v38, v74
	s_and_saveexec_b64 s[20:21], s[14:15]
	s_cbranch_execz .LBB52_101
; %bb.97:
	s_and_b64 vcc, exec, s[12:13]
	s_cbranch_vccnz .LBB52_99
; %bb.98:
	v_add_u32_e32 v74, v73, v56
	v_ashrrev_i32_e32 v75, 31, v74
	v_lshlrev_b64 v[74:75], 1, v[74:75]
	v_mov_b32_e32 v76, s45
	v_add_co_u32_e32 v74, vcc, s44, v74
	v_addc_co_u32_e32 v75, vcc, v76, v75, vcc
	flat_load_ushort v74, v[74:75]
	s_waitcnt vmcnt(0) lgkmcnt(0)
	v_cvt_f32_f16_e32 v74, v74
	v_mul_f32_e32 v74, v68, v74
	s_branch .LBB52_100
.LBB52_99:
	v_mov_b32_e32 v74, 0
.LBB52_100:
	v_add_f32_e32 v5, v5, v74
	v_add_f32_e32 v74, 0x40051340, v5
	v_max_f32_e32 v39, v39, v39
	v_max_f32_e32 v39, v39, v74
.LBB52_101:
	s_or_b64 exec, exec, s[20:21]
	s_and_saveexec_b64 s[20:21], s[16:17]
	s_cbranch_execz .LBB52_106
; %bb.102:
	s_and_b64 vcc, exec, s[12:13]
	s_cbranch_vccnz .LBB52_104
; %bb.103:
	v_ashrrev_i32_e32 v75, 31, v73
	v_add_co_u32_e32 v74, vcc, v73, v56
	v_addc_co_u32_e32 v75, vcc, 0, v75, vcc
	v_lshlrev_b64 v[74:75], 1, v[74:75]
	v_mov_b32_e32 v73, s45
	v_add_co_u32_e32 v74, vcc, s44, v74
	v_addc_co_u32_e32 v75, vcc, v73, v75, vcc
	flat_load_ushort v73, v[74:75] offset:64
	s_waitcnt vmcnt(0) lgkmcnt(0)
	v_cvt_f32_f16_e32 v73, v73
	v_mul_f32_e32 v73, v68, v73
	s_branch .LBB52_105
.LBB52_104:
	v_mov_b32_e32 v73, 0
.LBB52_105:
	v_add_f32_e32 v13, v13, v73
	v_add_f32_e32 v73, 0x40051340, v13
	v_max_f32_e32 v39, v39, v39
	v_max_f32_e32 v39, v39, v73
.LBB52_106:
	s_or_b64 exec, exec, s[20:21]
	ds_bpermute_b32 v73, v78, v39
	v_max_f32_e32 v39, v39, v39
	v_mul_hi_u32 v74, s36, v72
	v_add_u32_e32 v74, v72, v74
	v_lshrrev_b32_e32 v74, s37, v74
	s_waitcnt lgkmcnt(0)
	v_max_f32_e32 v73, v73, v73
	v_max_f32_e32 v39, v39, v73
	ds_bpermute_b32 v73, v90, v39
	v_mul_lo_u32 v74, v74, s38
	v_sub_u32_e32 v72, v72, v74
	v_mul_lo_u32 v72, v72, s40
	v_add_u32_e32 v72, s27, v72
	s_waitcnt lgkmcnt(0)
	v_max_f32_e32 v73, v73, v73
	v_max_f32_e32 v39, v39, v73
	ds_bpermute_b32 v73, v91, v39
	s_waitcnt lgkmcnt(0)
	v_max_f32_e32 v73, v73, v73
	v_max_f32_e32 v39, v39, v73
	ds_bpermute_b32 v73, v92, v39
	;; [unrolled: 4-line block ×3, first 2 shown]
	s_waitcnt lgkmcnt(0)
	v_max_f32_e32 v73, v73, v73
	v_max_f32_e32 v39, v39, v73
	s_and_saveexec_b64 s[20:21], s[14:15]
	s_cbranch_execz .LBB52_111
; %bb.107:
	s_and_b64 vcc, exec, s[12:13]
	s_cbranch_vccnz .LBB52_109
; %bb.108:
	v_add_u32_e32 v74, v72, v56
	v_ashrrev_i32_e32 v75, 31, v74
	v_lshlrev_b64 v[74:75], 1, v[74:75]
	v_mov_b32_e32 v73, s45
	v_add_co_u32_e32 v74, vcc, s44, v74
	v_addc_co_u32_e32 v75, vcc, v73, v75, vcc
	flat_load_ushort v73, v[74:75]
	s_waitcnt vmcnt(0) lgkmcnt(0)
	v_cvt_f32_f16_e32 v73, v73
	v_mul_f32_e32 v73, v68, v73
	s_branch .LBB52_110
.LBB52_109:
	v_mov_b32_e32 v73, 0
.LBB52_110:
	v_add_f32_e32 v6, v6, v73
	v_add_f32_e32 v73, 0x40051340, v6
	v_max_f32_e32 v40, v40, v40
	v_max_f32_e32 v40, v40, v73
.LBB52_111:
	s_or_b64 exec, exec, s[20:21]
	s_and_saveexec_b64 s[20:21], s[16:17]
	s_cbranch_execz .LBB52_116
; %bb.112:
	s_and_b64 vcc, exec, s[12:13]
	s_cbranch_vccnz .LBB52_114
; %bb.113:
	v_ashrrev_i32_e32 v73, 31, v72
	v_add_co_u32_e32 v72, vcc, v72, v56
	v_addc_co_u32_e32 v73, vcc, 0, v73, vcc
	v_lshlrev_b64 v[72:73], 1, v[72:73]
	v_mov_b32_e32 v74, s45
	v_add_co_u32_e32 v72, vcc, s44, v72
	v_addc_co_u32_e32 v73, vcc, v74, v73, vcc
	flat_load_ushort v72, v[72:73] offset:64
	s_waitcnt vmcnt(0) lgkmcnt(0)
	v_cvt_f32_f16_e32 v72, v72
	v_mul_f32_e32 v72, v68, v72
	s_branch .LBB52_115
.LBB52_114:
	v_mov_b32_e32 v72, 0
.LBB52_115:
	v_add_f32_e32 v14, v14, v72
	v_add_f32_e32 v72, 0x40051340, v14
	v_max_f32_e32 v40, v40, v40
	v_max_f32_e32 v40, v40, v72
.LBB52_116:
	s_or_b64 exec, exec, s[20:21]
	ds_bpermute_b32 v72, v78, v40
	v_max_f32_e32 v40, v40, v40
	v_mul_hi_u32 v73, s36, v71
	v_add_u32_e32 v73, v71, v73
	v_lshrrev_b32_e32 v73, s37, v73
	s_waitcnt lgkmcnt(0)
	v_max_f32_e32 v72, v72, v72
	v_max_f32_e32 v40, v40, v72
	ds_bpermute_b32 v72, v90, v40
	v_mul_lo_u32 v73, v73, s38
	v_sub_u32_e32 v71, v71, v73
	v_mul_lo_u32 v71, v71, s40
	v_add_u32_e32 v71, s27, v71
	s_waitcnt lgkmcnt(0)
	v_max_f32_e32 v72, v72, v72
	v_max_f32_e32 v40, v40, v72
	ds_bpermute_b32 v72, v91, v40
	s_waitcnt lgkmcnt(0)
	v_max_f32_e32 v72, v72, v72
	v_max_f32_e32 v40, v40, v72
	ds_bpermute_b32 v72, v92, v40
	;; [unrolled: 4-line block ×3, first 2 shown]
	s_waitcnt lgkmcnt(0)
	v_max_f32_e32 v72, v72, v72
	v_max_f32_e32 v40, v40, v72
	s_and_saveexec_b64 s[20:21], s[14:15]
	s_cbranch_execz .LBB52_121
; %bb.117:
	s_and_b64 vcc, exec, s[12:13]
	s_cbranch_vccnz .LBB52_119
; %bb.118:
	v_add_u32_e32 v72, v71, v56
	v_ashrrev_i32_e32 v73, 31, v72
	v_lshlrev_b64 v[72:73], 1, v[72:73]
	v_mov_b32_e32 v74, s45
	v_add_co_u32_e32 v72, vcc, s44, v72
	v_addc_co_u32_e32 v73, vcc, v74, v73, vcc
	flat_load_ushort v72, v[72:73]
	s_waitcnt vmcnt(0) lgkmcnt(0)
	v_cvt_f32_f16_e32 v72, v72
	v_mul_f32_e32 v72, v68, v72
	s_branch .LBB52_120
.LBB52_119:
	v_mov_b32_e32 v72, 0
.LBB52_120:
	v_add_f32_e32 v7, v7, v72
	v_add_f32_e32 v72, 0x40051340, v7
	v_max_f32_e32 v41, v41, v41
	v_max_f32_e32 v41, v41, v72
.LBB52_121:
	s_or_b64 exec, exec, s[20:21]
	s_and_saveexec_b64 s[14:15], s[16:17]
	s_cbranch_execz .LBB52_126
; %bb.122:
	s_and_b64 vcc, exec, s[12:13]
	s_cbranch_vccnz .LBB52_124
; %bb.123:
	v_ashrrev_i32_e32 v73, 31, v71
	v_add_co_u32_e32 v72, vcc, v71, v56
	v_addc_co_u32_e32 v73, vcc, 0, v73, vcc
	v_lshlrev_b64 v[72:73], 1, v[72:73]
	v_mov_b32_e32 v71, s45
	v_add_co_u32_e32 v72, vcc, s44, v72
	v_addc_co_u32_e32 v73, vcc, v71, v73, vcc
	flat_load_ushort v71, v[72:73] offset:64
	s_waitcnt vmcnt(0) lgkmcnt(0)
	v_cvt_f32_f16_e32 v71, v71
	v_mul_f32_e32 v68, v68, v71
	s_branch .LBB52_125
.LBB52_124:
	v_mov_b32_e32 v68, 0
.LBB52_125:
	v_add_f32_e32 v15, v15, v68
	v_add_f32_e32 v68, 0x40051340, v15
	v_max_f32_e32 v41, v41, v41
	v_max_f32_e32 v41, v41, v68
.LBB52_126:
	s_or_b64 exec, exec, s[14:15]
	v_sub_f32_e32 v72, v1, v35
	ds_bpermute_b32 v1, v78, v41
	v_sub_f32_e32 v68, v8, v34
	v_max_f32_e32 v8, v41, v41
	s_load_dwordx2 s[4:5], s[4:5], 0x4
	v_sub_f32_e32 v73, v9, v35
	s_waitcnt lgkmcnt(0)
	v_max_f32_e32 v1, v1, v1
	v_max_f32_e32 v1, v8, v1
	ds_bpermute_b32 v8, v90, v1
	v_mul_f32_e32 v9, 0x3fb8aa3b, v68
	s_lshr_b32 s4, s4, 16
	s_mov_b32 s14, 0x3fb8aa3b
	v_rndne_f32_e32 v75, v9
	s_waitcnt lgkmcnt(0)
	v_max_f32_e32 v8, v8, v8
	v_max_f32_e32 v1, v1, v8
	ds_bpermute_b32 v8, v91, v1
	s_mul_i32 s4, s4, s5
	v_fma_f32 v74, v68, s14, -v9
	v_sub_f32_e32 v76, v9, v75
	v_mul_lo_u32 v9, s4, v56
	s_waitcnt lgkmcnt(0)
	v_max_f32_e32 v8, v8, v8
	v_max_f32_e32 v1, v1, v8
	ds_bpermute_b32 v8, v92, v1
	v_bfe_u32 v0, v0, 20, 10
	v_mad_u32_u24 v9, v65, s5, v9
	v_sub_f32_e32 v71, v16, v34
	v_fmac_f32_e32 v74, 0x32a5705f, v68
	s_waitcnt lgkmcnt(0)
	v_max_f32_e32 v8, v8, v8
	v_max_f32_e32 v1, v1, v8
	ds_bpermute_b32 v8, v93, v1
	v_add_lshl_u32 v16, v9, v0, 4
	s_mov_b32 s15, 0xc2ce8ed0
	v_cmp_ngt_f32_e32 vcc, s15, v68
	s_mov_b32 s16, 0x42b17218
	s_waitcnt lgkmcnt(0)
	v_max_f32_e32 v0, v8, v8
	v_max_f32_e32 v41, v1, v0
	v_add_f32_e32 v0, v76, v74
	v_exp_f32_e32 v0, v0
	v_cvt_i32_f32_e32 v8, v75
	v_sub_f32_e32 v1, v26, v34
	v_mul_f32_e32 v26, 0x3fb8aa3b, v71
	v_fma_f32 v65, v71, s14, -v26
	v_ldexp_f32 v0, v0, v8
	v_cndmask_b32_e32 v0, 0, v0, vcc
	v_cmp_nlt_f32_e32 vcc, s16, v68
	v_rndne_f32_e32 v68, v26
	v_fmac_f32_e32 v65, 0x32a5705f, v71
	v_sub_f32_e32 v26, v26, v68
	v_add_f32_e32 v26, v26, v65
	v_exp_f32_e32 v26, v26
	v_cvt_i32_f32_e32 v65, v68
	v_cmp_ngt_f32_e64 s[4:5], s15, v71
	v_sub_f32_e32 v2, v2, v36
	v_sub_f32_e32 v10, v10, v36
	v_ldexp_f32 v26, v26, v65
	v_mul_f32_e32 v65, 0x3fb8aa3b, v72
	v_cndmask_b32_e64 v26, 0, v26, s[4:5]
	v_cmp_nlt_f32_e64 s[4:5], s16, v71
	v_fma_f32 v71, v72, s14, -v65
	v_rndne_f32_e32 v74, v65
	v_fmac_f32_e32 v71, 0x32a5705f, v72
	v_sub_f32_e32 v65, v65, v74
	v_add_f32_e32 v65, v65, v71
	v_exp_f32_e32 v65, v65
	v_cvt_i32_f32_e32 v71, v74
	v_sub_f32_e32 v3, v3, v37
	v_sub_f32_e32 v11, v11, v37
	;; [unrolled: 1-line block ×3, first 2 shown]
	v_ldexp_f32 v65, v65, v71
	v_mul_f32_e32 v71, 0x3fb8aa3b, v73
	v_fma_f32 v75, v73, s14, -v71
	v_rndne_f32_e32 v76, v71
	v_fmac_f32_e32 v75, 0x32a5705f, v73
	v_sub_f32_e32 v71, v71, v76
	v_add_f32_e32 v71, v71, v75
	v_exp_f32_e32 v71, v71
	v_cvt_i32_f32_e32 v75, v76
	v_sub_f32_e32 v12, v12, v38
	v_cmp_ngt_f32_e64 s[12:13], s15, v72
	v_mov_b32_e32 v8, 0x7f800000
	v_ldexp_f32 v71, v71, v75
	v_mul_f32_e32 v75, 0x3fb8aa3b, v2
	v_fma_f32 v76, v2, s14, -v75
	v_rndne_f32_e32 v77, v75
	v_fmac_f32_e32 v76, 0x32a5705f, v2
	v_sub_f32_e32 v75, v75, v77
	v_add_f32_e32 v75, v75, v76
	v_exp_f32_e32 v75, v75
	v_cvt_i32_f32_e32 v76, v77
	v_cndmask_b32_e64 v65, 0, v65, s[12:13]
	v_cmp_nlt_f32_e64 s[12:13], s16, v72
	v_cndmask_b32_e64 v65, v8, v65, s[12:13]
	v_ldexp_f32 v75, v75, v76
	v_mul_f32_e32 v76, 0x3fb8aa3b, v10
	v_fma_f32 v77, v10, s14, -v76
	v_rndne_f32_e32 v78, v76
	v_fmac_f32_e32 v77, 0x32a5705f, v10
	v_sub_f32_e32 v76, v76, v78
	v_add_f32_e32 v76, v76, v77
	v_exp_f32_e32 v76, v76
	v_cvt_i32_f32_e32 v77, v78
	v_cmp_ngt_f32_e64 s[12:13], s15, v73
	v_sub_f32_e32 v5, v5, v39
	v_cndmask_b32_e64 v71, 0, v71, s[12:13]
	v_ldexp_f32 v76, v76, v77
	v_mul_f32_e32 v77, 0x3fb8aa3b, v3
	v_fma_f32 v78, v3, s14, -v77
	v_rndne_f32_e32 v90, v77
	v_fmac_f32_e32 v78, 0x32a5705f, v3
	v_sub_f32_e32 v77, v77, v90
	v_add_f32_e32 v77, v77, v78
	v_exp_f32_e32 v77, v77
	v_cvt_i32_f32_e32 v78, v90
	v_cmp_nlt_f32_e64 s[12:13], s16, v73
	v_cndmask_b32_e64 v71, v8, v71, s[12:13]
	v_cmp_ngt_f32_e64 s[12:13], s15, v2
	v_ldexp_f32 v77, v77, v78
	v_mul_f32_e32 v78, 0x3fb8aa3b, v11
	v_fma_f32 v90, v11, s14, -v78
	v_rndne_f32_e32 v91, v78
	v_fmac_f32_e32 v90, 0x32a5705f, v11
	v_sub_f32_e32 v78, v78, v91
	v_add_f32_e32 v78, v78, v90
	v_exp_f32_e32 v78, v78
	v_cvt_i32_f32_e32 v90, v91
	v_cndmask_b32_e64 v75, 0, v75, s[12:13]
	v_cmp_nlt_f32_e64 s[12:13], s16, v2
	v_cndmask_b32_e64 v2, v8, v75, s[12:13]
	v_ldexp_f32 v78, v78, v90
	v_mul_f32_e32 v90, 0x3fb8aa3b, v4
	v_fma_f32 v91, v4, s14, -v90
	v_rndne_f32_e32 v92, v90
	v_fmac_f32_e32 v91, 0x32a5705f, v4
	v_sub_f32_e32 v90, v90, v92
	v_add_f32_e32 v90, v90, v91
	v_exp_f32_e32 v90, v90
	v_cvt_i32_f32_e32 v91, v92
	v_cmp_ngt_f32_e64 s[12:13], s15, v10
	v_cndmask_b32_e64 v76, 0, v76, s[12:13]
	v_cmp_nlt_f32_e64 s[12:13], s16, v10
	v_ldexp_f32 v90, v90, v91
	v_mul_f32_e32 v91, 0x3fb8aa3b, v12
	v_fma_f32 v92, v12, s14, -v91
	v_rndne_f32_e32 v93, v91
	v_fmac_f32_e32 v92, 0x32a5705f, v12
	v_sub_f32_e32 v91, v91, v93
	v_add_f32_e32 v91, v91, v92
	v_exp_f32_e32 v91, v91
	v_cvt_i32_f32_e32 v92, v93
	v_cndmask_b32_e64 v10, v8, v76, s[12:13]
	v_cmp_ngt_f32_e64 s[12:13], s15, v3
	v_cndmask_b32_e64 v77, 0, v77, s[12:13]
	v_ldexp_f32 v91, v91, v92
	v_mul_f32_e32 v92, 0x3fb8aa3b, v5
	v_fma_f32 v93, v5, s14, -v92
	v_rndne_f32_e32 v94, v92
	v_fmac_f32_e32 v93, 0x32a5705f, v5
	v_sub_f32_e32 v92, v92, v94
	v_add_f32_e32 v92, v92, v93
	v_exp_f32_e32 v92, v92
	v_cvt_i32_f32_e32 v93, v94
	v_cmp_nlt_f32_e64 s[12:13], s16, v3
	v_cndmask_b32_e64 v3, v8, v77, s[12:13]
	v_cmp_ngt_f32_e64 s[12:13], s15, v11
	v_sub_f32_e32 v13, v13, v39
	v_cndmask_b32_e64 v78, 0, v78, s[12:13]
	v_cmp_nlt_f32_e64 s[12:13], s16, v11
	v_ldexp_f32 v92, v92, v93
	v_mul_f32_e32 v93, 0x3fb8aa3b, v13
	v_cndmask_b32_e64 v11, v8, v78, s[12:13]
	v_cmp_ngt_f32_e64 s[12:13], s15, v4
	v_fma_f32 v94, v13, s14, -v93
	v_rndne_f32_e32 v95, v93
	v_cndmask_b32_e64 v90, 0, v90, s[12:13]
	v_cmp_nlt_f32_e64 s[12:13], s16, v4
	v_fmac_f32_e32 v94, 0x32a5705f, v13
	v_sub_f32_e32 v93, v93, v95
	v_cndmask_b32_e64 v4, v8, v90, s[12:13]
	v_cmp_ngt_f32_e64 s[12:13], s15, v12
	v_add_f32_e32 v93, v93, v94
	v_cndmask_b32_e64 v91, 0, v91, s[12:13]
	v_cmp_nlt_f32_e64 s[12:13], s16, v12
	v_exp_f32_e32 v93, v93
	v_cvt_i32_f32_e32 v94, v95
	v_cndmask_b32_e64 v12, v8, v91, s[12:13]
	v_cmp_ngt_f32_e64 s[12:13], s15, v5
	v_cndmask_b32_e64 v92, 0, v92, s[12:13]
	v_cmp_nlt_f32_e64 s[12:13], s16, v5
	v_cndmask_b32_e32 v0, v8, v0, vcc
	v_cmp_gt_u32_e32 vcc, s41, v56
	v_cndmask_b32_e64 v5, v8, v92, s[12:13]
	v_sub_f32_e32 v6, v6, v40
	v_cndmask_b32_e32 v92, 0, v5, vcc
	v_ldexp_f32 v5, v93, v94
	v_mul_f32_e32 v93, 0x3fb8aa3b, v6
	v_fma_f32 v94, v6, s14, -v93
	v_rndne_f32_e32 v96, v93
	v_fmac_f32_e32 v94, 0x32a5705f, v6
	v_sub_f32_e32 v93, v93, v96
	v_add_f32_e32 v93, v93, v94
	v_exp_f32_e32 v93, v93
	v_cvt_i32_f32_e32 v94, v96
	v_cmp_ngt_f32_e64 s[12:13], s15, v13
	v_cndmask_b32_e64 v5, 0, v5, s[12:13]
	v_cmp_nlt_f32_e64 s[12:13], s16, v13
	v_cndmask_b32_e64 v26, v8, v26, s[4:5]
	v_cmp_gt_u32_e64 s[4:5], s41, v89
	v_cndmask_b32_e64 v5, v8, v5, s[12:13]
	v_sub_f32_e32 v14, v14, v40
	v_cndmask_b32_e64 v96, 0, v5, s[4:5]
	v_ldexp_f32 v5, v93, v94
	v_mul_f32_e32 v93, 0x3fb8aa3b, v14
	v_fma_f32 v94, v14, s14, -v93
	v_rndne_f32_e32 v97, v93
	v_fmac_f32_e32 v94, 0x32a5705f, v14
	v_sub_f32_e32 v93, v93, v97
	v_add_f32_e32 v93, v93, v94
	v_exp_f32_e32 v93, v93
	v_cvt_i32_f32_e32 v94, v97
	v_cmp_ngt_f32_e64 s[12:13], s15, v6
	v_sub_f32_e32 v7, v7, v41
	v_cndmask_b32_e64 v5, 0, v5, s[12:13]
	v_cmp_nlt_f32_e64 s[12:13], s16, v6
	v_ldexp_f32 v6, v93, v94
	v_mul_f32_e32 v93, 0x3fb8aa3b, v7
	v_fma_f32 v94, v7, s14, -v93
	v_rndne_f32_e32 v98, v93
	v_fmac_f32_e32 v94, 0x32a5705f, v7
	v_sub_f32_e32 v93, v93, v98
	v_add_f32_e32 v93, v93, v94
	v_exp_f32_e32 v93, v93
	v_cvt_i32_f32_e32 v94, v98
	v_sub_f32_e32 v15, v15, v41
	v_cndmask_b32_e64 v5, v8, v5, s[12:13]
	v_cmp_ngt_f32_e64 s[12:13], s15, v14
	v_ldexp_f32 v93, v93, v94
	v_mul_f32_e32 v94, 0x3fb8aa3b, v15
	v_fma_f32 v98, v15, s14, -v94
	v_rndne_f32_e32 v99, v94
	v_fmac_f32_e32 v98, 0x32a5705f, v15
	v_sub_f32_e32 v94, v94, v99
	v_add_f32_e32 v94, v94, v98
	v_cndmask_b32_e64 v6, 0, v6, s[12:13]
	v_cmp_nlt_f32_e64 s[12:13], s16, v14
	v_exp_f32_e32 v94, v94
	v_cvt_i32_f32_e32 v98, v99
	v_cndmask_b32_e64 v6, v8, v6, s[12:13]
	v_cmp_ngt_f32_e64 s[12:13], s15, v7
	v_cndmask_b32_e64 v93, 0, v93, s[12:13]
	v_cmp_nlt_f32_e64 s[12:13], s16, v7
	v_cndmask_b32_e64 v7, v8, v93, s[12:13]
	v_cndmask_b32_e32 v0, 0, v0, vcc
	v_cndmask_b32_e32 v65, 0, v65, vcc
	;; [unrolled: 1-line block ×7, first 2 shown]
	v_ldexp_f32 v94, v94, v98
	v_cmp_ngt_f32_e32 vcc, s15, v15
	v_cndmask_b32_e32 v94, 0, v94, vcc
	v_cmp_nlt_f32_e32 vcc, s16, v15
	v_cvt_f16_f32_e32 v68, v0
	v_cvt_f16_f32_e32 v72, v65
	;; [unrolled: 1-line block ×3, first 2 shown]
	v_cndmask_b32_e64 v76, 0, v10, s[4:5]
	v_cvt_f16_f32_e32 v3, v77
	v_cndmask_b32_e64 v78, 0, v11, s[4:5]
	v_cvt_f16_f32_e32 v4, v90
	v_cvt_f16_f32_e32 v95, v92
	;; [unrolled: 1-line block ×4, first 2 shown]
	v_cndmask_b32_e32 v15, v8, v94, vcc
	v_cndmask_b32_e64 v26, 0, v26, s[4:5]
	v_cndmask_b32_e64 v71, 0, v71, s[4:5]
	v_cvt_f16_f32_e32 v10, v76
	v_cvt_f16_f32_e32 v11, v78
	v_cndmask_b32_e64 v91, 0, v12, s[4:5]
	v_cndmask_b32_e64 v14, 0, v6, s[4:5]
	v_cndmask_b32_e64 v15, 0, v15, s[4:5]
	v_cvt_f16_f32_e32 v74, v26
	v_cvt_f16_f32_e32 v73, v71
	;; [unrolled: 1-line block ×6, first 2 shown]
	v_add_u32_e32 v98, 0x2400, v60
	v_lshl_add_u32 v99, v56, 4, v98
	v_pack_b32_f16 v5, v5, v7
	v_pack_b32_f16 v4, v4, v95
	;; [unrolled: 1-line block ×4, first 2 shown]
	s_mul_hi_i32 s5, s27, s10
	s_mul_i32 s4, s27, s10
	s_barrier
	ds_write_b128 v99, v[2:5]
	v_pack_b32_f16 v3, v10, v11
	s_lshl_b64 s[4:5], s[4:5], 2
	v_mul_lo_u32 v10, s10, v81
	v_lshl_add_u32 v7, v89, 4, v98
	v_pack_b32_f16 v5, v6, v94
	v_pack_b32_f16 v4, v12, v13
	;; [unrolled: 1-line block ×3, first 2 shown]
	s_add_u32 s12, s23, s4
	v_ashrrev_i32_e32 v11, 31, v10
	ds_write_b128 v7, v[2:5]
	s_addc_u32 s13, s26, s5
	v_lshlrev_b64 v[2:3], 2, v[10:11]
	v_mov_b32_e32 v4, s13
	v_add_co_u32_e32 v2, vcc, s12, v2
	v_addc_co_u32_e32 v3, vcc, v4, v3, vcc
	s_mov_b64 s[4:5], src_shared_base
	v_add_co_u32_e32 v2, vcc, v2, v79
	v_add_u32_e32 v9, 0x6400, v16
	v_addc_co_u32_e32 v3, vcc, 0, v3, vcc
	v_mov_b32_e32 v13, 0
	v_mov_b32_e32 v68, s5
	v_add_u32_e32 v12, 0x6404, v16
	ds_write_b32 v16, v13 offset:25600
	ds_write2_b32 v12, v13, v13 offset1:1
	ds_write_b32 v16, v13 offset:25612
	v_cndmask_b32_e64 v3, v68, v3, s[18:19]
	v_cndmask_b32_e64 v2, v9, v2, s[18:19]
	flat_load_dwordx4 v[4:7], v[2:3]
	v_mul_f32_e32 v2, 0x3fb8aa3b, v1
	v_fma_f32 v3, v1, s14, -v2
	v_rndne_f32_e32 v11, v2
	v_fmac_f32_e32 v3, 0x32a5705f, v1
	v_sub_f32_e32 v2, v2, v11
	v_add_f32_e32 v2, v2, v3
	v_exp_f32_e32 v2, v2
	v_cvt_i32_f32_e32 v3, v11
	v_add_f32_e32 v0, v0, v26
	v_cmp_ngt_f32_e32 vcc, s15, v1
	v_lshl_add_u32 v10, s10, 5, v10
	v_ldexp_f32 v2, v2, v3
	v_sub_f32_e32 v3, v27, v35
	v_mul_f32_e32 v11, 0x3fb8aa3b, v3
	v_fma_f32 v26, v3, s14, -v11
	v_rndne_f32_e32 v27, v11
	v_cndmask_b32_e32 v2, 0, v2, vcc
	v_cmp_nlt_f32_e32 vcc, s16, v1
	v_fmac_f32_e32 v26, 0x32a5705f, v3
	v_sub_f32_e32 v11, v11, v27
	v_cndmask_b32_e32 v1, v8, v2, vcc
	v_add_f32_e32 v11, v11, v26
	v_cvt_f16_f32_e32 v2, v1
	v_exp_f32_e32 v11, v11
	v_cvt_i32_f32_e32 v26, v27
	v_fmac_f32_e32 v0, v18, v1
	v_pk_mul_f16 v70, v2, v70 op_sel_hi:[0,1]
	v_cmp_ngt_f32_e32 vcc, s15, v3
	v_ldexp_f32 v2, v11, v26
	v_sub_f32_e32 v11, v28, v36
	v_mul_f32_e32 v18, 0x3fb8aa3b, v11
	v_fma_f32 v26, v11, s14, -v18
	v_rndne_f32_e32 v27, v18
	v_cndmask_b32_e32 v2, 0, v2, vcc
	v_cmp_nlt_f32_e32 vcc, s16, v3
	v_fmac_f32_e32 v26, 0x32a5705f, v11
	v_sub_f32_e32 v18, v18, v27
	v_cndmask_b32_e32 v2, v8, v2, vcc
	v_add_f32_e32 v18, v18, v26
	v_cvt_f16_f32_e32 v3, v2
	v_exp_f32_e32 v18, v18
	v_cvt_i32_f32_e32 v26, v27
	v_add_f32_e32 v1, v65, v71
	v_pk_mul_f16 v28, v3, v69 op_sel_hi:[0,1]
	v_cmp_ngt_f32_e32 vcc, s15, v11
	v_ldexp_f32 v3, v18, v26
	v_sub_f32_e32 v18, v29, v37
	v_fmac_f32_e32 v1, v19, v2
	v_cndmask_b32_e32 v3, 0, v3, vcc
	v_cmp_nlt_f32_e32 vcc, s16, v11
	v_mul_f32_e32 v19, 0x3fb8aa3b, v18
	v_cndmask_b32_e32 v3, v8, v3, vcc
	v_fma_f32 v26, v18, s14, -v19
	v_rndne_f32_e32 v27, v19
	v_cvt_f16_f32_e32 v11, v3
	v_fmac_f32_e32 v26, 0x32a5705f, v18
	v_sub_f32_e32 v19, v19, v27
	v_add_f32_e32 v19, v19, v26
	v_exp_f32_e32 v19, v19
	v_cvt_i32_f32_e32 v26, v27
	v_pk_mul_f16 v29, v11, v67 op_sel_hi:[0,1]
	v_ashrrev_i32_e32 v11, 31, v10
	v_lshlrev_b64 v[10:11], 2, v[10:11]
	v_ldexp_f32 v19, v19, v26
	v_mov_b32_e32 v26, s13
	v_add_co_u32_e32 v10, vcc, s12, v10
	v_addc_co_u32_e32 v11, vcc, v26, v11, vcc
	v_add_f32_e32 v2, v75, v76
	v_add_co_u32_e32 v10, vcc, v10, v79
	v_fmac_f32_e32 v2, v20, v3
	v_lshl_or_b32 v20, v81, 7, v79
	v_addc_co_u32_e32 v11, vcc, 0, v11, vcc
	s_waitcnt vmcnt(0) lgkmcnt(0)
	ds_write_b128 v20, v[4:7]
	ds_write_b32 v16, v13 offset:25600
	ds_write2_b32 v12, v13, v13 offset1:1
	ds_write_b32 v16, v13 offset:25612
	v_cndmask_b32_e64 v5, v68, v11, s[8:9]
	v_cndmask_b32_e64 v4, v9, v10, s[8:9]
	flat_load_dwordx4 v[10:13], v[4:5]
	v_sub_f32_e32 v6, v30, v38
	v_mul_f32_e32 v7, 0x3fb8aa3b, v6
	v_cmp_ngt_f32_e32 vcc, s15, v18
	v_fma_f32 v9, v6, s14, -v7
	v_rndne_f32_e32 v16, v7
	v_cndmask_b32_e32 v4, 0, v19, vcc
	v_cmp_nlt_f32_e32 vcc, s16, v18
	v_fmac_f32_e32 v9, 0x32a5705f, v6
	v_sub_f32_e32 v7, v7, v16
	v_cndmask_b32_e32 v4, v8, v4, vcc
	v_add_f32_e32 v7, v7, v9
	v_cvt_f16_f32_e32 v5, v4
	v_exp_f32_e32 v7, v7
	v_cvt_i32_f32_e32 v9, v16
	v_cmp_ngt_f32_e32 vcc, s15, v6
	v_pk_mul_f16 v16, v5, v64 op_sel_hi:[0,1]
	v_add_f32_e32 v3, v77, v78
	v_ldexp_f32 v5, v7, v9
	v_sub_f32_e32 v7, v31, v39
	v_mul_f32_e32 v9, 0x3fb8aa3b, v7
	v_fma_f32 v18, v7, s14, -v9
	v_rndne_f32_e32 v19, v9
	v_cndmask_b32_e32 v5, 0, v5, vcc
	v_cmp_nlt_f32_e32 vcc, s16, v6
	v_fmac_f32_e32 v18, 0x32a5705f, v7
	v_sub_f32_e32 v9, v9, v19
	v_cndmask_b32_e32 v5, v8, v5, vcc
	v_add_f32_e32 v9, v9, v18
	v_cvt_f16_f32_e32 v6, v5
	v_exp_f32_e32 v9, v9
	v_cvt_i32_f32_e32 v18, v19
	v_cmp_ngt_f32_e32 vcc, s15, v7
	v_pk_mul_f16 v30, v6, v62 op_sel_hi:[0,1]
	v_fmac_f32_e32 v3, v21, v4
	v_ldexp_f32 v6, v9, v18
	v_sub_f32_e32 v9, v32, v40
	v_mul_f32_e32 v18, 0x3fb8aa3b, v9
	v_fma_f32 v19, v9, s14, -v18
	v_rndne_f32_e32 v20, v18
	v_cndmask_b32_e32 v6, 0, v6, vcc
	v_cmp_nlt_f32_e32 vcc, s16, v7
	v_fmac_f32_e32 v19, 0x32a5705f, v9
	v_sub_f32_e32 v18, v18, v20
	v_cndmask_b32_e32 v6, v8, v6, vcc
	v_add_f32_e32 v18, v18, v19
	v_cvt_f16_f32_e32 v7, v6
	v_exp_f32_e32 v18, v18
	v_cvt_i32_f32_e32 v19, v20
	v_add_f32_e32 v4, v90, v91
	v_fmac_f32_e32 v4, v22, v5
	v_add_f32_e32 v5, v92, v96
	v_fmac_f32_e32 v5, v23, v6
	v_add_f32_e32 v6, v97, v14
	v_sub_f32_e32 v14, v33, v41
	v_pk_mul_f16 v31, v7, v61 op_sel_hi:[0,1]
	v_ldexp_f32 v7, v18, v19
	v_mul_f32_e32 v18, 0x3fb8aa3b, v14
	v_cmp_ngt_f32_e32 vcc, s15, v9
	v_fma_f32 v19, v14, s14, -v18
	v_rndne_f32_e32 v20, v18
	v_cndmask_b32_e32 v7, 0, v7, vcc
	v_cmp_nlt_f32_e32 vcc, s16, v9
	v_fmac_f32_e32 v19, 0x32a5705f, v14
	v_sub_f32_e32 v18, v18, v20
	v_cndmask_b32_e32 v7, v8, v7, vcc
	v_add_f32_e32 v18, v18, v19
	v_cvt_f16_f32_e32 v9, v7
	v_exp_f32_e32 v18, v18
	v_cvt_i32_f32_e32 v19, v20
	v_cmp_ngt_f32_e32 vcc, s15, v14
	v_pk_mul_f16 v32, v9, v66 op_sel_hi:[0,1]
	v_fmac_f32_e32 v6, v24, v7
	v_ldexp_f32 v9, v18, v19
	v_cndmask_b32_e32 v9, 0, v9, vcc
	v_cmp_nlt_f32_e32 vcc, s16, v14
	v_add_f32_e32 v7, v93, v15
	v_cndmask_b32_e32 v8, v8, v9, vcc
	v_fmac_f32_e32 v7, v25, v8
	v_cvt_f16_f32_e32 v14, v8
	v_lshl_or_b32 v8, v80, 7, v79
	s_waitcnt vmcnt(0) lgkmcnt(0)
	ds_write_b128 v8, v[10:13]
	s_waitcnt lgkmcnt(0)
	s_barrier
	ds_read2_b32 v[26:27], v59 offset1:32
	ds_read_b128 v[8:11], v60 offset:9216
	v_pk_mul_f16 v33, v14, v63 op_sel_hi:[0,1]
	ds_read_b128 v[12:15], v60 offset:9232
	ds_read_b128 v[18:21], v60 offset:9248
	;; [unrolled: 1-line block ×3, first 2 shown]
	s_waitcnt lgkmcnt(3)
	v_pk_fma_f16 v61, v26, v8, v70 op_sel_hi:[1,0,1]
	v_pk_fma_f16 v8, v26, v8, v28 op_sel:[0,1,0]
	v_pk_fma_f16 v28, v26, v9, v29 op_sel_hi:[1,0,1]
	v_pk_fma_f16 v9, v26, v9, v16 op_sel:[0,1,0]
	;; [unrolled: 2-line block ×4, first 2 shown]
	s_waitcnt lgkmcnt(2)
	v_pk_fma_f16 v26, v27, v12, v61 op_sel_hi:[1,0,1]
	v_pk_fma_f16 v8, v27, v12, v8 op_sel:[0,1,0]
	v_pk_fma_f16 v28, v27, v13, v28 op_sel_hi:[1,0,1]
	v_pk_fma_f16 v9, v27, v13, v9 op_sel:[0,1,0]
	ds_read2_b32 v[12:13], v59 offset0:64 offset1:96
	v_pk_fma_f16 v16, v27, v14, v16 op_sel_hi:[1,0,1]
	v_pk_fma_f16 v10, v27, v14, v10 op_sel:[0,1,0]
	v_pk_fma_f16 v14, v27, v15, v29 op_sel_hi:[1,0,1]
	v_pk_fma_f16 v11, v27, v15, v11 op_sel:[0,1,0]
	s_waitcnt lgkmcnt(0)
	v_pk_fma_f16 v15, v12, v18, v26 op_sel_hi:[1,0,1]
	v_pk_fma_f16 v8, v12, v18, v8 op_sel:[0,1,0]
	v_pk_fma_f16 v18, v12, v19, v28 op_sel_hi:[1,0,1]
	v_pk_fma_f16 v9, v12, v19, v9 op_sel:[0,1,0]
	;; [unrolled: 2-line block ×6, first 2 shown]
	ds_read2_b32 v[18:19], v59 offset0:128 offset1:160
	ds_read_b128 v[8:11], v60 offset:9280
	v_pk_fma_f16 v16, v13, v24, v16 op_sel_hi:[1,0,1]
	v_pk_fma_f16 v20, v13, v24, v20 op_sel:[0,1,0]
	v_pk_fma_f16 v24, v13, v25, v14 op_sel_hi:[1,0,1]
	v_pk_fma_f16 v25, v13, v25, v12 op_sel:[0,1,0]
	ds_read_b128 v[12:15], v60 offset:9296
	s_waitcnt lgkmcnt(1)
	v_pk_fma_f16 v21, v18, v8, v21 op_sel_hi:[1,0,1]
	v_pk_fma_f16 v8, v18, v8, v22 op_sel:[0,1,0]
	v_pk_fma_f16 v22, v18, v9, v26 op_sel_hi:[1,0,1]
	v_pk_fma_f16 v9, v18, v9, v23 op_sel:[0,1,0]
	;; [unrolled: 2-line block ×4, first 2 shown]
	s_waitcnt lgkmcnt(0)
	v_pk_fma_f16 v25, v19, v12, v21 op_sel_hi:[1,0,1]
	v_pk_fma_f16 v26, v19, v12, v8 op_sel:[0,1,0]
	v_pk_fma_f16 v27, v19, v13, v9 op_sel:[0,1,0]
	ds_read2_b32 v[20:21], v59 offset0:192 offset1:224
	ds_read_b128 v[8:11], v60 offset:9312
	v_pk_fma_f16 v22, v19, v13, v22 op_sel_hi:[1,0,1]
	v_pk_fma_f16 v16, v19, v14, v16 op_sel_hi:[1,0,1]
	v_pk_fma_f16 v23, v19, v14, v23 op_sel:[0,1,0]
	v_pk_fma_f16 v24, v19, v15, v24 op_sel_hi:[1,0,1]
	v_pk_fma_f16 v18, v19, v15, v18 op_sel:[0,1,0]
	ds_read_b128 v[12:15], v60 offset:9328
	s_waitcnt lgkmcnt(1)
	v_pk_fma_f16 v19, v20, v8, v25 op_sel_hi:[1,0,1]
	v_pk_fma_f16 v8, v20, v8, v26 op_sel:[0,1,0]
	v_pk_fma_f16 v22, v20, v9, v22 op_sel_hi:[1,0,1]
	v_pk_fma_f16 v9, v20, v9, v27 op_sel:[0,1,0]
	v_add_u32_e32 v28, 0x400, v59
	v_pk_fma_f16 v16, v20, v10, v16 op_sel_hi:[1,0,1]
	v_pk_fma_f16 v23, v20, v10, v23 op_sel:[0,1,0]
	v_pk_fma_f16 v24, v20, v11, v24 op_sel_hi:[1,0,1]
	v_pk_fma_f16 v20, v20, v11, v18 op_sel:[0,1,0]
	s_waitcnt lgkmcnt(0)
	v_pk_fma_f16 v25, v21, v12, v19 op_sel_hi:[1,0,1]
	v_pk_fma_f16 v26, v21, v12, v8 op_sel:[0,1,0]
	v_pk_fma_f16 v27, v21, v13, v9 op_sel:[0,1,0]
	ds_read2_b32 v[18:19], v28 offset1:32
	ds_read_b128 v[8:11], v60 offset:9344
	v_pk_fma_f16 v22, v21, v13, v22 op_sel_hi:[1,0,1]
	v_pk_fma_f16 v16, v21, v14, v16 op_sel_hi:[1,0,1]
	v_pk_fma_f16 v23, v21, v14, v23 op_sel:[0,1,0]
	v_pk_fma_f16 v24, v21, v15, v24 op_sel_hi:[1,0,1]
	v_pk_fma_f16 v20, v21, v15, v20 op_sel:[0,1,0]
	ds_read_b128 v[12:15], v60 offset:9360
	s_waitcnt lgkmcnt(1)
	v_pk_fma_f16 v21, v18, v8, v25 op_sel_hi:[1,0,1]
	v_pk_fma_f16 v8, v18, v8, v26 op_sel:[0,1,0]
	v_pk_fma_f16 v22, v18, v9, v22 op_sel_hi:[1,0,1]
	v_pk_fma_f16 v9, v18, v9, v27 op_sel:[0,1,0]
	v_pk_fma_f16 v16, v18, v10, v16 op_sel_hi:[1,0,1]
	v_pk_fma_f16 v23, v18, v10, v23 op_sel:[0,1,0]
	v_pk_fma_f16 v24, v18, v11, v24 op_sel_hi:[1,0,1]
	v_pk_fma_f16 v18, v18, v11, v20 op_sel:[0,1,0]
	s_waitcnt lgkmcnt(0)
	v_pk_fma_f16 v25, v19, v12, v21 op_sel_hi:[1,0,1]
	v_pk_fma_f16 v26, v19, v12, v8 op_sel:[0,1,0]
	v_pk_fma_f16 v27, v19, v13, v9 op_sel:[0,1,0]
	ds_read2_b32 v[20:21], v28 offset0:64 offset1:96
	ds_read_b128 v[8:11], v60 offset:9376
	v_pk_fma_f16 v22, v19, v13, v22 op_sel_hi:[1,0,1]
	v_pk_fma_f16 v16, v19, v14, v16 op_sel_hi:[1,0,1]
	v_pk_fma_f16 v23, v19, v14, v23 op_sel:[0,1,0]
	v_pk_fma_f16 v24, v19, v15, v24 op_sel_hi:[1,0,1]
	v_pk_fma_f16 v18, v19, v15, v18 op_sel:[0,1,0]
	ds_read_b128 v[12:15], v60 offset:9392
	s_waitcnt lgkmcnt(1)
	v_pk_fma_f16 v19, v20, v8, v25 op_sel_hi:[1,0,1]
	v_pk_fma_f16 v8, v20, v8, v26 op_sel:[0,1,0]
	v_pk_fma_f16 v22, v20, v9, v22 op_sel_hi:[1,0,1]
	v_pk_fma_f16 v9, v20, v9, v27 op_sel:[0,1,0]
	v_pk_fma_f16 v16, v20, v10, v16 op_sel_hi:[1,0,1]
	v_pk_fma_f16 v23, v20, v10, v23 op_sel:[0,1,0]
	v_pk_fma_f16 v24, v20, v11, v24 op_sel_hi:[1,0,1]
	v_pk_fma_f16 v20, v20, v11, v18 op_sel:[0,1,0]
	s_waitcnt lgkmcnt(0)
	v_pk_fma_f16 v25, v21, v12, v19 op_sel_hi:[1,0,1]
	v_pk_fma_f16 v26, v21, v12, v8 op_sel:[0,1,0]
	v_pk_fma_f16 v27, v21, v13, v9 op_sel:[0,1,0]
	ds_read2_b32 v[18:19], v28 offset0:128 offset1:160
	;; [unrolled: 21-line block ×3, first 2 shown]
	ds_read_b128 v[8:11], v60 offset:9440
	v_pk_fma_f16 v22, v19, v13, v22 op_sel_hi:[1,0,1]
	v_pk_fma_f16 v16, v19, v14, v16 op_sel_hi:[1,0,1]
	v_pk_fma_f16 v23, v19, v14, v23 op_sel:[0,1,0]
	v_pk_fma_f16 v24, v19, v15, v24 op_sel_hi:[1,0,1]
	v_pk_fma_f16 v18, v19, v15, v18 op_sel:[0,1,0]
	ds_read_b128 v[12:15], v60 offset:9456
	s_waitcnt lgkmcnt(1)
	v_pk_fma_f16 v19, v20, v8, v25 op_sel_hi:[1,0,1]
	v_pk_fma_f16 v8, v20, v8, v26 op_sel:[0,1,0]
	v_pk_fma_f16 v22, v20, v9, v22 op_sel_hi:[1,0,1]
	v_pk_fma_f16 v9, v20, v9, v27 op_sel:[0,1,0]
	v_add_u32_e32 v28, 0x800, v59
	v_pk_fma_f16 v16, v20, v10, v16 op_sel_hi:[1,0,1]
	v_pk_fma_f16 v23, v20, v10, v23 op_sel:[0,1,0]
	v_pk_fma_f16 v24, v20, v11, v24 op_sel_hi:[1,0,1]
	v_pk_fma_f16 v20, v20, v11, v18 op_sel:[0,1,0]
	s_waitcnt lgkmcnt(0)
	v_pk_fma_f16 v25, v21, v12, v19 op_sel_hi:[1,0,1]
	v_pk_fma_f16 v26, v21, v12, v8 op_sel:[0,1,0]
	v_pk_fma_f16 v27, v21, v13, v9 op_sel:[0,1,0]
	ds_read2_b32 v[18:19], v28 offset1:32
	ds_read_b128 v[8:11], v60 offset:9472
	v_pk_fma_f16 v22, v21, v13, v22 op_sel_hi:[1,0,1]
	v_pk_fma_f16 v16, v21, v14, v16 op_sel_hi:[1,0,1]
	v_pk_fma_f16 v23, v21, v14, v23 op_sel:[0,1,0]
	v_pk_fma_f16 v24, v21, v15, v24 op_sel_hi:[1,0,1]
	v_pk_fma_f16 v20, v21, v15, v20 op_sel:[0,1,0]
	ds_read_b128 v[12:15], v60 offset:9488
	s_waitcnt lgkmcnt(1)
	v_pk_fma_f16 v21, v18, v8, v25 op_sel_hi:[1,0,1]
	v_pk_fma_f16 v8, v18, v8, v26 op_sel:[0,1,0]
	v_pk_fma_f16 v22, v18, v9, v22 op_sel_hi:[1,0,1]
	v_pk_fma_f16 v9, v18, v9, v27 op_sel:[0,1,0]
	v_pk_fma_f16 v16, v18, v10, v16 op_sel_hi:[1,0,1]
	v_pk_fma_f16 v23, v18, v10, v23 op_sel:[0,1,0]
	v_pk_fma_f16 v24, v18, v11, v24 op_sel_hi:[1,0,1]
	v_pk_fma_f16 v18, v18, v11, v20 op_sel:[0,1,0]
	s_waitcnt lgkmcnt(0)
	v_pk_fma_f16 v25, v19, v12, v21 op_sel_hi:[1,0,1]
	v_pk_fma_f16 v26, v19, v12, v8 op_sel:[0,1,0]
	v_pk_fma_f16 v27, v19, v13, v9 op_sel:[0,1,0]
	ds_read2_b32 v[20:21], v28 offset0:64 offset1:96
	ds_read_b128 v[8:11], v60 offset:9504
	v_pk_fma_f16 v22, v19, v13, v22 op_sel_hi:[1,0,1]
	v_pk_fma_f16 v16, v19, v14, v16 op_sel_hi:[1,0,1]
	v_pk_fma_f16 v23, v19, v14, v23 op_sel:[0,1,0]
	v_pk_fma_f16 v24, v19, v15, v24 op_sel_hi:[1,0,1]
	v_pk_fma_f16 v18, v19, v15, v18 op_sel:[0,1,0]
	ds_read_b128 v[12:15], v60 offset:9520
	s_waitcnt lgkmcnt(1)
	v_pk_fma_f16 v19, v20, v8, v25 op_sel_hi:[1,0,1]
	v_pk_fma_f16 v8, v20, v8, v26 op_sel:[0,1,0]
	v_pk_fma_f16 v22, v20, v9, v22 op_sel_hi:[1,0,1]
	v_pk_fma_f16 v9, v20, v9, v27 op_sel:[0,1,0]
	v_pk_fma_f16 v16, v20, v10, v16 op_sel_hi:[1,0,1]
	v_pk_fma_f16 v23, v20, v10, v23 op_sel:[0,1,0]
	v_pk_fma_f16 v24, v20, v11, v24 op_sel_hi:[1,0,1]
	v_pk_fma_f16 v20, v20, v11, v18 op_sel:[0,1,0]
	s_waitcnt lgkmcnt(0)
	v_pk_fma_f16 v25, v21, v12, v19 op_sel_hi:[1,0,1]
	v_pk_fma_f16 v26, v21, v12, v8 op_sel:[0,1,0]
	v_pk_fma_f16 v27, v21, v13, v9 op_sel:[0,1,0]
	ds_read2_b32 v[18:19], v28 offset0:128 offset1:160
	;; [unrolled: 21-line block ×3, first 2 shown]
	ds_read_b128 v[8:11], v60 offset:9568
	v_pk_fma_f16 v22, v19, v13, v22 op_sel_hi:[1,0,1]
	v_pk_fma_f16 v16, v19, v14, v16 op_sel_hi:[1,0,1]
	v_pk_fma_f16 v23, v19, v14, v23 op_sel:[0,1,0]
	v_pk_fma_f16 v24, v19, v15, v24 op_sel_hi:[1,0,1]
	v_pk_fma_f16 v18, v19, v15, v18 op_sel:[0,1,0]
	ds_read_b128 v[12:15], v60 offset:9584
	s_waitcnt lgkmcnt(1)
	v_pk_fma_f16 v19, v20, v8, v25 op_sel_hi:[1,0,1]
	v_pk_fma_f16 v8, v20, v8, v26 op_sel:[0,1,0]
	v_pk_fma_f16 v22, v20, v9, v22 op_sel_hi:[1,0,1]
	v_pk_fma_f16 v9, v20, v9, v27 op_sel:[0,1,0]
	v_add_u32_e32 v28, 0xc00, v59
	v_pk_fma_f16 v16, v20, v10, v16 op_sel_hi:[1,0,1]
	v_pk_fma_f16 v23, v20, v10, v23 op_sel:[0,1,0]
	v_pk_fma_f16 v24, v20, v11, v24 op_sel_hi:[1,0,1]
	v_pk_fma_f16 v20, v20, v11, v18 op_sel:[0,1,0]
	s_waitcnt lgkmcnt(0)
	v_pk_fma_f16 v25, v21, v12, v19 op_sel_hi:[1,0,1]
	v_pk_fma_f16 v26, v21, v12, v8 op_sel:[0,1,0]
	v_pk_fma_f16 v27, v21, v13, v9 op_sel:[0,1,0]
	ds_read2_b32 v[18:19], v28 offset1:32
	ds_read_b128 v[8:11], v60 offset:9600
	v_pk_fma_f16 v22, v21, v13, v22 op_sel_hi:[1,0,1]
	v_pk_fma_f16 v16, v21, v14, v16 op_sel_hi:[1,0,1]
	v_pk_fma_f16 v23, v21, v14, v23 op_sel:[0,1,0]
	v_pk_fma_f16 v24, v21, v15, v24 op_sel_hi:[1,0,1]
	v_pk_fma_f16 v20, v21, v15, v20 op_sel:[0,1,0]
	ds_read_b128 v[12:15], v60 offset:9616
	s_waitcnt lgkmcnt(1)
	v_pk_fma_f16 v21, v18, v8, v25 op_sel_hi:[1,0,1]
	v_pk_fma_f16 v8, v18, v8, v26 op_sel:[0,1,0]
	v_pk_fma_f16 v22, v18, v9, v22 op_sel_hi:[1,0,1]
	v_pk_fma_f16 v9, v18, v9, v27 op_sel:[0,1,0]
	v_pk_fma_f16 v16, v18, v10, v16 op_sel_hi:[1,0,1]
	v_pk_fma_f16 v23, v18, v10, v23 op_sel:[0,1,0]
	v_pk_fma_f16 v24, v18, v11, v24 op_sel_hi:[1,0,1]
	v_pk_fma_f16 v18, v18, v11, v20 op_sel:[0,1,0]
	s_waitcnt lgkmcnt(0)
	v_pk_fma_f16 v25, v19, v12, v21 op_sel_hi:[1,0,1]
	v_pk_fma_f16 v26, v19, v12, v8 op_sel:[0,1,0]
	v_pk_fma_f16 v27, v19, v13, v9 op_sel:[0,1,0]
	ds_read2_b32 v[20:21], v28 offset0:64 offset1:96
	ds_read_b128 v[8:11], v60 offset:9632
	v_pk_fma_f16 v22, v19, v13, v22 op_sel_hi:[1,0,1]
	v_pk_fma_f16 v16, v19, v14, v16 op_sel_hi:[1,0,1]
	v_pk_fma_f16 v23, v19, v14, v23 op_sel:[0,1,0]
	v_pk_fma_f16 v24, v19, v15, v24 op_sel_hi:[1,0,1]
	v_pk_fma_f16 v18, v19, v15, v18 op_sel:[0,1,0]
	ds_read_b128 v[12:15], v60 offset:9648
	s_waitcnt lgkmcnt(1)
	v_pk_fma_f16 v19, v20, v8, v25 op_sel_hi:[1,0,1]
	v_pk_fma_f16 v8, v20, v8, v26 op_sel:[0,1,0]
	v_pk_fma_f16 v22, v20, v9, v22 op_sel_hi:[1,0,1]
	v_pk_fma_f16 v9, v20, v9, v27 op_sel:[0,1,0]
	v_pk_fma_f16 v16, v20, v10, v16 op_sel_hi:[1,0,1]
	v_pk_fma_f16 v23, v20, v10, v23 op_sel:[0,1,0]
	v_pk_fma_f16 v24, v20, v11, v24 op_sel_hi:[1,0,1]
	v_pk_fma_f16 v20, v20, v11, v18 op_sel:[0,1,0]
	s_waitcnt lgkmcnt(0)
	v_pk_fma_f16 v25, v21, v12, v19 op_sel_hi:[1,0,1]
	v_pk_fma_f16 v26, v21, v12, v8 op_sel:[0,1,0]
	v_pk_fma_f16 v27, v21, v13, v9 op_sel:[0,1,0]
	ds_read2_b32 v[18:19], v28 offset0:128 offset1:160
	;; [unrolled: 21-line block ×3, first 2 shown]
	ds_read_b128 v[8:11], v60 offset:9696
	v_pk_fma_f16 v22, v19, v13, v22 op_sel_hi:[1,0,1]
	v_pk_fma_f16 v16, v19, v14, v16 op_sel_hi:[1,0,1]
	v_pk_fma_f16 v23, v19, v14, v23 op_sel:[0,1,0]
	v_pk_fma_f16 v24, v19, v15, v24 op_sel_hi:[1,0,1]
	v_pk_fma_f16 v18, v19, v15, v18 op_sel:[0,1,0]
	ds_read_b128 v[12:15], v60 offset:9712
	s_waitcnt lgkmcnt(1)
	v_pk_fma_f16 v19, v20, v8, v25 op_sel_hi:[1,0,1]
	v_pk_fma_f16 v8, v20, v8, v26 op_sel:[0,1,0]
	v_pk_fma_f16 v22, v20, v9, v22 op_sel_hi:[1,0,1]
	v_pk_fma_f16 v9, v20, v9, v27 op_sel:[0,1,0]
	v_add_u32_e32 v28, 0x1000, v59
	v_pk_fma_f16 v16, v20, v10, v16 op_sel_hi:[1,0,1]
	v_pk_fma_f16 v23, v20, v10, v23 op_sel:[0,1,0]
	v_pk_fma_f16 v24, v20, v11, v24 op_sel_hi:[1,0,1]
	v_pk_fma_f16 v20, v20, v11, v18 op_sel:[0,1,0]
	s_waitcnt lgkmcnt(0)
	v_pk_fma_f16 v25, v21, v12, v19 op_sel_hi:[1,0,1]
	v_pk_fma_f16 v26, v21, v12, v8 op_sel:[0,1,0]
	v_pk_fma_f16 v27, v21, v13, v9 op_sel:[0,1,0]
	ds_read2_b32 v[18:19], v28 offset1:32
	ds_read_b128 v[8:11], v60 offset:9728
	v_pk_fma_f16 v22, v21, v13, v22 op_sel_hi:[1,0,1]
	v_pk_fma_f16 v16, v21, v14, v16 op_sel_hi:[1,0,1]
	v_pk_fma_f16 v23, v21, v14, v23 op_sel:[0,1,0]
	v_pk_fma_f16 v24, v21, v15, v24 op_sel_hi:[1,0,1]
	v_pk_fma_f16 v20, v21, v15, v20 op_sel:[0,1,0]
	ds_read_b128 v[12:15], v60 offset:9744
	s_waitcnt lgkmcnt(1)
	v_pk_fma_f16 v21, v18, v8, v25 op_sel_hi:[1,0,1]
	v_pk_fma_f16 v8, v18, v8, v26 op_sel:[0,1,0]
	v_pk_fma_f16 v22, v18, v9, v22 op_sel_hi:[1,0,1]
	v_pk_fma_f16 v9, v18, v9, v27 op_sel:[0,1,0]
	v_pk_fma_f16 v16, v18, v10, v16 op_sel_hi:[1,0,1]
	v_pk_fma_f16 v23, v18, v10, v23 op_sel:[0,1,0]
	v_pk_fma_f16 v24, v18, v11, v24 op_sel_hi:[1,0,1]
	v_pk_fma_f16 v18, v18, v11, v20 op_sel:[0,1,0]
	s_waitcnt lgkmcnt(0)
	v_pk_fma_f16 v25, v19, v12, v21 op_sel_hi:[1,0,1]
	v_pk_fma_f16 v26, v19, v12, v8 op_sel:[0,1,0]
	v_pk_fma_f16 v27, v19, v13, v9 op_sel:[0,1,0]
	ds_read2_b32 v[20:21], v28 offset0:64 offset1:96
	ds_read_b128 v[8:11], v60 offset:9760
	v_pk_fma_f16 v22, v19, v13, v22 op_sel_hi:[1,0,1]
	v_pk_fma_f16 v16, v19, v14, v16 op_sel_hi:[1,0,1]
	v_pk_fma_f16 v23, v19, v14, v23 op_sel:[0,1,0]
	v_pk_fma_f16 v24, v19, v15, v24 op_sel_hi:[1,0,1]
	v_pk_fma_f16 v18, v19, v15, v18 op_sel:[0,1,0]
	ds_read_b128 v[12:15], v60 offset:9776
	s_waitcnt lgkmcnt(1)
	v_pk_fma_f16 v19, v20, v8, v25 op_sel_hi:[1,0,1]
	v_pk_fma_f16 v8, v20, v8, v26 op_sel:[0,1,0]
	v_pk_fma_f16 v22, v20, v9, v22 op_sel_hi:[1,0,1]
	v_pk_fma_f16 v9, v20, v9, v27 op_sel:[0,1,0]
	v_pk_fma_f16 v16, v20, v10, v16 op_sel_hi:[1,0,1]
	v_pk_fma_f16 v23, v20, v10, v23 op_sel:[0,1,0]
	v_pk_fma_f16 v24, v20, v11, v24 op_sel_hi:[1,0,1]
	v_pk_fma_f16 v20, v20, v11, v18 op_sel:[0,1,0]
	s_waitcnt lgkmcnt(0)
	v_pk_fma_f16 v25, v21, v12, v19 op_sel_hi:[1,0,1]
	v_pk_fma_f16 v26, v21, v12, v8 op_sel:[0,1,0]
	v_pk_fma_f16 v27, v21, v13, v9 op_sel:[0,1,0]
	ds_read2_b32 v[18:19], v28 offset0:128 offset1:160
	;; [unrolled: 21-line block ×3, first 2 shown]
	ds_read_b128 v[8:11], v60 offset:9824
	v_pk_fma_f16 v22, v19, v13, v22 op_sel_hi:[1,0,1]
	v_pk_fma_f16 v16, v19, v14, v16 op_sel_hi:[1,0,1]
	v_pk_fma_f16 v23, v19, v14, v23 op_sel:[0,1,0]
	v_pk_fma_f16 v24, v19, v15, v24 op_sel_hi:[1,0,1]
	v_pk_fma_f16 v18, v19, v15, v18 op_sel:[0,1,0]
	ds_read_b128 v[12:15], v60 offset:9840
	s_waitcnt lgkmcnt(1)
	v_pk_fma_f16 v19, v20, v8, v25 op_sel_hi:[1,0,1]
	v_pk_fma_f16 v8, v20, v8, v26 op_sel:[0,1,0]
	v_pk_fma_f16 v22, v20, v9, v22 op_sel_hi:[1,0,1]
	v_pk_fma_f16 v9, v20, v9, v27 op_sel:[0,1,0]
	v_add_u32_e32 v28, 0x1400, v59
	v_pk_fma_f16 v16, v20, v10, v16 op_sel_hi:[1,0,1]
	v_pk_fma_f16 v23, v20, v10, v23 op_sel:[0,1,0]
	v_pk_fma_f16 v24, v20, v11, v24 op_sel_hi:[1,0,1]
	v_pk_fma_f16 v20, v20, v11, v18 op_sel:[0,1,0]
	s_waitcnt lgkmcnt(0)
	v_pk_fma_f16 v25, v21, v12, v19 op_sel_hi:[1,0,1]
	v_pk_fma_f16 v26, v21, v12, v8 op_sel:[0,1,0]
	v_pk_fma_f16 v27, v21, v13, v9 op_sel:[0,1,0]
	ds_read2_b32 v[18:19], v28 offset1:32
	ds_read_b128 v[8:11], v60 offset:9856
	v_pk_fma_f16 v22, v21, v13, v22 op_sel_hi:[1,0,1]
	v_pk_fma_f16 v16, v21, v14, v16 op_sel_hi:[1,0,1]
	v_pk_fma_f16 v23, v21, v14, v23 op_sel:[0,1,0]
	v_pk_fma_f16 v24, v21, v15, v24 op_sel_hi:[1,0,1]
	v_pk_fma_f16 v20, v21, v15, v20 op_sel:[0,1,0]
	ds_read_b128 v[12:15], v60 offset:9872
	s_waitcnt lgkmcnt(1)
	v_pk_fma_f16 v21, v18, v8, v25 op_sel_hi:[1,0,1]
	v_pk_fma_f16 v8, v18, v8, v26 op_sel:[0,1,0]
	v_pk_fma_f16 v22, v18, v9, v22 op_sel_hi:[1,0,1]
	v_pk_fma_f16 v9, v18, v9, v27 op_sel:[0,1,0]
	v_pk_fma_f16 v16, v18, v10, v16 op_sel_hi:[1,0,1]
	v_pk_fma_f16 v23, v18, v10, v23 op_sel:[0,1,0]
	v_pk_fma_f16 v24, v18, v11, v24 op_sel_hi:[1,0,1]
	v_pk_fma_f16 v18, v18, v11, v20 op_sel:[0,1,0]
	s_waitcnt lgkmcnt(0)
	v_pk_fma_f16 v25, v19, v12, v21 op_sel_hi:[1,0,1]
	v_pk_fma_f16 v26, v19, v12, v8 op_sel:[0,1,0]
	v_pk_fma_f16 v27, v19, v13, v9 op_sel:[0,1,0]
	ds_read2_b32 v[20:21], v28 offset0:64 offset1:96
	ds_read_b128 v[8:11], v60 offset:9888
	v_pk_fma_f16 v22, v19, v13, v22 op_sel_hi:[1,0,1]
	v_pk_fma_f16 v16, v19, v14, v16 op_sel_hi:[1,0,1]
	v_pk_fma_f16 v23, v19, v14, v23 op_sel:[0,1,0]
	v_pk_fma_f16 v24, v19, v15, v24 op_sel_hi:[1,0,1]
	v_pk_fma_f16 v18, v19, v15, v18 op_sel:[0,1,0]
	ds_read_b128 v[12:15], v60 offset:9904
	s_waitcnt lgkmcnt(1)
	v_pk_fma_f16 v19, v20, v8, v25 op_sel_hi:[1,0,1]
	v_pk_fma_f16 v8, v20, v8, v26 op_sel:[0,1,0]
	v_pk_fma_f16 v22, v20, v9, v22 op_sel_hi:[1,0,1]
	v_pk_fma_f16 v9, v20, v9, v27 op_sel:[0,1,0]
	v_pk_fma_f16 v16, v20, v10, v16 op_sel_hi:[1,0,1]
	v_pk_fma_f16 v23, v20, v10, v23 op_sel:[0,1,0]
	v_pk_fma_f16 v24, v20, v11, v24 op_sel_hi:[1,0,1]
	v_pk_fma_f16 v20, v20, v11, v18 op_sel:[0,1,0]
	s_waitcnt lgkmcnt(0)
	v_pk_fma_f16 v25, v21, v12, v19 op_sel_hi:[1,0,1]
	v_pk_fma_f16 v26, v21, v12, v8 op_sel:[0,1,0]
	v_pk_fma_f16 v27, v21, v13, v9 op_sel:[0,1,0]
	ds_read2_b32 v[18:19], v28 offset0:128 offset1:160
	;; [unrolled: 21-line block ×3, first 2 shown]
	ds_read_b128 v[8:11], v60 offset:9952
	v_pk_fma_f16 v22, v19, v13, v22 op_sel_hi:[1,0,1]
	v_pk_fma_f16 v16, v19, v14, v16 op_sel_hi:[1,0,1]
	v_pk_fma_f16 v23, v19, v14, v23 op_sel:[0,1,0]
	v_pk_fma_f16 v24, v19, v15, v24 op_sel_hi:[1,0,1]
	v_pk_fma_f16 v18, v19, v15, v18 op_sel:[0,1,0]
	ds_read_b128 v[12:15], v60 offset:9968
	s_waitcnt lgkmcnt(1)
	v_pk_fma_f16 v19, v20, v8, v25 op_sel_hi:[1,0,1]
	v_pk_fma_f16 v8, v20, v8, v26 op_sel:[0,1,0]
	v_pk_fma_f16 v22, v20, v9, v22 op_sel_hi:[1,0,1]
	v_pk_fma_f16 v9, v20, v9, v27 op_sel:[0,1,0]
	v_add_u32_e32 v28, 0x1800, v59
	v_pk_fma_f16 v16, v20, v10, v16 op_sel_hi:[1,0,1]
	v_pk_fma_f16 v23, v20, v10, v23 op_sel:[0,1,0]
	v_pk_fma_f16 v24, v20, v11, v24 op_sel_hi:[1,0,1]
	v_pk_fma_f16 v20, v20, v11, v18 op_sel:[0,1,0]
	s_waitcnt lgkmcnt(0)
	v_pk_fma_f16 v25, v21, v12, v19 op_sel_hi:[1,0,1]
	v_pk_fma_f16 v26, v21, v12, v8 op_sel:[0,1,0]
	v_pk_fma_f16 v27, v21, v13, v9 op_sel:[0,1,0]
	ds_read2_b32 v[18:19], v28 offset1:32
	ds_read_b128 v[8:11], v60 offset:9984
	v_pk_fma_f16 v22, v21, v13, v22 op_sel_hi:[1,0,1]
	v_pk_fma_f16 v16, v21, v14, v16 op_sel_hi:[1,0,1]
	v_pk_fma_f16 v23, v21, v14, v23 op_sel:[0,1,0]
	v_pk_fma_f16 v24, v21, v15, v24 op_sel_hi:[1,0,1]
	v_pk_fma_f16 v20, v21, v15, v20 op_sel:[0,1,0]
	ds_read_b128 v[12:15], v60 offset:10000
	s_waitcnt lgkmcnt(1)
	v_pk_fma_f16 v21, v18, v8, v25 op_sel_hi:[1,0,1]
	v_pk_fma_f16 v8, v18, v8, v26 op_sel:[0,1,0]
	v_pk_fma_f16 v22, v18, v9, v22 op_sel_hi:[1,0,1]
	v_pk_fma_f16 v9, v18, v9, v27 op_sel:[0,1,0]
	v_pk_fma_f16 v16, v18, v10, v16 op_sel_hi:[1,0,1]
	v_pk_fma_f16 v23, v18, v10, v23 op_sel:[0,1,0]
	v_pk_fma_f16 v24, v18, v11, v24 op_sel_hi:[1,0,1]
	v_pk_fma_f16 v18, v18, v11, v20 op_sel:[0,1,0]
	s_waitcnt lgkmcnt(0)
	v_pk_fma_f16 v25, v19, v12, v21 op_sel_hi:[1,0,1]
	v_pk_fma_f16 v26, v19, v12, v8 op_sel:[0,1,0]
	v_pk_fma_f16 v27, v19, v13, v9 op_sel:[0,1,0]
	ds_read2_b32 v[20:21], v28 offset0:64 offset1:96
	ds_read_b128 v[8:11], v60 offset:10016
	v_pk_fma_f16 v22, v19, v13, v22 op_sel_hi:[1,0,1]
	v_pk_fma_f16 v16, v19, v14, v16 op_sel_hi:[1,0,1]
	v_pk_fma_f16 v23, v19, v14, v23 op_sel:[0,1,0]
	v_pk_fma_f16 v24, v19, v15, v24 op_sel_hi:[1,0,1]
	v_pk_fma_f16 v18, v19, v15, v18 op_sel:[0,1,0]
	ds_read_b128 v[12:15], v60 offset:10032
	s_waitcnt lgkmcnt(1)
	v_pk_fma_f16 v19, v20, v8, v25 op_sel_hi:[1,0,1]
	v_pk_fma_f16 v8, v20, v8, v26 op_sel:[0,1,0]
	v_pk_fma_f16 v22, v20, v9, v22 op_sel_hi:[1,0,1]
	v_pk_fma_f16 v9, v20, v9, v27 op_sel:[0,1,0]
	v_pk_fma_f16 v16, v20, v10, v16 op_sel_hi:[1,0,1]
	v_pk_fma_f16 v23, v20, v10, v23 op_sel:[0,1,0]
	v_pk_fma_f16 v24, v20, v11, v24 op_sel_hi:[1,0,1]
	v_pk_fma_f16 v20, v20, v11, v18 op_sel:[0,1,0]
	s_waitcnt lgkmcnt(0)
	v_pk_fma_f16 v25, v21, v12, v19 op_sel_hi:[1,0,1]
	v_pk_fma_f16 v26, v21, v12, v8 op_sel:[0,1,0]
	v_pk_fma_f16 v27, v21, v13, v9 op_sel:[0,1,0]
	ds_read2_b32 v[18:19], v28 offset0:128 offset1:160
	;; [unrolled: 21-line block ×3, first 2 shown]
	ds_read_b128 v[8:11], v60 offset:10080
	v_pk_fma_f16 v22, v19, v13, v22 op_sel_hi:[1,0,1]
	v_pk_fma_f16 v16, v19, v14, v16 op_sel_hi:[1,0,1]
	v_pk_fma_f16 v23, v19, v14, v23 op_sel:[0,1,0]
	v_pk_fma_f16 v24, v19, v15, v24 op_sel_hi:[1,0,1]
	v_pk_fma_f16 v18, v19, v15, v18 op_sel:[0,1,0]
	ds_read_b128 v[12:15], v60 offset:10096
	s_waitcnt lgkmcnt(1)
	v_pk_fma_f16 v19, v20, v8, v25 op_sel_hi:[1,0,1]
	v_pk_fma_f16 v8, v20, v8, v26 op_sel:[0,1,0]
	v_pk_fma_f16 v22, v20, v9, v22 op_sel_hi:[1,0,1]
	v_pk_fma_f16 v9, v20, v9, v27 op_sel:[0,1,0]
	v_add_u32_e32 v28, 0x1c00, v59
	v_pk_fma_f16 v16, v20, v10, v16 op_sel_hi:[1,0,1]
	v_pk_fma_f16 v23, v20, v10, v23 op_sel:[0,1,0]
	v_pk_fma_f16 v24, v20, v11, v24 op_sel_hi:[1,0,1]
	v_pk_fma_f16 v20, v20, v11, v18 op_sel:[0,1,0]
	s_waitcnt lgkmcnt(0)
	v_pk_fma_f16 v25, v21, v12, v19 op_sel_hi:[1,0,1]
	v_pk_fma_f16 v26, v21, v12, v8 op_sel:[0,1,0]
	v_pk_fma_f16 v27, v21, v13, v9 op_sel:[0,1,0]
	ds_read2_b32 v[18:19], v28 offset1:32
	ds_read_b128 v[8:11], v60 offset:10112
	v_pk_fma_f16 v22, v21, v13, v22 op_sel_hi:[1,0,1]
	v_pk_fma_f16 v16, v21, v14, v16 op_sel_hi:[1,0,1]
	v_pk_fma_f16 v23, v21, v14, v23 op_sel:[0,1,0]
	v_pk_fma_f16 v24, v21, v15, v24 op_sel_hi:[1,0,1]
	v_pk_fma_f16 v20, v21, v15, v20 op_sel:[0,1,0]
	ds_read_b128 v[12:15], v60 offset:10128
	s_waitcnt lgkmcnt(1)
	v_pk_fma_f16 v21, v18, v8, v25 op_sel_hi:[1,0,1]
	v_pk_fma_f16 v8, v18, v8, v26 op_sel:[0,1,0]
	v_pk_fma_f16 v22, v18, v9, v22 op_sel_hi:[1,0,1]
	v_pk_fma_f16 v9, v18, v9, v27 op_sel:[0,1,0]
	v_pk_fma_f16 v16, v18, v10, v16 op_sel_hi:[1,0,1]
	v_pk_fma_f16 v23, v18, v10, v23 op_sel:[0,1,0]
	v_pk_fma_f16 v24, v18, v11, v24 op_sel_hi:[1,0,1]
	v_pk_fma_f16 v18, v18, v11, v20 op_sel:[0,1,0]
	s_waitcnt lgkmcnt(0)
	v_pk_fma_f16 v25, v19, v12, v21 op_sel_hi:[1,0,1]
	v_pk_fma_f16 v26, v19, v12, v8 op_sel:[0,1,0]
	v_pk_fma_f16 v27, v19, v13, v9 op_sel:[0,1,0]
	ds_read2_b32 v[20:21], v28 offset0:64 offset1:96
	ds_read_b128 v[8:11], v60 offset:10144
	v_pk_fma_f16 v22, v19, v13, v22 op_sel_hi:[1,0,1]
	v_pk_fma_f16 v16, v19, v14, v16 op_sel_hi:[1,0,1]
	v_pk_fma_f16 v23, v19, v14, v23 op_sel:[0,1,0]
	v_pk_fma_f16 v24, v19, v15, v24 op_sel_hi:[1,0,1]
	v_pk_fma_f16 v18, v19, v15, v18 op_sel:[0,1,0]
	ds_read_b128 v[12:15], v60 offset:10160
	s_waitcnt lgkmcnt(1)
	v_pk_fma_f16 v19, v20, v8, v25 op_sel_hi:[1,0,1]
	v_pk_fma_f16 v8, v20, v8, v26 op_sel:[0,1,0]
	v_pk_fma_f16 v22, v20, v9, v22 op_sel_hi:[1,0,1]
	v_pk_fma_f16 v9, v20, v9, v27 op_sel:[0,1,0]
	v_pk_fma_f16 v16, v20, v10, v16 op_sel_hi:[1,0,1]
	v_pk_fma_f16 v23, v20, v10, v23 op_sel:[0,1,0]
	v_pk_fma_f16 v24, v20, v11, v24 op_sel_hi:[1,0,1]
	v_pk_fma_f16 v20, v20, v11, v18 op_sel:[0,1,0]
	s_waitcnt lgkmcnt(0)
	v_pk_fma_f16 v25, v21, v12, v19 op_sel_hi:[1,0,1]
	v_pk_fma_f16 v26, v21, v12, v8 op_sel:[0,1,0]
	v_pk_fma_f16 v27, v21, v13, v9 op_sel:[0,1,0]
	ds_read2_b32 v[18:19], v28 offset0:128 offset1:160
	;; [unrolled: 21-line block ×3, first 2 shown]
	ds_read_b128 v[8:11], v60 offset:10208
	v_pk_fma_f16 v22, v19, v13, v22 op_sel_hi:[1,0,1]
	v_pk_fma_f16 v16, v19, v14, v16 op_sel_hi:[1,0,1]
	v_pk_fma_f16 v23, v19, v14, v23 op_sel:[0,1,0]
	v_pk_fma_f16 v24, v19, v15, v24 op_sel_hi:[1,0,1]
	v_pk_fma_f16 v18, v19, v15, v18 op_sel:[0,1,0]
	ds_read_b128 v[12:15], v60 offset:10224
	s_waitcnt lgkmcnt(1)
	v_pk_fma_f16 v19, v20, v8, v25 op_sel_hi:[1,0,1]
	v_pk_fma_f16 v8, v20, v8, v26 op_sel:[0,1,0]
	v_pk_fma_f16 v22, v20, v9, v22 op_sel_hi:[1,0,1]
	v_pk_fma_f16 v9, v20, v9, v27 op_sel:[0,1,0]
	;; [unrolled: 2-line block ×4, first 2 shown]
	s_waitcnt lgkmcnt(0)
	v_pk_fma_f16 v70, v21, v12, v19 op_sel_hi:[1,0,1]
	v_pk_fma_f16 v69, v21, v12, v8 op_sel:[0,1,0]
	v_pk_fma_f16 v67, v21, v13, v22 op_sel_hi:[1,0,1]
	v_pk_fma_f16 v64, v21, v13, v9 op_sel:[0,1,0]
	;; [unrolled: 2-line block ×4, first 2 shown]
	v_pk_mov_b32 v[26:27], v[34:35], v[34:35] op_sel:[0,1]
	v_pk_mov_b32 v[24:25], v[6:7], v[6:7] op_sel:[0,1]
	;; [unrolled: 1-line block ×8, first 2 shown]
	s_barrier
.LBB52_127:
	v_cmp_lt_i32_e32 vcc, v85, v83
	v_cndmask_b32_e32 v0, v82, v85, vcc
	v_lshlrev_b32_e32 v9, 2, v0
	ds_bpermute_b32 v4, v9, v20
	ds_bpermute_b32 v5, v9, v21
	;; [unrolled: 1-line block ×4, first 2 shown]
	v_cmp_lt_i32_e32 vcc, v88, v83
	v_cndmask_b32_e32 v2, v82, v88, vcc
	v_cmp_lt_i32_e32 vcc, v86, v83
	v_lshlrev_b32_e32 v15, 2, v2
	v_cndmask_b32_e32 v2, v82, v86, vcc
	v_cmp_lt_i32_e32 vcc, v87, v83
	v_cndmask_b32_e32 v6, v82, v87, vcc
	s_waitcnt lgkmcnt(2)
	v_pk_add_f32 v[4:5], v[20:21], v[4:5]
	s_waitcnt lgkmcnt(0)
	v_pk_add_f32 v[0:1], v[18:19], v[0:1]
	v_lshlrev_b32_e32 v19, 2, v6
	ds_bpermute_b32 v6, v15, v4
	ds_bpermute_b32 v7, v15, v5
	v_lshlrev_b32_e32 v16, 2, v2
	ds_bpermute_b32 v10, v9, v24
	ds_bpermute_b32 v11, v9, v25
	v_cmp_lt_i32_e32 vcc, v84, v83
	s_waitcnt lgkmcnt(2)
	v_pk_add_f32 v[4:5], v[4:5], v[6:7]
	ds_bpermute_b32 v6, v16, v4
	ds_bpermute_b32 v7, v16, v5
	s_waitcnt lgkmcnt(2)
	v_pk_add_f32 v[10:11], v[24:25], v[10:11]
	ds_bpermute_b32 v2, v15, v0
	ds_bpermute_b32 v3, v15, v1
	v_cndmask_b32_e32 v8, v82, v84, vcc
	s_waitcnt lgkmcnt(2)
	v_pk_add_f32 v[4:5], v[4:5], v[6:7]
	ds_bpermute_b32 v6, v9, v22
	ds_bpermute_b32 v7, v9, v23
	;; [unrolled: 1-line block ×3, first 2 shown]
	v_lshlrev_b32_e32 v34, 2, v8
	ds_bpermute_b32 v8, v19, v4
	ds_bpermute_b32 v9, v19, v5
	s_waitcnt lgkmcnt(3)
	v_pk_add_f32 v[6:7], v[22:23], v[6:7]
	ds_bpermute_b32 v12, v15, v6
	ds_bpermute_b32 v13, v15, v7
	;; [unrolled: 1-line block ×3, first 2 shown]
	v_pk_add_f32 v[0:1], v[0:1], v[2:3]
	ds_bpermute_b32 v2, v16, v0
	ds_bpermute_b32 v3, v16, v1
	s_waitcnt lgkmcnt(3)
	v_pk_add_f32 v[6:7], v[6:7], v[12:13]
	s_waitcnt lgkmcnt(2)
	v_pk_add_f32 v[10:11], v[10:11], v[14:15]
	v_pk_add_f32 v[4:5], v[4:5], v[8:9]
	ds_bpermute_b32 v8, v16, v6
	ds_bpermute_b32 v9, v16, v7
	;; [unrolled: 1-line block ×4, first 2 shown]
	s_waitcnt lgkmcnt(4)
	v_pk_add_f32 v[0:1], v[0:1], v[2:3]
	ds_bpermute_b32 v2, v19, v0
	s_waitcnt lgkmcnt(3)
	v_pk_add_f32 v[6:7], v[6:7], v[8:9]
	ds_bpermute_b32 v3, v19, v1
	;; [unrolled: 3-line block ×3, first 2 shown]
	ds_bpermute_b32 v9, v19, v7
	ds_bpermute_b32 v12, v19, v10
	;; [unrolled: 1-line block ×3, first 2 shown]
	s_waitcnt lgkmcnt(4)
	v_pk_add_f32 v[0:1], v[0:1], v[2:3]
	ds_bpermute_b32 v2, v34, v0
	s_waitcnt lgkmcnt(3)
	v_pk_add_f32 v[6:7], v[6:7], v[8:9]
	ds_bpermute_b32 v3, v34, v1
	;; [unrolled: 3-line block ×3, first 2 shown]
	ds_bpermute_b32 v19, v34, v5
	ds_bpermute_b32 v8, v34, v6
	;; [unrolled: 1-line block ×5, first 2 shown]
	s_cmp_eq_u64 s[24:25], 0
	s_cselect_b64 s[4:5], -1, 0
	s_cmp_lg_u32 s11, 0
	s_cselect_b64 s[8:9], -1, 0
	s_or_b64 s[4:5], s[8:9], s[4:5]
	s_waitcnt lgkmcnt(6)
	v_pk_add_f32 v[14:15], v[0:1], v[2:3]
	s_waitcnt lgkmcnt(4)
	v_pk_add_f32 v[12:13], v[4:5], v[18:19]
	;; [unrolled: 2-line block ×4, first 2 shown]
	s_and_b64 vcc, exec, s[4:5]
	s_cbranch_vccnz .LBB52_129
; %bb.128:
	s_lshl_b64 s[4:5], s[34:35], 2
	s_add_u32 s4, s24, s4
	s_addc_u32 s5, s25, s5
	v_mov_b32_e32 v0, 0
	global_load_dword v16, v0, s[4:5]
	v_max_f32_e32 v0, v27, v27
	v_max_f32_e32 v2, v26, v26
	;; [unrolled: 1-line block ×3, first 2 shown]
	s_mov_b32 s8, 0x3fb8aa3b
	v_max_f32_e32 v3, v29, v29
	s_mov_b32 s5, 0xc2ce8ed0
	s_mov_b32 s4, 0x42b17218
	v_mov_b32_e32 v24, 0x7f800000
	s_waitcnt vmcnt(0)
	v_max_f32_e32 v22, v16, v16
	v_max_f32_e32 v1, v0, v22
	;; [unrolled: 1-line block ×4, first 2 shown]
	v_pk_add_f32 v[4:5], v[26:27], v[0:1] neg_lo:[0,1] neg_hi:[0,1]
	v_mul_f32_e32 v23, 0x3fb8aa3b, v5
	v_pk_add_f32 v[6:7], v[16:17], v[0:1] op_sel_hi:[0,1] neg_lo:[0,1] neg_hi:[0,1]
	v_mul_f32_e32 v25, 0x3fb8aa3b, v4
	v_fma_f32 v35, v5, s8, -v23
	v_rndne_f32_e32 v36, v23
	v_max_f32_e32 v3, v3, v22
	v_mul_f32_e32 v26, 0x3fb8aa3b, v7
	v_fma_f32 v37, v4, s8, -v25
	v_rndne_f32_e32 v38, v25
	v_fmac_f32_e32 v35, 0x32a5705f, v5
	v_sub_f32_e32 v23, v23, v36
	v_pk_add_f32 v[18:19], v[28:29], v[2:3] neg_lo:[0,1] neg_hi:[0,1]
	v_mul_f32_e32 v27, 0x3fb8aa3b, v6
	v_fma_f32 v39, v7, s8, -v26
	v_rndne_f32_e32 v40, v26
	v_fmac_f32_e32 v37, 0x32a5705f, v4
	v_sub_f32_e32 v25, v25, v38
	v_add_f32_e32 v23, v23, v35
	v_mul_f32_e32 v28, 0x3fb8aa3b, v19
	v_fma_f32 v41, v6, s8, -v27
	v_rndne_f32_e32 v59, v27
	v_cvt_i32_f32_e32 v36, v36
	v_fmac_f32_e32 v39, 0x32a5705f, v7
	v_sub_f32_e32 v26, v26, v40
	v_add_f32_e32 v25, v25, v37
	v_exp_f32_e32 v23, v23
	v_fma_f32 v60, v19, s8, -v28
	v_rndne_f32_e32 v65, v28
	v_cvt_i32_f32_e32 v38, v38
	v_fmac_f32_e32 v41, 0x32a5705f, v6
	v_sub_f32_e32 v27, v27, v59
	v_add_f32_e32 v26, v26, v39
	v_exp_f32_e32 v25, v25
	v_cvt_i32_f32_e32 v40, v40
	v_fmac_f32_e32 v60, 0x32a5705f, v19
	v_sub_f32_e32 v28, v28, v65
	v_add_f32_e32 v27, v27, v41
	v_exp_f32_e32 v26, v26
	v_cvt_i32_f32_e32 v59, v59
	v_add_f32_e32 v28, v28, v60
	v_exp_f32_e32 v27, v27
	v_cvt_i32_f32_e32 v65, v65
	v_exp_f32_e32 v28, v28
	v_ldexp_f32 v23, v23, v36
	v_cmp_ngt_f32_e32 vcc, s5, v5
	v_ldexp_f32 v25, v25, v38
	v_cndmask_b32_e32 v23, 0, v23, vcc
	v_cmp_ngt_f32_e32 vcc, s5, v4
	v_ldexp_f32 v26, v26, v40
	v_cndmask_b32_e32 v25, 0, v25, vcc
	;; [unrolled: 3-line block ×4, first 2 shown]
	v_cmp_ngt_f32_e32 vcc, s5, v19
	v_cndmask_b32_e32 v28, 0, v28, vcc
	v_cmp_nlt_f32_e32 vcc, s4, v5
	v_cndmask_b32_e32 v5, v24, v23, vcc
	v_cmp_nlt_f32_e32 vcc, s4, v4
	;; [unrolled: 2-line block ×3, first 2 shown]
	v_pk_add_f32 v[20:21], v[16:17], v[2:3] op_sel_hi:[0,1] neg_lo:[0,1] neg_hi:[0,1]
	v_mul_f32_e32 v29, 0x3fb8aa3b, v18
	v_cndmask_b32_e32 v7, v24, v26, vcc
	v_cmp_nlt_f32_e32 vcc, s4, v6
	v_mul_f32_e32 v34, 0x3fb8aa3b, v21
	v_fma_f32 v68, v18, s8, -v29
	v_rndne_f32_e32 v71, v29
	v_cndmask_b32_e32 v6, v24, v27, vcc
	v_fmac_f32_e32 v68, 0x32a5705f, v18
	v_sub_f32_e32 v29, v29, v71
	v_cvt_f16_f32_e32 v23, v4
	v_cvt_f16_f32_e32 v25, v5
	v_pk_fma_f32 v[14:15], v[14:15], v[4:5], v[6:7]
	v_fma_f32 v4, v21, s8, -v34
	v_rndne_f32_e32 v5, v34
	v_add_f32_e32 v29, v29, v68
	v_fmac_f32_e32 v4, 0x32a5705f, v21
	v_sub_f32_e32 v6, v34, v5
	v_cvt_i32_f32_e32 v71, v71
	v_exp_f32_e32 v29, v29
	v_add_f32_e32 v4, v6, v4
	v_exp_f32_e32 v4, v4
	v_cvt_i32_f32_e32 v5, v5
	v_cmp_nlt_f32_e32 vcc, s4, v19
	v_ldexp_f32 v29, v29, v71
	v_cndmask_b32_e32 v19, v24, v28, vcc
	v_cmp_ngt_f32_e32 vcc, s5, v18
	v_cndmask_b32_e32 v6, 0, v29, vcc
	v_cmp_nlt_f32_e32 vcc, s4, v18
	v_ldexp_f32 v4, v4, v5
	v_mul_f32_e32 v5, 0x3fb8aa3b, v20
	v_cndmask_b32_e32 v18, v24, v6, vcc
	v_fma_f32 v6, v20, s8, -v5
	v_rndne_f32_e32 v7, v5
	v_fmac_f32_e32 v6, 0x32a5705f, v20
	v_sub_f32_e32 v5, v5, v7
	v_add_f32_e32 v5, v5, v6
	v_exp_f32_e32 v5, v5
	v_cvt_i32_f32_e32 v6, v7
	v_cmp_ngt_f32_e32 vcc, s5, v21
	v_cndmask_b32_e32 v4, 0, v4, vcc
	v_cmp_nlt_f32_e32 vcc, s4, v21
	v_cndmask_b32_e32 v7, v24, v4, vcc
	v_ldexp_f32 v4, v5, v6
	v_cmp_ngt_f32_e32 vcc, s5, v20
	v_cndmask_b32_e32 v4, 0, v4, vcc
	v_cmp_nlt_f32_e32 vcc, s4, v20
	v_cndmask_b32_e32 v6, v24, v4, vcc
	v_max_f32_e32 v4, v31, v31
	v_max_f32_e32 v5, v4, v22
	;; [unrolled: 1-line block ×4, first 2 shown]
	v_pk_add_f32 v[20:21], v[30:31], v[4:5] neg_lo:[0,1] neg_hi:[0,1]
	v_mul_f32_e32 v26, 0x3fb8aa3b, v21
	v_fma_f32 v27, v21, s8, -v26
	v_rndne_f32_e32 v28, v26
	v_fmac_f32_e32 v27, 0x32a5705f, v21
	v_sub_f32_e32 v26, v26, v28
	v_pk_fma_f32 v[12:13], v[12:13], v[18:19], v[6:7]
	v_mul_f32_e32 v7, 0x3fb8aa3b, v20
	v_pk_mul_f16 v70, v70, v23 op_sel_hi:[1,0]
	v_pk_mul_f16 v69, v69, v25 op_sel_hi:[1,0]
	v_cvt_f16_f32_e32 v23, v18
	v_cvt_f16_f32_e32 v25, v19
	v_add_f32_e32 v26, v26, v27
	v_fma_f32 v18, v20, s8, -v7
	v_rndne_f32_e32 v19, v7
	v_exp_f32_e32 v26, v26
	v_cvt_i32_f32_e32 v27, v28
	v_fmac_f32_e32 v18, 0x32a5705f, v20
	v_sub_f32_e32 v7, v7, v19
	v_add_f32_e32 v7, v7, v18
	v_exp_f32_e32 v7, v7
	v_cvt_i32_f32_e32 v18, v19
	v_ldexp_f32 v6, v26, v27
	v_cmp_ngt_f32_e32 vcc, s5, v21
	v_cndmask_b32_e32 v6, 0, v6, vcc
	v_cmp_nlt_f32_e32 vcc, s4, v21
	v_cndmask_b32_e32 v19, v24, v6, vcc
	v_ldexp_f32 v18, v7, v18
	v_pk_add_f32 v[6:7], v[16:17], v[4:5] op_sel_hi:[0,1] neg_lo:[0,1] neg_hi:[0,1]
	v_mul_f32_e32 v21, 0x3fb8aa3b, v7
	v_pk_mul_f16 v67, v67, v23 op_sel_hi:[1,0]
	v_pk_mul_f16 v64, v64, v25 op_sel_hi:[1,0]
	v_fma_f32 v23, v7, s8, -v21
	v_rndne_f32_e32 v25, v21
	v_fmac_f32_e32 v23, 0x32a5705f, v7
	v_sub_f32_e32 v21, v21, v25
	v_add_f32_e32 v21, v21, v23
	v_exp_f32_e32 v21, v21
	v_cvt_i32_f32_e32 v23, v25
	v_cmp_ngt_f32_e32 vcc, s5, v20
	v_cndmask_b32_e32 v18, 0, v18, vcc
	v_cmp_nlt_f32_e32 vcc, s4, v20
	v_ldexp_f32 v20, v21, v23
	v_mul_f32_e32 v21, 0x3fb8aa3b, v6
	v_fma_f32 v23, v6, s8, -v21
	v_rndne_f32_e32 v25, v21
	v_fmac_f32_e32 v23, 0x32a5705f, v6
	v_sub_f32_e32 v21, v21, v25
	v_add_f32_e32 v21, v21, v23
	v_exp_f32_e32 v23, v21
	v_cvt_i32_f32_e32 v25, v25
	v_cndmask_b32_e32 v18, v24, v18, vcc
	v_cmp_ngt_f32_e32 vcc, s5, v7
	v_cndmask_b32_e32 v20, 0, v20, vcc
	v_cmp_nlt_f32_e32 vcc, s4, v7
	v_cndmask_b32_e32 v21, v24, v20, vcc
	v_ldexp_f32 v7, v23, v25
	v_cmp_ngt_f32_e32 vcc, s5, v6
	v_cndmask_b32_e32 v7, 0, v7, vcc
	v_cmp_nlt_f32_e32 vcc, s4, v6
	v_max_f32_e32 v6, v33, v33
	v_cndmask_b32_e32 v20, v24, v7, vcc
	v_max_f32_e32 v7, v6, v22
	v_max_f32_e32 v6, v32, v32
	;; [unrolled: 1-line block ×3, first 2 shown]
	v_pk_add_f32 v[22:23], v[32:33], v[6:7] neg_lo:[0,1] neg_hi:[0,1]
	v_mul_f32_e32 v27, 0x3fb8aa3b, v23
	v_fma_f32 v28, v23, s8, -v27
	v_rndne_f32_e32 v29, v27
	v_cvt_f16_f32_e32 v26, v19
	v_fmac_f32_e32 v28, 0x32a5705f, v23
	v_sub_f32_e32 v27, v27, v29
	v_pk_fma_f32 v[10:11], v[10:11], v[18:19], v[20:21]
	v_mul_f32_e32 v19, 0x3fb8aa3b, v22
	v_add_f32_e32 v27, v27, v28
	v_fma_f32 v20, v22, s8, -v19
	v_rndne_f32_e32 v21, v19
	v_exp_f32_e32 v27, v27
	v_cvt_i32_f32_e32 v28, v29
	v_fmac_f32_e32 v20, 0x32a5705f, v22
	v_sub_f32_e32 v19, v19, v21
	v_add_f32_e32 v19, v19, v20
	v_exp_f32_e32 v20, v19
	v_cvt_i32_f32_e32 v21, v21
	v_cvt_f16_f32_e32 v25, v18
	v_ldexp_f32 v18, v27, v28
	v_cmp_ngt_f32_e32 vcc, s5, v23
	v_cndmask_b32_e32 v18, 0, v18, vcc
	v_cmp_nlt_f32_e32 vcc, s4, v23
	v_cndmask_b32_e32 v19, v24, v18, vcc
	v_ldexp_f32 v18, v20, v21
	v_pk_add_f32 v[20:21], v[16:17], v[6:7] op_sel_hi:[0,1] neg_lo:[0,1] neg_hi:[0,1]
	v_mul_f32_e32 v16, 0x3fb8aa3b, v21
	v_pk_mul_f16 v62, v62, v25 op_sel_hi:[1,0]
	v_fma_f32 v23, v21, s8, -v16
	v_rndne_f32_e32 v25, v16
	v_fmac_f32_e32 v23, 0x32a5705f, v21
	v_sub_f32_e32 v16, v16, v25
	v_add_f32_e32 v16, v16, v23
	v_exp_f32_e32 v16, v16
	v_cvt_i32_f32_e32 v23, v25
	v_cmp_ngt_f32_e32 vcc, s5, v22
	v_cndmask_b32_e32 v18, 0, v18, vcc
	v_cmp_nlt_f32_e32 vcc, s4, v22
	v_mul_f32_e32 v22, 0x3fb8aa3b, v20
	v_ldexp_f32 v16, v16, v23
	v_fma_f32 v23, v20, s8, -v22
	v_rndne_f32_e32 v25, v22
	v_fmac_f32_e32 v23, 0x32a5705f, v20
	v_sub_f32_e32 v22, v22, v25
	v_add_f32_e32 v22, v22, v23
	v_exp_f32_e32 v22, v22
	v_cvt_i32_f32_e32 v23, v25
	v_cndmask_b32_e32 v18, v24, v18, vcc
	v_cmp_ngt_f32_e32 vcc, s5, v21
	v_cndmask_b32_e32 v16, 0, v16, vcc
	v_cmp_nlt_f32_e32 vcc, s4, v21
	v_cndmask_b32_e32 v21, v24, v16, vcc
	v_ldexp_f32 v16, v22, v23
	v_cvt_f16_f32_e32 v22, v18
	v_cvt_f16_f32_e32 v23, v19
	v_cmp_ngt_f32_e32 vcc, s5, v20
	v_cndmask_b32_e32 v16, 0, v16, vcc
	v_cmp_nlt_f32_e32 vcc, s4, v20
	v_pk_mul_f16 v61, v61, v26 op_sel_hi:[1,0]
	v_cndmask_b32_e32 v20, v24, v16, vcc
	v_pk_mov_b32 v[32:33], v[6:7], v[6:7] op_sel:[0,1]
	v_pk_fma_f32 v[8:9], v[8:9], v[18:19], v[20:21]
	v_pk_mul_f16 v66, v66, v22 op_sel_hi:[1,0]
	v_pk_mul_f16 v63, v63, v23 op_sel_hi:[1,0]
	v_pk_mov_b32 v[30:31], v[4:5], v[4:5] op_sel:[0,1]
	v_pk_mov_b32 v[28:29], v[2:3], v[2:3] op_sel:[0,1]
	;; [unrolled: 1-line block ×3, first 2 shown]
.LBB52_129:
	v_cmp_gt_i32_e32 vcc, s38, v58
	s_and_saveexec_b64 s[4:5], vcc
	s_cbranch_execz .LBB52_169
; %bb.130:
	s_load_dword s10, s[6:7], 0xd4
	v_mov_b32_e32 v0, 1.0
	s_waitcnt lgkmcnt(0)
	s_cmp_lg_u32 s10, 1
	s_cselect_b64 s[6:7], -1, 0
	s_cmp_eq_u32 s10, 1
	s_cselect_b64 s[8:9], -1, 0
	s_and_b64 vcc, exec, s[6:7]
	s_cbranch_vccnz .LBB52_132
; %bb.131:
	v_div_scale_f32 v0, s[4:5], v14, v14, 1.0
	v_rcp_f32_e32 v1, v0
	v_div_scale_f32 v2, vcc, 1.0, v14, 1.0
	v_fma_f32 v3, -v0, v1, 1.0
	v_fmac_f32_e32 v1, v3, v1
	v_mul_f32_e32 v3, v2, v1
	v_fma_f32 v4, -v0, v3, v2
	v_fmac_f32_e32 v3, v4, v1
	v_fma_f32 v0, -v0, v3, v2
	v_div_fmas_f32 v0, v0, v1, v3
	v_div_fixup_f32 v0, v0, v14, 1.0
.LBB52_132:
	s_mul_i32 s12, s33, s38
	s_add_i32 s12, s12, s22
	v_add_u32_e32 v1, s12, v57
	v_mul_lo_u32 v1, v1, s39
	v_add_u32_e32 v1, s34, v1
	v_mul_lo_u32 v1, s10, v1
	v_add_u32_e32 v2, s11, v1
	v_cvt_f32_f16_sdwa v7, v70 dst_sel:DWORD dst_unused:UNUSED_PAD src0_sel:WORD_1
	v_cvt_f32_f16_e32 v6, v70
	v_lshl_add_u32 v4, v2, 6, v17
	v_mov_b32_e32 v5, 0
	v_lshlrev_b64 v[4:5], 2, v[4:5]
	v_cmp_eq_u32_e32 vcc, 0, v56
	v_mov_b32_e32 v1, s29
	v_add_co_u32_e64 v4, s[4:5], s28, v4
	v_addc_co_u32_e64 v5, s[4:5], v1, v5, s[4:5]
	v_pk_mul_f32 v[0:1], v[0:1], v[6:7] op_sel_hi:[0,1]
	s_and_b64 s[6:7], vcc, s[6:7]
	global_store_dwordx2 v[4:5], v[0:1], off
	s_and_saveexec_b64 s[4:5], s[6:7]
	s_cbranch_execz .LBB52_134
; %bb.133:
	v_ashrrev_i32_e32 v3, 31, v2
	v_lshlrev_b64 v[0:1], 3, v[2:3]
	v_mov_b32_e32 v2, s31
	v_add_co_u32_e32 v0, vcc, s30, v0
	v_addc_co_u32_e32 v1, vcc, v2, v1, vcc
	v_mov_b32_e32 v2, v26
	v_mov_b32_e32 v3, v14
	global_store_dwordx2 v[0:1], v[2:3], off
.LBB52_134:
	s_or_b64 exec, exec, s[4:5]
	v_cmp_gt_i32_e32 vcc, s38, v55
	s_and_b64 exec, exec, vcc
	s_cbranch_execz .LBB52_169
; %bb.135:
	v_cndmask_b32_e64 v0, 0, 1, s[8:9]
	v_cmp_ne_u32_e64 s[4:5], 1, v0
	s_andn2_b64 vcc, exec, s[8:9]
	v_mov_b32_e32 v0, 1.0
	s_cbranch_vccnz .LBB52_137
; %bb.136:
	v_div_scale_f32 v0, s[8:9], v15, v15, 1.0
	v_rcp_f32_e32 v1, v0
	v_div_scale_f32 v2, vcc, 1.0, v15, 1.0
	v_fma_f32 v3, -v0, v1, 1.0
	v_fmac_f32_e32 v1, v3, v1
	v_mul_f32_e32 v3, v2, v1
	v_fma_f32 v4, -v0, v3, v2
	v_fmac_f32_e32 v3, v4, v1
	v_fma_f32 v0, -v0, v3, v2
	v_div_fmas_f32 v0, v0, v1, v3
	v_div_fixup_f32 v0, v0, v15, 1.0
.LBB52_137:
	v_add_u32_e32 v1, s12, v54
	v_mul_lo_u32 v1, v1, s39
	v_add_u32_e32 v1, s34, v1
	v_mul_lo_u32 v1, s10, v1
	v_add_u32_e32 v2, s11, v1
	v_cvt_f32_f16_sdwa v7, v69 dst_sel:DWORD dst_unused:UNUSED_PAD src0_sel:WORD_1
	v_cvt_f32_f16_e32 v6, v69
	v_lshl_add_u32 v4, v2, 6, v17
	v_mov_b32_e32 v5, 0
	v_lshlrev_b64 v[4:5], 2, v[4:5]
	v_mov_b32_e32 v1, s29
	v_add_co_u32_e32 v4, vcc, s28, v4
	v_addc_co_u32_e32 v5, vcc, v1, v5, vcc
	v_pk_mul_f32 v[0:1], v[0:1], v[6:7] op_sel_hi:[0,1]
	global_store_dwordx2 v[4:5], v[0:1], off
	s_and_saveexec_b64 s[8:9], s[6:7]
	s_cbranch_execz .LBB52_139
; %bb.138:
	v_ashrrev_i32_e32 v3, 31, v2
	v_lshlrev_b64 v[0:1], 3, v[2:3]
	v_mov_b32_e32 v2, s31
	v_add_co_u32_e32 v0, vcc, s30, v0
	v_addc_co_u32_e32 v1, vcc, v2, v1, vcc
	v_mov_b32_e32 v14, v27
	global_store_dwordx2 v[0:1], v[14:15], off
.LBB52_139:
	s_or_b64 exec, exec, s[8:9]
	v_cmp_gt_i32_e32 vcc, s38, v53
	s_and_b64 exec, exec, vcc
	s_cbranch_execz .LBB52_169
; %bb.140:
	s_and_b64 vcc, exec, s[4:5]
	v_mov_b32_e32 v0, 1.0
	s_cbranch_vccnz .LBB52_142
; %bb.141:
	v_div_scale_f32 v0, s[8:9], v12, v12, 1.0
	v_rcp_f32_e32 v1, v0
	v_div_scale_f32 v2, vcc, 1.0, v12, 1.0
	v_fma_f32 v3, -v0, v1, 1.0
	v_fmac_f32_e32 v1, v3, v1
	v_mul_f32_e32 v3, v2, v1
	v_fma_f32 v4, -v0, v3, v2
	v_fmac_f32_e32 v3, v4, v1
	v_fma_f32 v0, -v0, v3, v2
	v_div_fmas_f32 v0, v0, v1, v3
	v_div_fixup_f32 v0, v0, v12, 1.0
.LBB52_142:
	v_add_u32_e32 v1, s12, v52
	v_mul_lo_u32 v1, v1, s39
	v_add_u32_e32 v1, s34, v1
	v_mul_lo_u32 v1, s10, v1
	v_add_u32_e32 v2, s11, v1
	v_cvt_f32_f16_sdwa v7, v67 dst_sel:DWORD dst_unused:UNUSED_PAD src0_sel:WORD_1
	v_cvt_f32_f16_e32 v6, v67
	v_lshl_add_u32 v4, v2, 6, v17
	v_mov_b32_e32 v5, 0
	v_lshlrev_b64 v[4:5], 2, v[4:5]
	v_mov_b32_e32 v1, s29
	v_add_co_u32_e32 v4, vcc, s28, v4
	v_addc_co_u32_e32 v5, vcc, v1, v5, vcc
	v_pk_mul_f32 v[0:1], v[0:1], v[6:7] op_sel_hi:[0,1]
	global_store_dwordx2 v[4:5], v[0:1], off
	s_and_saveexec_b64 s[8:9], s[6:7]
	s_cbranch_execz .LBB52_144
; %bb.143:
	v_ashrrev_i32_e32 v3, 31, v2
	v_lshlrev_b64 v[0:1], 3, v[2:3]
	v_mov_b32_e32 v2, s31
	v_add_co_u32_e32 v0, vcc, s30, v0
	v_addc_co_u32_e32 v1, vcc, v2, v1, vcc
	v_mov_b32_e32 v2, v28
	v_mov_b32_e32 v3, v12
	global_store_dwordx2 v[0:1], v[2:3], off
.LBB52_144:
	s_or_b64 exec, exec, s[8:9]
	v_cmp_gt_i32_e32 vcc, s38, v51
	s_and_b64 exec, exec, vcc
	s_cbranch_execz .LBB52_169
; %bb.145:
	s_and_b64 vcc, exec, s[4:5]
	v_mov_b32_e32 v0, 1.0
	s_cbranch_vccnz .LBB52_147
; %bb.146:
	v_div_scale_f32 v0, s[8:9], v13, v13, 1.0
	v_rcp_f32_e32 v1, v0
	v_div_scale_f32 v2, vcc, 1.0, v13, 1.0
	v_fma_f32 v3, -v0, v1, 1.0
	v_fmac_f32_e32 v1, v3, v1
	v_mul_f32_e32 v3, v2, v1
	v_fma_f32 v4, -v0, v3, v2
	v_fmac_f32_e32 v3, v4, v1
	v_fma_f32 v0, -v0, v3, v2
	v_div_fmas_f32 v0, v0, v1, v3
	v_div_fixup_f32 v0, v0, v13, 1.0
.LBB52_147:
	v_add_u32_e32 v1, s12, v50
	v_mul_lo_u32 v1, v1, s39
	v_add_u32_e32 v1, s34, v1
	v_mul_lo_u32 v1, s10, v1
	v_add_u32_e32 v2, s11, v1
	v_cvt_f32_f16_sdwa v7, v64 dst_sel:DWORD dst_unused:UNUSED_PAD src0_sel:WORD_1
	v_cvt_f32_f16_e32 v6, v64
	v_lshl_add_u32 v4, v2, 6, v17
	v_mov_b32_e32 v5, 0
	v_lshlrev_b64 v[4:5], 2, v[4:5]
	v_mov_b32_e32 v1, s29
	v_add_co_u32_e32 v4, vcc, s28, v4
	v_addc_co_u32_e32 v5, vcc, v1, v5, vcc
	v_pk_mul_f32 v[0:1], v[0:1], v[6:7] op_sel_hi:[0,1]
	global_store_dwordx2 v[4:5], v[0:1], off
	s_and_saveexec_b64 s[8:9], s[6:7]
	s_cbranch_execz .LBB52_149
; %bb.148:
	v_ashrrev_i32_e32 v3, 31, v2
	v_lshlrev_b64 v[0:1], 3, v[2:3]
	v_mov_b32_e32 v2, s31
	v_add_co_u32_e32 v0, vcc, s30, v0
	v_addc_co_u32_e32 v1, vcc, v2, v1, vcc
	v_mov_b32_e32 v12, v29
	global_store_dwordx2 v[0:1], v[12:13], off
.LBB52_149:
	s_or_b64 exec, exec, s[8:9]
	v_cmp_gt_i32_e32 vcc, s38, v49
	s_and_b64 exec, exec, vcc
	s_cbranch_execz .LBB52_169
; %bb.150:
	s_and_b64 vcc, exec, s[4:5]
	v_mov_b32_e32 v0, 1.0
	s_cbranch_vccnz .LBB52_152
; %bb.151:
	v_div_scale_f32 v0, s[8:9], v10, v10, 1.0
	v_rcp_f32_e32 v1, v0
	v_div_scale_f32 v2, vcc, 1.0, v10, 1.0
	v_fma_f32 v3, -v0, v1, 1.0
	v_fmac_f32_e32 v1, v3, v1
	v_mul_f32_e32 v3, v2, v1
	v_fma_f32 v4, -v0, v3, v2
	v_fmac_f32_e32 v3, v4, v1
	v_fma_f32 v0, -v0, v3, v2
	v_div_fmas_f32 v0, v0, v1, v3
	v_div_fixup_f32 v0, v0, v10, 1.0
.LBB52_152:
	v_add_u32_e32 v1, s12, v48
	v_mul_lo_u32 v1, v1, s39
	v_add_u32_e32 v1, s34, v1
	v_mul_lo_u32 v1, s10, v1
	v_add_u32_e32 v2, s11, v1
	v_cvt_f32_f16_sdwa v7, v62 dst_sel:DWORD dst_unused:UNUSED_PAD src0_sel:WORD_1
	v_cvt_f32_f16_e32 v6, v62
	v_lshl_add_u32 v4, v2, 6, v17
	v_mov_b32_e32 v5, 0
	v_lshlrev_b64 v[4:5], 2, v[4:5]
	v_mov_b32_e32 v1, s29
	v_add_co_u32_e32 v4, vcc, s28, v4
	v_addc_co_u32_e32 v5, vcc, v1, v5, vcc
	v_pk_mul_f32 v[0:1], v[0:1], v[6:7] op_sel_hi:[0,1]
	global_store_dwordx2 v[4:5], v[0:1], off
	s_and_saveexec_b64 s[8:9], s[6:7]
	s_cbranch_execz .LBB52_154
; %bb.153:
	v_ashrrev_i32_e32 v3, 31, v2
	v_lshlrev_b64 v[0:1], 3, v[2:3]
	v_mov_b32_e32 v2, s31
	v_add_co_u32_e32 v0, vcc, s30, v0
	v_addc_co_u32_e32 v1, vcc, v2, v1, vcc
	v_mov_b32_e32 v2, v30
	v_mov_b32_e32 v3, v10
	global_store_dwordx2 v[0:1], v[2:3], off
.LBB52_154:
	s_or_b64 exec, exec, s[8:9]
	v_cmp_gt_i32_e32 vcc, s38, v47
	s_and_b64 exec, exec, vcc
	s_cbranch_execz .LBB52_169
; %bb.155:
	s_and_b64 vcc, exec, s[4:5]
	v_mov_b32_e32 v0, 1.0
	s_cbranch_vccnz .LBB52_157
; %bb.156:
	v_div_scale_f32 v0, s[8:9], v11, v11, 1.0
	v_rcp_f32_e32 v1, v0
	v_div_scale_f32 v2, vcc, 1.0, v11, 1.0
	v_fma_f32 v3, -v0, v1, 1.0
	v_fmac_f32_e32 v1, v3, v1
	v_mul_f32_e32 v3, v2, v1
	v_fma_f32 v4, -v0, v3, v2
	v_fmac_f32_e32 v3, v4, v1
	v_fma_f32 v0, -v0, v3, v2
	v_div_fmas_f32 v0, v0, v1, v3
	v_div_fixup_f32 v0, v0, v11, 1.0
.LBB52_157:
	v_add_u32_e32 v1, s12, v46
	v_mul_lo_u32 v1, v1, s39
	v_add_u32_e32 v1, s34, v1
	v_mul_lo_u32 v1, s10, v1
	v_add_u32_e32 v2, s11, v1
	v_cvt_f32_f16_sdwa v7, v61 dst_sel:DWORD dst_unused:UNUSED_PAD src0_sel:WORD_1
	v_cvt_f32_f16_e32 v6, v61
	v_lshl_add_u32 v4, v2, 6, v17
	v_mov_b32_e32 v5, 0
	v_lshlrev_b64 v[4:5], 2, v[4:5]
	v_mov_b32_e32 v1, s29
	v_add_co_u32_e32 v4, vcc, s28, v4
	v_addc_co_u32_e32 v5, vcc, v1, v5, vcc
	v_pk_mul_f32 v[0:1], v[0:1], v[6:7] op_sel_hi:[0,1]
	global_store_dwordx2 v[4:5], v[0:1], off
	s_and_saveexec_b64 s[8:9], s[6:7]
	s_cbranch_execz .LBB52_159
; %bb.158:
	v_ashrrev_i32_e32 v3, 31, v2
	v_lshlrev_b64 v[0:1], 3, v[2:3]
	v_mov_b32_e32 v2, s31
	v_add_co_u32_e32 v0, vcc, s30, v0
	v_addc_co_u32_e32 v1, vcc, v2, v1, vcc
	v_mov_b32_e32 v10, v31
	global_store_dwordx2 v[0:1], v[10:11], off
.LBB52_159:
	s_or_b64 exec, exec, s[8:9]
	v_cmp_gt_i32_e32 vcc, s38, v45
	s_and_b64 exec, exec, vcc
	s_cbranch_execz .LBB52_169
; %bb.160:
	s_and_b64 vcc, exec, s[4:5]
	v_mov_b32_e32 v0, 1.0
	s_cbranch_vccnz .LBB52_162
; %bb.161:
	v_div_scale_f32 v0, s[8:9], v8, v8, 1.0
	v_rcp_f32_e32 v1, v0
	v_div_scale_f32 v2, vcc, 1.0, v8, 1.0
	v_fma_f32 v3, -v0, v1, 1.0
	v_fmac_f32_e32 v1, v3, v1
	v_mul_f32_e32 v3, v2, v1
	v_fma_f32 v4, -v0, v3, v2
	v_fmac_f32_e32 v3, v4, v1
	v_fma_f32 v0, -v0, v3, v2
	v_div_fmas_f32 v0, v0, v1, v3
	v_div_fixup_f32 v0, v0, v8, 1.0
.LBB52_162:
	v_add_u32_e32 v1, s12, v44
	v_mul_lo_u32 v1, v1, s39
	v_add_u32_e32 v1, s34, v1
	v_mul_lo_u32 v1, s10, v1
	v_add_u32_e32 v2, s11, v1
	v_cvt_f32_f16_sdwa v7, v66 dst_sel:DWORD dst_unused:UNUSED_PAD src0_sel:WORD_1
	v_cvt_f32_f16_e32 v6, v66
	v_lshl_add_u32 v4, v2, 6, v17
	v_mov_b32_e32 v5, 0
	v_lshlrev_b64 v[4:5], 2, v[4:5]
	v_mov_b32_e32 v1, s29
	v_add_co_u32_e32 v4, vcc, s28, v4
	v_addc_co_u32_e32 v5, vcc, v1, v5, vcc
	v_pk_mul_f32 v[0:1], v[0:1], v[6:7] op_sel_hi:[0,1]
	global_store_dwordx2 v[4:5], v[0:1], off
	s_and_saveexec_b64 s[8:9], s[6:7]
	s_cbranch_execz .LBB52_164
; %bb.163:
	v_ashrrev_i32_e32 v3, 31, v2
	v_lshlrev_b64 v[0:1], 3, v[2:3]
	v_mov_b32_e32 v2, s31
	v_add_co_u32_e32 v0, vcc, s30, v0
	v_addc_co_u32_e32 v1, vcc, v2, v1, vcc
	v_mov_b32_e32 v2, v32
	v_mov_b32_e32 v3, v8
	global_store_dwordx2 v[0:1], v[2:3], off
.LBB52_164:
	s_or_b64 exec, exec, s[8:9]
	v_cmp_gt_i32_e32 vcc, s38, v43
	s_and_b64 exec, exec, vcc
	s_cbranch_execz .LBB52_169
; %bb.165:
	s_and_b64 vcc, exec, s[4:5]
	v_mov_b32_e32 v0, 1.0
	s_cbranch_vccnz .LBB52_167
; %bb.166:
	v_div_scale_f32 v0, s[4:5], v9, v9, 1.0
	v_rcp_f32_e32 v1, v0
	v_div_scale_f32 v2, vcc, 1.0, v9, 1.0
	v_fma_f32 v3, -v0, v1, 1.0
	v_fmac_f32_e32 v1, v3, v1
	v_mul_f32_e32 v3, v2, v1
	v_fma_f32 v4, -v0, v3, v2
	v_fmac_f32_e32 v3, v4, v1
	v_fma_f32 v0, -v0, v3, v2
	v_div_fmas_f32 v0, v0, v1, v3
	v_div_fixup_f32 v0, v0, v9, 1.0
.LBB52_167:
	v_add_u32_e32 v1, s12, v42
	v_mul_lo_u32 v1, v1, s39
	v_add_u32_e32 v1, s34, v1
	v_mul_lo_u32 v1, s10, v1
	v_add_u32_e32 v2, s11, v1
	v_cvt_f32_f16_sdwa v7, v63 dst_sel:DWORD dst_unused:UNUSED_PAD src0_sel:WORD_1
	v_cvt_f32_f16_e32 v6, v63
	v_lshl_add_u32 v4, v2, 6, v17
	v_mov_b32_e32 v5, 0
	v_lshlrev_b64 v[4:5], 2, v[4:5]
	v_mov_b32_e32 v1, s29
	v_add_co_u32_e32 v4, vcc, s28, v4
	v_addc_co_u32_e32 v5, vcc, v1, v5, vcc
	v_pk_mul_f32 v[0:1], v[0:1], v[6:7] op_sel_hi:[0,1]
	global_store_dwordx2 v[4:5], v[0:1], off
	s_and_b64 exec, exec, s[6:7]
	s_cbranch_execz .LBB52_169
; %bb.168:
	v_ashrrev_i32_e32 v3, 31, v2
	v_lshlrev_b64 v[0:1], 3, v[2:3]
	v_mov_b32_e32 v2, s31
	v_add_co_u32_e32 v0, vcc, s30, v0
	v_addc_co_u32_e32 v1, vcc, v2, v1, vcc
	v_mov_b32_e32 v8, v33
	global_store_dwordx2 v[0:1], v[8:9], off
.LBB52_169:
	s_endpgm
	.section	.rodata,"a",@progbits
	.p2align	6, 0x0
	.amdhsa_kernel _ZL15flash_attn_tileILi64ELi64ELi64ELi1ELb0EEvPKcS1_S1_S1_S1_PKiPfP15HIP_vector_typeIfLj2EEffffjfiS5_IjLj3EEiiiiiiiiiiiliiliiiiil
		.amdhsa_group_segment_fixed_size 29696
		.amdhsa_private_segment_fixed_size 32
		.amdhsa_kernarg_size 464
		.amdhsa_user_sgpr_count 10
		.amdhsa_user_sgpr_private_segment_buffer 1
		.amdhsa_user_sgpr_dispatch_ptr 1
		.amdhsa_user_sgpr_queue_ptr 0
		.amdhsa_user_sgpr_kernarg_segment_ptr 1
		.amdhsa_user_sgpr_dispatch_id 0
		.amdhsa_user_sgpr_flat_scratch_init 1
		.amdhsa_user_sgpr_kernarg_preload_length 0
		.amdhsa_user_sgpr_kernarg_preload_offset 0
		.amdhsa_user_sgpr_private_segment_size 0
		.amdhsa_uses_dynamic_stack 0
		.amdhsa_system_sgpr_private_segment_wavefront_offset 1
		.amdhsa_system_sgpr_workgroup_id_x 1
		.amdhsa_system_sgpr_workgroup_id_y 1
		.amdhsa_system_sgpr_workgroup_id_z 1
		.amdhsa_system_sgpr_workgroup_info 0
		.amdhsa_system_vgpr_workitem_id 2
		.amdhsa_next_free_vgpr 140
		.amdhsa_next_free_sgpr 56
		.amdhsa_accum_offset 140
		.amdhsa_reserve_vcc 1
		.amdhsa_reserve_flat_scratch 1
		.amdhsa_float_round_mode_32 0
		.amdhsa_float_round_mode_16_64 0
		.amdhsa_float_denorm_mode_32 3
		.amdhsa_float_denorm_mode_16_64 3
		.amdhsa_dx10_clamp 1
		.amdhsa_ieee_mode 1
		.amdhsa_fp16_overflow 0
		.amdhsa_tg_split 0
		.amdhsa_exception_fp_ieee_invalid_op 0
		.amdhsa_exception_fp_denorm_src 0
		.amdhsa_exception_fp_ieee_div_zero 0
		.amdhsa_exception_fp_ieee_overflow 0
		.amdhsa_exception_fp_ieee_underflow 0
		.amdhsa_exception_fp_ieee_inexact 0
		.amdhsa_exception_int_div_zero 0
	.end_amdhsa_kernel
	.section	.text._ZL15flash_attn_tileILi64ELi64ELi64ELi1ELb0EEvPKcS1_S1_S1_S1_PKiPfP15HIP_vector_typeIfLj2EEffffjfiS5_IjLj3EEiiiiiiiiiiiliiliiiiil,"axG",@progbits,_ZL15flash_attn_tileILi64ELi64ELi64ELi1ELb0EEvPKcS1_S1_S1_S1_PKiPfP15HIP_vector_typeIfLj2EEffffjfiS5_IjLj3EEiiiiiiiiiiiliiliiiiil,comdat
.Lfunc_end52:
	.size	_ZL15flash_attn_tileILi64ELi64ELi64ELi1ELb0EEvPKcS1_S1_S1_S1_PKiPfP15HIP_vector_typeIfLj2EEffffjfiS5_IjLj3EEiiiiiiiiiiiliiliiiiil, .Lfunc_end52-_ZL15flash_attn_tileILi64ELi64ELi64ELi1ELb0EEvPKcS1_S1_S1_S1_PKiPfP15HIP_vector_typeIfLj2EEffffjfiS5_IjLj3EEiiiiiiiiiiiliiliiiiil
                                        ; -- End function
	.section	.AMDGPU.csdata,"",@progbits
; Kernel info:
; codeLenInByte = 38684
; NumSgprs: 62
; NumVgprs: 140
; NumAgprs: 0
; TotalNumVgprs: 140
; ScratchSize: 32
; MemoryBound: 0
; FloatMode: 240
; IeeeMode: 1
; LDSByteSize: 29696 bytes/workgroup (compile time only)
; SGPRBlocks: 7
; VGPRBlocks: 17
; NumSGPRsForWavesPerEU: 62
; NumVGPRsForWavesPerEU: 140
; AccumOffset: 140
; Occupancy: 2
; WaveLimiterHint : 0
; COMPUTE_PGM_RSRC2:SCRATCH_EN: 1
; COMPUTE_PGM_RSRC2:USER_SGPR: 10
; COMPUTE_PGM_RSRC2:TRAP_HANDLER: 0
; COMPUTE_PGM_RSRC2:TGID_X_EN: 1
; COMPUTE_PGM_RSRC2:TGID_Y_EN: 1
; COMPUTE_PGM_RSRC2:TGID_Z_EN: 1
; COMPUTE_PGM_RSRC2:TIDIG_COMP_CNT: 2
; COMPUTE_PGM_RSRC3_GFX90A:ACCUM_OFFSET: 34
; COMPUTE_PGM_RSRC3_GFX90A:TG_SPLIT: 0
	.section	.text._ZL25flash_attn_mask_to_KV_maxILi64EEvPK7__half2Piiii,"axG",@progbits,_ZL25flash_attn_mask_to_KV_maxILi64EEvPK7__half2Piiii,comdat
	.globl	_ZL25flash_attn_mask_to_KV_maxILi64EEvPK7__half2Piiii ; -- Begin function _ZL25flash_attn_mask_to_KV_maxILi64EEvPK7__half2Piiii
	.p2align	8
	.type	_ZL25flash_attn_mask_to_KV_maxILi64EEvPK7__half2Piiii,@function
_ZL25flash_attn_mask_to_KV_maxILi64EEvPK7__half2Piiii: ; @_ZL25flash_attn_mask_to_KV_maxILi64EEvPK7__half2Piiii
; %bb.0:
	s_load_dwordx4 s[8:11], s[4:5], 0x0
	v_cmp_gt_u32_e32 vcc, 32, v0
	s_and_saveexec_b64 s[0:1], vcc
	s_cbranch_execz .LBB53_2
; %bb.1:
	v_lshlrev_b32_e32 v1, 2, v0
	v_mov_b32_e32 v2, 1
	ds_write_b32 v1, v2
.LBB53_2:
	s_or_b64 exec, exec, s[0:1]
	s_load_dwordx4 s[12:15], s[4:5], 0x10
	s_load_dword s33, s[4:5], 0x20
	v_and_b32_e32 v2, 31, v0
	v_lshlrev_b32_e32 v6, 2, v2
	v_lshrrev_b32_e32 v1, 3, v0
	s_waitcnt lgkmcnt(0)
	s_mul_i32 s1, s6, s13
	s_mul_i32 s0, s7, s14
	s_lshl_b32 s1, s1, 6
	s_add_i32 s0, s0, s1
	s_ashr_i32 s1, s0, 31
	s_lshl_b64 s[0:1], s[0:1], 2
	s_add_u32 s94, s8, s0
	s_addc_u32 s95, s9, s1
	v_cmp_eq_u32_e64 s[0:1], 0, v2
	v_mbcnt_lo_u32_b32 v2, -1, 0
	s_lshl_b32 s12, s12, 8
	s_mov_b64 s[4:5], 0
	v_mov_b32_e32 v3, 0
	s_movk_i32 s92, 0x204
	s_movk_i32 s93, 0x7fff
	;; [unrolled: 1-line block ×3, first 2 shown]
	v_mbcnt_hi_u32_b32 v7, -1, v2
	s_barrier
	s_waitcnt lgkmcnt(0)
                                        ; implicit-def: $sgpr2_sgpr3
	s_branch .LBB53_5
.LBB53_3:                               ;   in Loop: Header=BB53_5 Depth=1
	s_or_b64 exec, exec, s[8:9]
	s_waitcnt lgkmcnt(0)
	s_barrier
	ds_read_b32 v10, v6
	s_waitcnt lgkmcnt(0)
	s_barrier
	ds_bpermute_b32 v2, v2, v10
	v_cmp_ne_u32_e32 vcc, 0, v10
	s_waitcnt lgkmcnt(0)
	v_cmp_ne_u32_e64 s[2:3], 0, v2
	s_and_b64 s[2:3], vcc, s[2:3]
	v_cndmask_b32_e64 v2, 0, 1, s[2:3]
	ds_bpermute_b32 v2, v4, v2
	s_waitcnt lgkmcnt(0)
	v_cmp_ne_u32_e32 vcc, 0, v2
	s_and_b64 s[2:3], vcc, s[2:3]
	v_cndmask_b32_e64 v2, 0, 1, s[2:3]
	ds_bpermute_b32 v2, v5, v2
	s_waitcnt lgkmcnt(0)
	v_cmp_ne_u32_e32 vcc, 0, v2
	;; [unrolled: 5-line block ×3, first 2 shown]
	s_and_b64 s[2:3], vcc, s[2:3]
	v_cndmask_b32_e64 v2, 0, 1, s[2:3]
	ds_bpermute_b32 v2, v9, v2
	s_xor_b64 s[2:3], s[2:3], -1
	s_waitcnt lgkmcnt(0)
	v_cmp_eq_u32_e32 vcc, 0, v2
	s_or_b64 s[2:3], vcc, s[2:3]
.LBB53_4:                               ;   in Loop: Header=BB53_5 Depth=1
	s_and_b64 s[8:9], exec, s[2:3]
	s_or_b64 s[4:5], s[8:9], s[4:5]
	v_mov_b32_e32 v2, s12
	s_mov_b32 s12, s91
	s_andn2_b64 exec, exec, s[4:5]
	s_cbranch_execz .LBB53_260
.LBB53_5:                               ; =>This Inner Loop Header: Depth=1
	s_add_i32 s91, s12, 0xffffff00
	s_or_b64 s[2:3], s[2:3], exec
	s_cmp_lt_i32 s91, 0
	s_cbranch_scc1 .LBB53_4
; %bb.6:                                ;   in Loop: Header=BB53_5 Depth=1
	s_lshr_b32 s2, s91, 1
	v_add_u32_e32 v2, s2, v0
	v_lshlrev_b64 v[4:5], 2, v[2:3]
	v_mov_b32_e32 v8, s95
	v_add_co_u32_e32 v4, vcc, s94, v4
	v_addc_co_u32_e32 v5, vcc, v8, v5, vcc
	global_load_dword v4, v[4:5], off
	s_mov_b64 s[8:9], 0
	s_waitcnt vmcnt(0)
	v_cmp_class_f16_e64 s[2:3], v4, s92
	v_and_b32_sdwa v4, s93, v4 dst_sel:DWORD dst_unused:UNUSED_PAD src0_sel:DWORD src1_sel:WORD_1
	v_cmp_eq_f16_e32 vcc, s90, v4
	s_and_b64 s[14:15], s[2:3], vcc
	s_and_saveexec_b64 s[2:3], s[14:15]
	s_cbranch_execz .LBB53_258
; %bb.7:                                ;   in Loop: Header=BB53_5 Depth=1
	v_add_u32_e32 v4, s13, v2
	v_ashrrev_i32_e32 v5, 31, v4
	v_lshlrev_b64 v[8:9], 2, v[4:5]
	v_mov_b32_e32 v2, s95
	v_add_co_u32_e32 v8, vcc, s94, v8
	v_addc_co_u32_e32 v9, vcc, v2, v9, vcc
	global_load_dword v2, v[8:9], off
	s_mov_b64 s[14:15], 0
	s_waitcnt vmcnt(0)
	v_cmp_class_f16_e64 s[16:17], v2, s92
	s_and_saveexec_b64 s[8:9], s[16:17]
	s_cbranch_execz .LBB53_257
; %bb.8:                                ;   in Loop: Header=BB53_5 Depth=1
	v_cmp_class_f16_sdwa s[18:19], v2, s92 src0_sel:WORD_1 src1_sel:DWORD
	s_mov_b64 s[16:17], 0
	s_and_saveexec_b64 s[14:15], s[18:19]
	s_cbranch_execz .LBB53_256
; %bb.9:                                ;   in Loop: Header=BB53_5 Depth=1
	v_add_u32_e32 v4, s13, v4
	v_ashrrev_i32_e32 v5, 31, v4
	v_lshlrev_b64 v[8:9], 2, v[4:5]
	v_mov_b32_e32 v2, s95
	v_add_co_u32_e32 v8, vcc, s94, v8
	v_addc_co_u32_e32 v9, vcc, v2, v9, vcc
	global_load_dword v2, v[8:9], off
	s_mov_b64 s[18:19], 0
	s_waitcnt vmcnt(0)
	v_cmp_class_f16_e64 s[20:21], v2, s92
	s_and_saveexec_b64 s[16:17], s[20:21]
	s_cbranch_execz .LBB53_255
; %bb.10:                               ;   in Loop: Header=BB53_5 Depth=1
	v_cmp_class_f16_sdwa s[22:23], v2, s92 src0_sel:WORD_1 src1_sel:DWORD
	s_mov_b64 s[20:21], 0
	s_and_saveexec_b64 s[18:19], s[22:23]
	s_cbranch_execz .LBB53_254
; %bb.11:                               ;   in Loop: Header=BB53_5 Depth=1
	v_add_u32_e32 v4, s13, v4
	v_ashrrev_i32_e32 v5, 31, v4
	v_lshlrev_b64 v[8:9], 2, v[4:5]
	v_mov_b32_e32 v2, s95
	v_add_co_u32_e32 v8, vcc, s94, v8
	v_addc_co_u32_e32 v9, vcc, v2, v9, vcc
	global_load_dword v2, v[8:9], off
	s_mov_b64 s[22:23], 0
	s_waitcnt vmcnt(0)
	v_cmp_class_f16_e64 s[24:25], v2, s92
	s_and_saveexec_b64 s[20:21], s[24:25]
	s_cbranch_execz .LBB53_253
; %bb.12:                               ;   in Loop: Header=BB53_5 Depth=1
	v_cmp_class_f16_sdwa s[26:27], v2, s92 src0_sel:WORD_1 src1_sel:DWORD
	s_mov_b64 s[24:25], 0
	s_and_saveexec_b64 s[22:23], s[26:27]
	s_cbranch_execz .LBB53_252
; %bb.13:                               ;   in Loop: Header=BB53_5 Depth=1
	;; [unrolled: 18-line block ×17, first 2 shown]
	v_add_u32_e32 v4, s13, v4
	v_ashrrev_i32_e32 v5, 31, v4
	v_lshlrev_b64 v[8:9], 2, v[4:5]
	v_mov_b32_e32 v2, s95
	v_add_co_u32_e32 v8, vcc, s94, v8
	v_addc_co_u32_e32 v9, vcc, v2, v9, vcc
	global_load_dword v2, v[8:9], off
	s_mov_b64 s[88:89], 0
	s_waitcnt vmcnt(0)
	v_cmp_class_f16_e64 vcc, v2, s92
	s_mov_b64 s[86:87], exec
                                        ; implicit-def: $vgpr14 : SGPR spill to VGPR lane
	v_writelane_b32 v14, s86, 0
	s_and_b64 vcc, s[86:87], vcc
	v_writelane_b32 v14, s87, 1
	s_mov_b64 exec, vcc
	s_cbranch_execz .LBB53_221
; %bb.44:                               ;   in Loop: Header=BB53_5 Depth=1
	v_cmp_class_f16_sdwa s[88:89], v2, s92 src0_sel:WORD_1 src1_sel:DWORD
	s_mov_b64 vcc, 0
	s_mov_b64 s[86:87], exec
	v_writelane_b32 v14, s86, 2
	s_and_b64 s[88:89], s[86:87], s[88:89]
	v_writelane_b32 v14, s87, 3
	s_mov_b64 exec, s[88:89]
	s_cbranch_execz .LBB53_220
; %bb.45:                               ;   in Loop: Header=BB53_5 Depth=1
	v_add_u32_e32 v4, s13, v4
	v_ashrrev_i32_e32 v5, 31, v4
	v_lshlrev_b64 v[8:9], 2, v[4:5]
	v_mov_b32_e32 v2, s95
	v_add_co_u32_e32 v8, vcc, s94, v8
	v_addc_co_u32_e32 v9, vcc, v2, v9, vcc
	global_load_dword v2, v[8:9], off
	s_mov_b64 vcc, 0
	s_waitcnt vmcnt(0)
	v_cmp_class_f16_e64 s[88:89], v2, s92
	s_mov_b64 s[86:87], exec
	v_writelane_b32 v14, s86, 4
	s_and_b64 s[88:89], s[86:87], s[88:89]
	v_writelane_b32 v14, s87, 5
	s_mov_b64 exec, s[88:89]
	s_cbranch_execz .LBB53_219
; %bb.46:                               ;   in Loop: Header=BB53_5 Depth=1
	v_cmp_class_f16_sdwa s[88:89], v2, s92 src0_sel:WORD_1 src1_sel:DWORD
	s_mov_b64 vcc, 0
	s_mov_b64 s[86:87], exec
	v_writelane_b32 v14, s86, 6
	s_and_b64 s[88:89], s[86:87], s[88:89]
	v_writelane_b32 v14, s87, 7
	s_mov_b64 exec, s[88:89]
	s_cbranch_execz .LBB53_218
; %bb.47:                               ;   in Loop: Header=BB53_5 Depth=1
	v_add_u32_e32 v4, s13, v4
	v_ashrrev_i32_e32 v5, 31, v4
	v_lshlrev_b64 v[8:9], 2, v[4:5]
	v_mov_b32_e32 v2, s95
	v_add_co_u32_e32 v8, vcc, s94, v8
	v_addc_co_u32_e32 v9, vcc, v2, v9, vcc
	global_load_dword v2, v[8:9], off
	s_mov_b64 vcc, 0
	s_waitcnt vmcnt(0)
	v_cmp_class_f16_e64 s[88:89], v2, s92
	s_mov_b64 s[86:87], exec
	v_writelane_b32 v14, s86, 8
	s_and_b64 s[88:89], s[86:87], s[88:89]
	v_writelane_b32 v14, s87, 9
	s_mov_b64 exec, s[88:89]
	;; [unrolled: 26-line block ×15, first 2 shown]
	s_cbranch_execz .LBB53_191
; %bb.74:                               ;   in Loop: Header=BB53_5 Depth=1
	v_cmp_class_f16_sdwa s[88:89], v2, s92 src0_sel:WORD_1 src1_sel:DWORD
	s_mov_b64 vcc, 0
	s_mov_b64 s[86:87], exec
	v_writelane_b32 v14, s86, 62
	s_and_b64 s[88:89], s[86:87], s[88:89]
	v_writelane_b32 v14, s87, 63
	s_mov_b64 exec, s[88:89]
	s_cbranch_execz .LBB53_190
; %bb.75:                               ;   in Loop: Header=BB53_5 Depth=1
	v_add_u32_e32 v4, s13, v4
	v_ashrrev_i32_e32 v5, 31, v4
	v_lshlrev_b64 v[8:9], 2, v[4:5]
	v_mov_b32_e32 v2, s95
	v_add_co_u32_e32 v8, vcc, s94, v8
	v_addc_co_u32_e32 v9, vcc, v2, v9, vcc
	global_load_dword v2, v[8:9], off
	s_mov_b64 vcc, 0
	s_waitcnt vmcnt(0)
	v_cmp_class_f16_e64 s[88:89], v2, s92
	s_mov_b64 s[86:87], exec
                                        ; implicit-def: $vgpr13 : SGPR spill to VGPR lane
	v_writelane_b32 v13, s86, 0
	s_and_b64 s[88:89], s[86:87], s[88:89]
	v_writelane_b32 v13, s87, 1
	s_mov_b64 exec, s[88:89]
	s_cbranch_execz .LBB53_189
; %bb.76:                               ;   in Loop: Header=BB53_5 Depth=1
	v_cmp_class_f16_sdwa s[88:89], v2, s92 src0_sel:WORD_1 src1_sel:DWORD
	s_mov_b64 vcc, 0
	s_mov_b64 s[86:87], exec
	v_writelane_b32 v13, s86, 2
	s_and_b64 s[88:89], s[86:87], s[88:89]
	v_writelane_b32 v13, s87, 3
	s_mov_b64 exec, s[88:89]
	s_cbranch_execz .LBB53_188
; %bb.77:                               ;   in Loop: Header=BB53_5 Depth=1
	v_add_u32_e32 v4, s13, v4
	v_ashrrev_i32_e32 v5, 31, v4
	v_lshlrev_b64 v[8:9], 2, v[4:5]
	v_mov_b32_e32 v2, s95
	v_add_co_u32_e32 v8, vcc, s94, v8
	v_addc_co_u32_e32 v9, vcc, v2, v9, vcc
	global_load_dword v2, v[8:9], off
	s_mov_b64 vcc, 0
	s_waitcnt vmcnt(0)
	v_cmp_class_f16_e64 s[88:89], v2, s92
	s_mov_b64 s[86:87], exec
	v_writelane_b32 v13, s86, 4
	s_and_b64 s[88:89], s[86:87], s[88:89]
	v_writelane_b32 v13, s87, 5
	s_mov_b64 exec, s[88:89]
	s_cbranch_execz .LBB53_187
; %bb.78:                               ;   in Loop: Header=BB53_5 Depth=1
	v_cmp_class_f16_sdwa s[88:89], v2, s92 src0_sel:WORD_1 src1_sel:DWORD
	s_mov_b64 vcc, 0
	s_mov_b64 s[86:87], exec
	v_writelane_b32 v13, s86, 6
	s_and_b64 s[88:89], s[86:87], s[88:89]
	v_writelane_b32 v13, s87, 7
	s_mov_b64 exec, s[88:89]
	s_cbranch_execz .LBB53_186
; %bb.79:                               ;   in Loop: Header=BB53_5 Depth=1
	v_add_u32_e32 v4, s13, v4
	v_ashrrev_i32_e32 v5, 31, v4
	v_lshlrev_b64 v[8:9], 2, v[4:5]
	v_mov_b32_e32 v2, s95
	v_add_co_u32_e32 v8, vcc, s94, v8
	v_addc_co_u32_e32 v9, vcc, v2, v9, vcc
	global_load_dword v2, v[8:9], off
	s_mov_b64 vcc, 0
	s_waitcnt vmcnt(0)
	v_cmp_class_f16_e64 s[88:89], v2, s92
	s_mov_b64 s[86:87], exec
	;; [unrolled: 26-line block ×12, first 2 shown]
	v_writelane_b32 v13, s86, 48
	s_and_b64 s[88:89], s[86:87], s[88:89]
	v_writelane_b32 v13, s87, 49
	s_mov_b64 exec, s[88:89]
	s_cbranch_execz .LBB53_165
; %bb.100:                              ;   in Loop: Header=BB53_5 Depth=1
	v_cmp_class_f16_sdwa s[88:89], v2, s92 src0_sel:WORD_1 src1_sel:DWORD
	s_mov_b64 vcc, 0
	s_mov_b64 s[86:87], exec
	v_writelane_b32 v13, s86, 50
	s_and_b64 s[88:89], s[86:87], s[88:89]
	v_writelane_b32 v13, s87, 51
	s_mov_b64 exec, s[88:89]
	s_cbranch_execz .LBB53_164
; %bb.101:                              ;   in Loop: Header=BB53_5 Depth=1
	v_add_u32_e32 v4, s13, v4
	v_ashrrev_i32_e32 v5, 31, v4
	v_lshlrev_b64 v[8:9], 2, v[4:5]
	v_mov_b32_e32 v2, s95
	v_add_co_u32_e32 v8, vcc, s94, v8
	v_addc_co_u32_e32 v9, vcc, v2, v9, vcc
	global_load_dword v2, v[8:9], off
	s_mov_b64 vcc, 0
	s_waitcnt vmcnt(0)
	v_cmp_class_f16_e64 s[88:89], v2, s92
	s_mov_b64 s[86:87], exec
	v_writelane_b32 v13, s86, 52
	s_and_b64 s[88:89], s[86:87], s[88:89]
	v_writelane_b32 v13, s87, 53
	s_mov_b64 exec, s[88:89]
	s_cbranch_execz .LBB53_163
; %bb.102:                              ;   in Loop: Header=BB53_5 Depth=1
	v_cmp_class_f16_sdwa s[88:89], v2, s92 src0_sel:WORD_1 src1_sel:DWORD
	s_mov_b64 vcc, 0
	s_mov_b64 s[86:87], exec
	v_writelane_b32 v13, s86, 54
	s_and_b64 s[88:89], s[86:87], s[88:89]
	v_writelane_b32 v13, s87, 55
	s_mov_b64 exec, s[88:89]
	s_cbranch_execz .LBB53_162
; %bb.103:                              ;   in Loop: Header=BB53_5 Depth=1
	v_add_u32_e32 v4, s13, v4
	v_ashrrev_i32_e32 v5, 31, v4
	v_lshlrev_b64 v[8:9], 2, v[4:5]
	v_mov_b32_e32 v2, s95
	v_add_co_u32_e32 v8, vcc, s94, v8
	v_addc_co_u32_e32 v9, vcc, v2, v9, vcc
	global_load_dword v2, v[8:9], off
	s_mov_b64 vcc, 0
	s_waitcnt vmcnt(0)
	v_cmp_class_f16_e64 s[88:89], v2, s92
	s_mov_b64 s[86:87], exec
	;; [unrolled: 26-line block ×4, first 2 shown]
                                        ; implicit-def: $vgpr12 : SGPR spill to VGPR lane
	v_writelane_b32 v12, s86, 0
	s_and_b64 s[88:89], s[86:87], s[88:89]
	v_writelane_b32 v12, s87, 1
	s_mov_b64 exec, s[88:89]
	s_cbranch_execz .LBB53_157
; %bb.108:                              ;   in Loop: Header=BB53_5 Depth=1
	v_cmp_class_f16_sdwa s[88:89], v2, s92 src0_sel:WORD_1 src1_sel:DWORD
	s_mov_b64 vcc, 0
	s_mov_b64 s[86:87], exec
	v_writelane_b32 v12, s86, 2
	s_and_b64 s[88:89], s[86:87], s[88:89]
	v_writelane_b32 v12, s87, 3
	s_mov_b64 exec, s[88:89]
	s_cbranch_execz .LBB53_156
; %bb.109:                              ;   in Loop: Header=BB53_5 Depth=1
	v_add_u32_e32 v4, s13, v4
	v_ashrrev_i32_e32 v5, 31, v4
	v_lshlrev_b64 v[8:9], 2, v[4:5]
	v_mov_b32_e32 v2, s95
	v_add_co_u32_e32 v8, vcc, s94, v8
	v_addc_co_u32_e32 v9, vcc, v2, v9, vcc
	global_load_dword v2, v[8:9], off
	s_mov_b64 vcc, 0
	s_waitcnt vmcnt(0)
	v_cmp_class_f16_e64 s[88:89], v2, s92
	s_mov_b64 s[86:87], exec
	v_writelane_b32 v12, s86, 4
	s_and_b64 s[88:89], s[86:87], s[88:89]
	v_writelane_b32 v12, s87, 5
	s_mov_b64 exec, s[88:89]
	s_cbranch_execz .LBB53_155
; %bb.110:                              ;   in Loop: Header=BB53_5 Depth=1
	v_cmp_class_f16_sdwa s[88:89], v2, s92 src0_sel:WORD_1 src1_sel:DWORD
	s_mov_b64 vcc, 0
	s_mov_b64 s[86:87], exec
	v_writelane_b32 v12, s86, 6
	s_and_b64 s[88:89], s[86:87], s[88:89]
	v_writelane_b32 v12, s87, 7
	s_mov_b64 exec, s[88:89]
	s_cbranch_execz .LBB53_154
; %bb.111:                              ;   in Loop: Header=BB53_5 Depth=1
	v_add_u32_e32 v4, s13, v4
	v_ashrrev_i32_e32 v5, 31, v4
	v_lshlrev_b64 v[8:9], 2, v[4:5]
	v_mov_b32_e32 v2, s95
	v_add_co_u32_e32 v8, vcc, s94, v8
	v_addc_co_u32_e32 v9, vcc, v2, v9, vcc
	global_load_dword v2, v[8:9], off
	s_mov_b64 vcc, 0
	s_waitcnt vmcnt(0)
	v_cmp_class_f16_e64 s[88:89], v2, s92
	s_mov_b64 s[86:87], exec
	;; [unrolled: 26-line block ×11, first 2 shown]
	v_writelane_b32 v12, s86, 44
	s_and_b64 s[88:89], s[86:87], s[88:89]
	v_writelane_b32 v12, s87, 45
	s_mov_b64 exec, s[88:89]
	s_cbranch_execz .LBB53_135
; %bb.130:                              ;   in Loop: Header=BB53_5 Depth=1
	v_cmp_class_f16_sdwa s[88:89], v2, s92 src0_sel:WORD_1 src1_sel:DWORD
	s_mov_b64 vcc, 0
	s_mov_b64 s[86:87], exec
	v_writelane_b32 v12, s86, 46
	s_and_b64 s[88:89], s[86:87], s[88:89]
	v_writelane_b32 v12, s87, 47
	s_mov_b64 exec, s[88:89]
	s_cbranch_execz .LBB53_134
; %bb.131:                              ;   in Loop: Header=BB53_5 Depth=1
	v_add_u32_e32 v4, s13, v4
	v_ashrrev_i32_e32 v5, 31, v4
	v_lshlrev_b64 v[4:5], 2, v[4:5]
	v_mov_b32_e32 v2, s95
	v_add_co_u32_e32 v4, vcc, s94, v4
	v_addc_co_u32_e32 v5, vcc, v2, v5, vcc
	global_load_dword v2, v[4:5], off
	s_mov_b64 vcc, 0
	s_waitcnt vmcnt(0)
	v_cmp_class_f16_e64 s[88:89], v2, s92
	s_and_saveexec_b64 s[86:87], s[88:89]
; %bb.132:                              ;   in Loop: Header=BB53_5 Depth=1
	v_cmp_class_f16_sdwa s[88:89], v2, s92 src0_sel:WORD_1 src1_sel:DWORD
	s_and_b64 vcc, s[88:89], exec
; %bb.133:                              ;   in Loop: Header=BB53_5 Depth=1
	s_or_b64 exec, exec, s[86:87]
	s_and_b64 vcc, vcc, exec
.LBB53_134:                             ;   in Loop: Header=BB53_5 Depth=1
	v_readlane_b32 s88, v12, 46
	v_readlane_b32 s89, v12, 47
	s_or_b64 exec, exec, s[88:89]
	s_and_b64 vcc, vcc, exec
.LBB53_135:                             ;   in Loop: Header=BB53_5 Depth=1
	v_readlane_b32 s86, v12, 44
	v_readlane_b32 s87, v12, 45
	s_or_b64 exec, exec, s[86:87]
	s_and_b64 vcc, vcc, exec
.LBB53_136:                             ;   in Loop: Header=BB53_5 Depth=1
	v_readlane_b32 s88, v12, 42
	v_readlane_b32 s89, v12, 43
	s_or_b64 exec, exec, s[88:89]
	s_and_b64 vcc, vcc, exec
.LBB53_137:                             ;   in Loop: Header=BB53_5 Depth=1
	v_readlane_b32 s86, v12, 40
	v_readlane_b32 s87, v12, 41
	s_or_b64 exec, exec, s[86:87]
	s_and_b64 vcc, vcc, exec
.LBB53_138:                             ;   in Loop: Header=BB53_5 Depth=1
	v_readlane_b32 s88, v12, 38
	v_readlane_b32 s89, v12, 39
	s_or_b64 exec, exec, s[88:89]
	s_and_b64 vcc, vcc, exec
.LBB53_139:                             ;   in Loop: Header=BB53_5 Depth=1
	v_readlane_b32 s86, v12, 36
	v_readlane_b32 s87, v12, 37
	s_or_b64 exec, exec, s[86:87]
	s_and_b64 vcc, vcc, exec
.LBB53_140:                             ;   in Loop: Header=BB53_5 Depth=1
	v_readlane_b32 s88, v12, 34
	v_readlane_b32 s89, v12, 35
	s_or_b64 exec, exec, s[88:89]
	s_and_b64 vcc, vcc, exec
.LBB53_141:                             ;   in Loop: Header=BB53_5 Depth=1
	v_readlane_b32 s86, v12, 32
	v_readlane_b32 s87, v12, 33
	s_or_b64 exec, exec, s[86:87]
	s_and_b64 vcc, vcc, exec
.LBB53_142:                             ;   in Loop: Header=BB53_5 Depth=1
	v_readlane_b32 s88, v12, 30
	v_readlane_b32 s89, v12, 31
	s_or_b64 exec, exec, s[88:89]
	s_and_b64 vcc, vcc, exec
.LBB53_143:                             ;   in Loop: Header=BB53_5 Depth=1
	v_readlane_b32 s86, v12, 28
	v_readlane_b32 s87, v12, 29
	s_or_b64 exec, exec, s[86:87]
	s_and_b64 vcc, vcc, exec
.LBB53_144:                             ;   in Loop: Header=BB53_5 Depth=1
	v_readlane_b32 s88, v12, 26
	v_readlane_b32 s89, v12, 27
	s_or_b64 exec, exec, s[88:89]
	s_and_b64 vcc, vcc, exec
.LBB53_145:                             ;   in Loop: Header=BB53_5 Depth=1
	v_readlane_b32 s86, v12, 24
	v_readlane_b32 s87, v12, 25
	s_or_b64 exec, exec, s[86:87]
	s_and_b64 vcc, vcc, exec
.LBB53_146:                             ;   in Loop: Header=BB53_5 Depth=1
	v_readlane_b32 s88, v12, 22
	v_readlane_b32 s89, v12, 23
	s_or_b64 exec, exec, s[88:89]
	s_and_b64 vcc, vcc, exec
.LBB53_147:                             ;   in Loop: Header=BB53_5 Depth=1
	v_readlane_b32 s86, v12, 20
	v_readlane_b32 s87, v12, 21
	s_or_b64 exec, exec, s[86:87]
	s_and_b64 vcc, vcc, exec
.LBB53_148:                             ;   in Loop: Header=BB53_5 Depth=1
	v_readlane_b32 s88, v12, 18
	v_readlane_b32 s89, v12, 19
	s_or_b64 exec, exec, s[88:89]
	s_and_b64 vcc, vcc, exec
.LBB53_149:                             ;   in Loop: Header=BB53_5 Depth=1
	v_readlane_b32 s86, v12, 16
	v_readlane_b32 s87, v12, 17
	s_or_b64 exec, exec, s[86:87]
	s_and_b64 vcc, vcc, exec
.LBB53_150:                             ;   in Loop: Header=BB53_5 Depth=1
	v_readlane_b32 s88, v12, 14
	v_readlane_b32 s89, v12, 15
	s_or_b64 exec, exec, s[88:89]
	s_and_b64 vcc, vcc, exec
.LBB53_151:                             ;   in Loop: Header=BB53_5 Depth=1
	v_readlane_b32 s86, v12, 12
	v_readlane_b32 s87, v12, 13
	s_or_b64 exec, exec, s[86:87]
	s_and_b64 vcc, vcc, exec
.LBB53_152:                             ;   in Loop: Header=BB53_5 Depth=1
	v_readlane_b32 s88, v12, 10
	v_readlane_b32 s89, v12, 11
	s_or_b64 exec, exec, s[88:89]
	s_and_b64 vcc, vcc, exec
.LBB53_153:                             ;   in Loop: Header=BB53_5 Depth=1
	v_readlane_b32 s86, v12, 8
	v_readlane_b32 s87, v12, 9
	s_or_b64 exec, exec, s[86:87]
	s_and_b64 vcc, vcc, exec
.LBB53_154:                             ;   in Loop: Header=BB53_5 Depth=1
	v_readlane_b32 s88, v12, 6
	v_readlane_b32 s89, v12, 7
	s_or_b64 exec, exec, s[88:89]
	s_and_b64 vcc, vcc, exec
.LBB53_155:                             ;   in Loop: Header=BB53_5 Depth=1
	v_readlane_b32 s86, v12, 4
	v_readlane_b32 s87, v12, 5
	s_or_b64 exec, exec, s[86:87]
	s_and_b64 vcc, vcc, exec
.LBB53_156:                             ;   in Loop: Header=BB53_5 Depth=1
	v_readlane_b32 s88, v12, 2
	v_readlane_b32 s89, v12, 3
	s_or_b64 exec, exec, s[88:89]
	s_and_b64 vcc, vcc, exec
.LBB53_157:                             ;   in Loop: Header=BB53_5 Depth=1
	v_readlane_b32 s86, v12, 0
	v_readlane_b32 s87, v12, 1
	s_or_b64 exec, exec, s[86:87]
	s_and_b64 vcc, vcc, exec
.LBB53_158:                             ;   in Loop: Header=BB53_5 Depth=1
	v_readlane_b32 s88, v13, 62
	v_readlane_b32 s89, v13, 63
	s_or_b64 exec, exec, s[88:89]
	s_and_b64 vcc, vcc, exec
.LBB53_159:                             ;   in Loop: Header=BB53_5 Depth=1
	v_readlane_b32 s86, v13, 60
	v_readlane_b32 s87, v13, 61
	s_or_b64 exec, exec, s[86:87]
	s_and_b64 vcc, vcc, exec
.LBB53_160:                             ;   in Loop: Header=BB53_5 Depth=1
	v_readlane_b32 s88, v13, 58
	v_readlane_b32 s89, v13, 59
	s_or_b64 exec, exec, s[88:89]
	s_and_b64 vcc, vcc, exec
.LBB53_161:                             ;   in Loop: Header=BB53_5 Depth=1
	v_readlane_b32 s86, v13, 56
	v_readlane_b32 s87, v13, 57
	s_or_b64 exec, exec, s[86:87]
	s_and_b64 vcc, vcc, exec
.LBB53_162:                             ;   in Loop: Header=BB53_5 Depth=1
	v_readlane_b32 s88, v13, 54
	v_readlane_b32 s89, v13, 55
	s_or_b64 exec, exec, s[88:89]
	s_and_b64 vcc, vcc, exec
.LBB53_163:                             ;   in Loop: Header=BB53_5 Depth=1
	v_readlane_b32 s86, v13, 52
	v_readlane_b32 s87, v13, 53
	s_or_b64 exec, exec, s[86:87]
	s_and_b64 vcc, vcc, exec
.LBB53_164:                             ;   in Loop: Header=BB53_5 Depth=1
	v_readlane_b32 s88, v13, 50
	v_readlane_b32 s89, v13, 51
	s_or_b64 exec, exec, s[88:89]
	s_and_b64 vcc, vcc, exec
.LBB53_165:                             ;   in Loop: Header=BB53_5 Depth=1
	v_readlane_b32 s86, v13, 48
	v_readlane_b32 s87, v13, 49
	s_or_b64 exec, exec, s[86:87]
	s_and_b64 vcc, vcc, exec
.LBB53_166:                             ;   in Loop: Header=BB53_5 Depth=1
	v_readlane_b32 s88, v13, 46
	v_readlane_b32 s89, v13, 47
	s_or_b64 exec, exec, s[88:89]
	s_and_b64 vcc, vcc, exec
.LBB53_167:                             ;   in Loop: Header=BB53_5 Depth=1
	v_readlane_b32 s86, v13, 44
	v_readlane_b32 s87, v13, 45
	s_or_b64 exec, exec, s[86:87]
	s_and_b64 vcc, vcc, exec
.LBB53_168:                             ;   in Loop: Header=BB53_5 Depth=1
	v_readlane_b32 s88, v13, 42
	v_readlane_b32 s89, v13, 43
	s_or_b64 exec, exec, s[88:89]
	s_and_b64 vcc, vcc, exec
.LBB53_169:                             ;   in Loop: Header=BB53_5 Depth=1
	v_readlane_b32 s86, v13, 40
	v_readlane_b32 s87, v13, 41
	s_or_b64 exec, exec, s[86:87]
	s_and_b64 vcc, vcc, exec
.LBB53_170:                             ;   in Loop: Header=BB53_5 Depth=1
	v_readlane_b32 s88, v13, 38
	v_readlane_b32 s89, v13, 39
	s_or_b64 exec, exec, s[88:89]
	s_and_b64 vcc, vcc, exec
.LBB53_171:                             ;   in Loop: Header=BB53_5 Depth=1
	v_readlane_b32 s86, v13, 36
	v_readlane_b32 s87, v13, 37
	s_or_b64 exec, exec, s[86:87]
	s_and_b64 vcc, vcc, exec
.LBB53_172:                             ;   in Loop: Header=BB53_5 Depth=1
	v_readlane_b32 s88, v13, 34
	v_readlane_b32 s89, v13, 35
	s_or_b64 exec, exec, s[88:89]
	s_and_b64 vcc, vcc, exec
.LBB53_173:                             ;   in Loop: Header=BB53_5 Depth=1
	v_readlane_b32 s86, v13, 32
	v_readlane_b32 s87, v13, 33
	s_or_b64 exec, exec, s[86:87]
	s_and_b64 vcc, vcc, exec
.LBB53_174:                             ;   in Loop: Header=BB53_5 Depth=1
	v_readlane_b32 s88, v13, 30
	v_readlane_b32 s89, v13, 31
	s_or_b64 exec, exec, s[88:89]
	s_and_b64 vcc, vcc, exec
.LBB53_175:                             ;   in Loop: Header=BB53_5 Depth=1
	v_readlane_b32 s86, v13, 28
	v_readlane_b32 s87, v13, 29
	s_or_b64 exec, exec, s[86:87]
	s_and_b64 vcc, vcc, exec
.LBB53_176:                             ;   in Loop: Header=BB53_5 Depth=1
	v_readlane_b32 s88, v13, 26
	v_readlane_b32 s89, v13, 27
	s_or_b64 exec, exec, s[88:89]
	s_and_b64 vcc, vcc, exec
.LBB53_177:                             ;   in Loop: Header=BB53_5 Depth=1
	v_readlane_b32 s86, v13, 24
	v_readlane_b32 s87, v13, 25
	s_or_b64 exec, exec, s[86:87]
	s_and_b64 vcc, vcc, exec
.LBB53_178:                             ;   in Loop: Header=BB53_5 Depth=1
	v_readlane_b32 s88, v13, 22
	v_readlane_b32 s89, v13, 23
	s_or_b64 exec, exec, s[88:89]
	s_and_b64 vcc, vcc, exec
.LBB53_179:                             ;   in Loop: Header=BB53_5 Depth=1
	v_readlane_b32 s86, v13, 20
	v_readlane_b32 s87, v13, 21
	s_or_b64 exec, exec, s[86:87]
	s_and_b64 vcc, vcc, exec
.LBB53_180:                             ;   in Loop: Header=BB53_5 Depth=1
	v_readlane_b32 s88, v13, 18
	v_readlane_b32 s89, v13, 19
	s_or_b64 exec, exec, s[88:89]
	s_and_b64 vcc, vcc, exec
.LBB53_181:                             ;   in Loop: Header=BB53_5 Depth=1
	v_readlane_b32 s86, v13, 16
	v_readlane_b32 s87, v13, 17
	s_or_b64 exec, exec, s[86:87]
	s_and_b64 vcc, vcc, exec
.LBB53_182:                             ;   in Loop: Header=BB53_5 Depth=1
	v_readlane_b32 s88, v13, 14
	v_readlane_b32 s89, v13, 15
	s_or_b64 exec, exec, s[88:89]
	s_and_b64 vcc, vcc, exec
.LBB53_183:                             ;   in Loop: Header=BB53_5 Depth=1
	v_readlane_b32 s86, v13, 12
	v_readlane_b32 s87, v13, 13
	s_or_b64 exec, exec, s[86:87]
	s_and_b64 vcc, vcc, exec
.LBB53_184:                             ;   in Loop: Header=BB53_5 Depth=1
	v_readlane_b32 s88, v13, 10
	v_readlane_b32 s89, v13, 11
	s_or_b64 exec, exec, s[88:89]
	s_and_b64 vcc, vcc, exec
.LBB53_185:                             ;   in Loop: Header=BB53_5 Depth=1
	v_readlane_b32 s86, v13, 8
	v_readlane_b32 s87, v13, 9
	s_or_b64 exec, exec, s[86:87]
	s_and_b64 vcc, vcc, exec
.LBB53_186:                             ;   in Loop: Header=BB53_5 Depth=1
	v_readlane_b32 s88, v13, 6
	v_readlane_b32 s89, v13, 7
	s_or_b64 exec, exec, s[88:89]
	s_and_b64 vcc, vcc, exec
.LBB53_187:                             ;   in Loop: Header=BB53_5 Depth=1
	v_readlane_b32 s86, v13, 4
	v_readlane_b32 s87, v13, 5
	s_or_b64 exec, exec, s[86:87]
	s_and_b64 vcc, vcc, exec
.LBB53_188:                             ;   in Loop: Header=BB53_5 Depth=1
	v_readlane_b32 s88, v13, 2
	v_readlane_b32 s89, v13, 3
	s_or_b64 exec, exec, s[88:89]
	s_and_b64 vcc, vcc, exec
.LBB53_189:                             ;   in Loop: Header=BB53_5 Depth=1
	v_readlane_b32 s86, v13, 0
	v_readlane_b32 s87, v13, 1
	s_or_b64 exec, exec, s[86:87]
	s_and_b64 vcc, vcc, exec
.LBB53_190:                             ;   in Loop: Header=BB53_5 Depth=1
	v_readlane_b32 s88, v14, 62
	v_readlane_b32 s89, v14, 63
	s_or_b64 exec, exec, s[88:89]
	s_and_b64 vcc, vcc, exec
.LBB53_191:                             ;   in Loop: Header=BB53_5 Depth=1
	v_readlane_b32 s86, v14, 60
	v_readlane_b32 s87, v14, 61
	s_or_b64 exec, exec, s[86:87]
	s_and_b64 vcc, vcc, exec
.LBB53_192:                             ;   in Loop: Header=BB53_5 Depth=1
	v_readlane_b32 s88, v14, 58
	v_readlane_b32 s89, v14, 59
	s_or_b64 exec, exec, s[88:89]
	s_and_b64 vcc, vcc, exec
.LBB53_193:                             ;   in Loop: Header=BB53_5 Depth=1
	v_readlane_b32 s86, v14, 56
	v_readlane_b32 s87, v14, 57
	s_or_b64 exec, exec, s[86:87]
	s_and_b64 vcc, vcc, exec
.LBB53_194:                             ;   in Loop: Header=BB53_5 Depth=1
	v_readlane_b32 s88, v14, 54
	v_readlane_b32 s89, v14, 55
	s_or_b64 exec, exec, s[88:89]
	s_and_b64 vcc, vcc, exec
.LBB53_195:                             ;   in Loop: Header=BB53_5 Depth=1
	v_readlane_b32 s86, v14, 52
	v_readlane_b32 s87, v14, 53
	s_or_b64 exec, exec, s[86:87]
	s_and_b64 vcc, vcc, exec
.LBB53_196:                             ;   in Loop: Header=BB53_5 Depth=1
	v_readlane_b32 s88, v14, 50
	v_readlane_b32 s89, v14, 51
	s_or_b64 exec, exec, s[88:89]
	s_and_b64 vcc, vcc, exec
.LBB53_197:                             ;   in Loop: Header=BB53_5 Depth=1
	v_readlane_b32 s86, v14, 48
	v_readlane_b32 s87, v14, 49
	s_or_b64 exec, exec, s[86:87]
	s_and_b64 vcc, vcc, exec
.LBB53_198:                             ;   in Loop: Header=BB53_5 Depth=1
	v_readlane_b32 s88, v14, 46
	v_readlane_b32 s89, v14, 47
	s_or_b64 exec, exec, s[88:89]
	s_and_b64 vcc, vcc, exec
.LBB53_199:                             ;   in Loop: Header=BB53_5 Depth=1
	v_readlane_b32 s86, v14, 44
	v_readlane_b32 s87, v14, 45
	s_or_b64 exec, exec, s[86:87]
	s_and_b64 vcc, vcc, exec
.LBB53_200:                             ;   in Loop: Header=BB53_5 Depth=1
	v_readlane_b32 s88, v14, 42
	v_readlane_b32 s89, v14, 43
	s_or_b64 exec, exec, s[88:89]
	s_and_b64 vcc, vcc, exec
.LBB53_201:                             ;   in Loop: Header=BB53_5 Depth=1
	v_readlane_b32 s86, v14, 40
	v_readlane_b32 s87, v14, 41
	s_or_b64 exec, exec, s[86:87]
	s_and_b64 vcc, vcc, exec
.LBB53_202:                             ;   in Loop: Header=BB53_5 Depth=1
	v_readlane_b32 s88, v14, 38
	v_readlane_b32 s89, v14, 39
	s_or_b64 exec, exec, s[88:89]
	s_and_b64 vcc, vcc, exec
.LBB53_203:                             ;   in Loop: Header=BB53_5 Depth=1
	v_readlane_b32 s86, v14, 36
	v_readlane_b32 s87, v14, 37
	s_or_b64 exec, exec, s[86:87]
	s_and_b64 vcc, vcc, exec
.LBB53_204:                             ;   in Loop: Header=BB53_5 Depth=1
	v_readlane_b32 s88, v14, 34
	v_readlane_b32 s89, v14, 35
	s_or_b64 exec, exec, s[88:89]
	s_and_b64 vcc, vcc, exec
.LBB53_205:                             ;   in Loop: Header=BB53_5 Depth=1
	v_readlane_b32 s86, v14, 32
	v_readlane_b32 s87, v14, 33
	s_or_b64 exec, exec, s[86:87]
	s_and_b64 vcc, vcc, exec
.LBB53_206:                             ;   in Loop: Header=BB53_5 Depth=1
	v_readlane_b32 s88, v14, 30
	v_readlane_b32 s89, v14, 31
	s_or_b64 exec, exec, s[88:89]
	s_and_b64 vcc, vcc, exec
.LBB53_207:                             ;   in Loop: Header=BB53_5 Depth=1
	v_readlane_b32 s86, v14, 28
	v_readlane_b32 s87, v14, 29
	s_or_b64 exec, exec, s[86:87]
	s_and_b64 vcc, vcc, exec
.LBB53_208:                             ;   in Loop: Header=BB53_5 Depth=1
	v_readlane_b32 s88, v14, 26
	v_readlane_b32 s89, v14, 27
	s_or_b64 exec, exec, s[88:89]
	s_and_b64 vcc, vcc, exec
.LBB53_209:                             ;   in Loop: Header=BB53_5 Depth=1
	v_readlane_b32 s86, v14, 24
	v_readlane_b32 s87, v14, 25
	s_or_b64 exec, exec, s[86:87]
	s_and_b64 vcc, vcc, exec
.LBB53_210:                             ;   in Loop: Header=BB53_5 Depth=1
	v_readlane_b32 s88, v14, 22
	v_readlane_b32 s89, v14, 23
	s_or_b64 exec, exec, s[88:89]
	s_and_b64 vcc, vcc, exec
.LBB53_211:                             ;   in Loop: Header=BB53_5 Depth=1
	v_readlane_b32 s86, v14, 20
	v_readlane_b32 s87, v14, 21
	s_or_b64 exec, exec, s[86:87]
	s_and_b64 vcc, vcc, exec
.LBB53_212:                             ;   in Loop: Header=BB53_5 Depth=1
	v_readlane_b32 s88, v14, 18
	v_readlane_b32 s89, v14, 19
	s_or_b64 exec, exec, s[88:89]
	s_and_b64 vcc, vcc, exec
.LBB53_213:                             ;   in Loop: Header=BB53_5 Depth=1
	v_readlane_b32 s86, v14, 16
	v_readlane_b32 s87, v14, 17
	s_or_b64 exec, exec, s[86:87]
	s_and_b64 vcc, vcc, exec
.LBB53_214:                             ;   in Loop: Header=BB53_5 Depth=1
	v_readlane_b32 s88, v14, 14
	v_readlane_b32 s89, v14, 15
	s_or_b64 exec, exec, s[88:89]
	s_and_b64 vcc, vcc, exec
.LBB53_215:                             ;   in Loop: Header=BB53_5 Depth=1
	v_readlane_b32 s86, v14, 12
	v_readlane_b32 s87, v14, 13
	s_or_b64 exec, exec, s[86:87]
	s_and_b64 vcc, vcc, exec
.LBB53_216:                             ;   in Loop: Header=BB53_5 Depth=1
	v_readlane_b32 s88, v14, 10
	v_readlane_b32 s89, v14, 11
	s_or_b64 exec, exec, s[88:89]
	s_and_b64 vcc, vcc, exec
.LBB53_217:                             ;   in Loop: Header=BB53_5 Depth=1
	v_readlane_b32 s86, v14, 8
	v_readlane_b32 s87, v14, 9
	s_or_b64 exec, exec, s[86:87]
	s_and_b64 vcc, vcc, exec
.LBB53_218:                             ;   in Loop: Header=BB53_5 Depth=1
	v_readlane_b32 s88, v14, 6
	v_readlane_b32 s89, v14, 7
	s_or_b64 exec, exec, s[88:89]
	s_and_b64 vcc, vcc, exec
.LBB53_219:                             ;   in Loop: Header=BB53_5 Depth=1
	v_readlane_b32 s86, v14, 4
	v_readlane_b32 s87, v14, 5
	s_or_b64 exec, exec, s[86:87]
	s_and_b64 vcc, vcc, exec
.LBB53_220:                             ;   in Loop: Header=BB53_5 Depth=1
	v_readlane_b32 s88, v14, 2
	v_readlane_b32 s89, v14, 3
	s_or_b64 exec, exec, s[88:89]
	s_and_b64 s[88:89], vcc, exec
.LBB53_221:                             ;   in Loop: Header=BB53_5 Depth=1
	v_readlane_b32 s86, v14, 0
	v_readlane_b32 s87, v14, 1
	s_or_b64 exec, exec, s[86:87]
	s_and_b64 s[86:87], s[88:89], exec
.LBB53_222:                             ;   in Loop: Header=BB53_5 Depth=1
	s_or_b64 exec, exec, s[84:85]
	s_and_b64 s[84:85], s[86:87], exec
.LBB53_223:                             ;   in Loop: Header=BB53_5 Depth=1
	s_or_b64 exec, exec, s[82:83]
	s_and_b64 s[82:83], s[84:85], exec
.LBB53_224:                             ;   in Loop: Header=BB53_5 Depth=1
	s_or_b64 exec, exec, s[80:81]
	s_and_b64 s[80:81], s[82:83], exec
.LBB53_225:                             ;   in Loop: Header=BB53_5 Depth=1
	s_or_b64 exec, exec, s[78:79]
	s_and_b64 s[78:79], s[80:81], exec
.LBB53_226:                             ;   in Loop: Header=BB53_5 Depth=1
	s_or_b64 exec, exec, s[76:77]
	s_and_b64 s[76:77], s[78:79], exec
.LBB53_227:                             ;   in Loop: Header=BB53_5 Depth=1
	s_or_b64 exec, exec, s[74:75]
	s_and_b64 s[74:75], s[76:77], exec
.LBB53_228:                             ;   in Loop: Header=BB53_5 Depth=1
	s_or_b64 exec, exec, s[72:73]
	s_and_b64 s[72:73], s[74:75], exec
.LBB53_229:                             ;   in Loop: Header=BB53_5 Depth=1
	s_or_b64 exec, exec, s[70:71]
	s_and_b64 s[70:71], s[72:73], exec
.LBB53_230:                             ;   in Loop: Header=BB53_5 Depth=1
	s_or_b64 exec, exec, s[68:69]
	s_and_b64 s[68:69], s[70:71], exec
.LBB53_231:                             ;   in Loop: Header=BB53_5 Depth=1
	s_or_b64 exec, exec, s[66:67]
	s_and_b64 s[66:67], s[68:69], exec
.LBB53_232:                             ;   in Loop: Header=BB53_5 Depth=1
	s_or_b64 exec, exec, s[64:65]
	s_and_b64 s[64:65], s[66:67], exec
.LBB53_233:                             ;   in Loop: Header=BB53_5 Depth=1
	s_or_b64 exec, exec, s[62:63]
	s_and_b64 s[62:63], s[64:65], exec
.LBB53_234:                             ;   in Loop: Header=BB53_5 Depth=1
	s_or_b64 exec, exec, s[60:61]
	s_and_b64 s[60:61], s[62:63], exec
.LBB53_235:                             ;   in Loop: Header=BB53_5 Depth=1
	s_or_b64 exec, exec, s[58:59]
	s_and_b64 s[58:59], s[60:61], exec
.LBB53_236:                             ;   in Loop: Header=BB53_5 Depth=1
	s_or_b64 exec, exec, s[56:57]
	s_and_b64 s[56:57], s[58:59], exec
.LBB53_237:                             ;   in Loop: Header=BB53_5 Depth=1
	s_or_b64 exec, exec, s[54:55]
	s_and_b64 s[54:55], s[56:57], exec
.LBB53_238:                             ;   in Loop: Header=BB53_5 Depth=1
	s_or_b64 exec, exec, s[52:53]
	s_and_b64 s[52:53], s[54:55], exec
.LBB53_239:                             ;   in Loop: Header=BB53_5 Depth=1
	s_or_b64 exec, exec, s[50:51]
	s_and_b64 s[50:51], s[52:53], exec
.LBB53_240:                             ;   in Loop: Header=BB53_5 Depth=1
	s_or_b64 exec, exec, s[48:49]
	s_and_b64 s[48:49], s[50:51], exec
.LBB53_241:                             ;   in Loop: Header=BB53_5 Depth=1
	s_or_b64 exec, exec, s[46:47]
	s_and_b64 s[46:47], s[48:49], exec
.LBB53_242:                             ;   in Loop: Header=BB53_5 Depth=1
	s_or_b64 exec, exec, s[44:45]
	s_and_b64 s[44:45], s[46:47], exec
.LBB53_243:                             ;   in Loop: Header=BB53_5 Depth=1
	s_or_b64 exec, exec, s[42:43]
	s_and_b64 s[42:43], s[44:45], exec
.LBB53_244:                             ;   in Loop: Header=BB53_5 Depth=1
	s_or_b64 exec, exec, s[40:41]
	s_and_b64 s[40:41], s[42:43], exec
.LBB53_245:                             ;   in Loop: Header=BB53_5 Depth=1
	s_or_b64 exec, exec, s[38:39]
	s_and_b64 s[38:39], s[40:41], exec
.LBB53_246:                             ;   in Loop: Header=BB53_5 Depth=1
	s_or_b64 exec, exec, s[36:37]
	s_and_b64 s[36:37], s[38:39], exec
.LBB53_247:                             ;   in Loop: Header=BB53_5 Depth=1
	s_or_b64 exec, exec, s[34:35]
	s_and_b64 s[34:35], s[36:37], exec
.LBB53_248:                             ;   in Loop: Header=BB53_5 Depth=1
	s_or_b64 exec, exec, s[30:31]
	s_and_b64 s[30:31], s[34:35], exec
.LBB53_249:                             ;   in Loop: Header=BB53_5 Depth=1
	s_or_b64 exec, exec, s[28:29]
	s_and_b64 s[28:29], s[30:31], exec
.LBB53_250:                             ;   in Loop: Header=BB53_5 Depth=1
	s_or_b64 exec, exec, s[26:27]
	s_and_b64 s[26:27], s[28:29], exec
.LBB53_251:                             ;   in Loop: Header=BB53_5 Depth=1
	s_or_b64 exec, exec, s[24:25]
	s_and_b64 s[24:25], s[26:27], exec
.LBB53_252:                             ;   in Loop: Header=BB53_5 Depth=1
	s_or_b64 exec, exec, s[22:23]
	s_and_b64 s[22:23], s[24:25], exec
.LBB53_253:                             ;   in Loop: Header=BB53_5 Depth=1
	s_or_b64 exec, exec, s[20:21]
	s_and_b64 s[20:21], s[22:23], exec
.LBB53_254:                             ;   in Loop: Header=BB53_5 Depth=1
	s_or_b64 exec, exec, s[18:19]
	s_and_b64 s[18:19], s[20:21], exec
.LBB53_255:                             ;   in Loop: Header=BB53_5 Depth=1
	s_or_b64 exec, exec, s[16:17]
	s_and_b64 s[16:17], s[18:19], exec
.LBB53_256:                             ;   in Loop: Header=BB53_5 Depth=1
	s_or_b64 exec, exec, s[14:15]
	s_and_b64 s[14:15], s[16:17], exec
.LBB53_257:                             ;   in Loop: Header=BB53_5 Depth=1
	s_or_b64 exec, exec, s[8:9]
	s_and_b64 s[8:9], s[14:15], exec
.LBB53_258:                             ;   in Loop: Header=BB53_5 Depth=1
	s_or_b64 exec, exec, s[2:3]
	v_and_b32_e32 v2, 0x60, v7
	v_add_u32_e32 v9, 32, v2
	v_xor_b32_e32 v2, 16, v7
	v_cmp_lt_i32_e32 vcc, v2, v9
	v_cndmask_b32_e32 v2, v7, v2, vcc
	v_cndmask_b32_e64 v4, 0, 1, s[8:9]
	v_lshlrev_b32_e32 v2, 2, v2
	ds_bpermute_b32 v4, v2, v4
	v_xor_b32_e32 v11, 1, v7
	s_waitcnt lgkmcnt(0)
	v_cmp_ne_u32_e32 vcc, 0, v4
	v_xor_b32_e32 v4, 8, v7
	s_and_b64 s[2:3], s[8:9], vcc
	v_cmp_lt_i32_e32 vcc, v4, v9
	v_cndmask_b32_e32 v4, v7, v4, vcc
	v_cndmask_b32_e64 v5, 0, 1, s[2:3]
	v_lshlrev_b32_e32 v4, 2, v4
	ds_bpermute_b32 v5, v4, v5
	s_waitcnt lgkmcnt(0)
	v_cmp_ne_u32_e32 vcc, 0, v5
	v_xor_b32_e32 v5, 4, v7
	s_and_b64 s[2:3], vcc, s[2:3]
	v_cmp_lt_i32_e32 vcc, v5, v9
	v_cndmask_b32_e32 v5, v7, v5, vcc
	v_cndmask_b32_e64 v8, 0, 1, s[2:3]
	v_lshlrev_b32_e32 v5, 2, v5
	ds_bpermute_b32 v8, v5, v8
	s_waitcnt lgkmcnt(0)
	v_cmp_ne_u32_e32 vcc, 0, v8
	v_xor_b32_e32 v8, 2, v7
	s_and_b64 s[2:3], vcc, s[2:3]
	v_cmp_lt_i32_e32 vcc, v8, v9
	v_cndmask_b32_e32 v8, v7, v8, vcc
	v_cndmask_b32_e64 v10, 0, 1, s[2:3]
	v_lshlrev_b32_e32 v8, 2, v8
	ds_bpermute_b32 v10, v8, v10
	s_waitcnt lgkmcnt(0)
	v_cmp_ne_u32_e32 vcc, 0, v10
	s_and_b64 s[2:3], vcc, s[2:3]
	v_cmp_lt_i32_e32 vcc, v11, v9
	v_cndmask_b32_e32 v9, v7, v11, vcc
	v_cndmask_b32_e64 v10, 0, 1, s[2:3]
	v_lshlrev_b32_e32 v9, 2, v9
	ds_bpermute_b32 v10, v9, v10
	s_and_saveexec_b64 s[8:9], s[0:1]
	s_cbranch_execz .LBB53_3
; %bb.259:                              ;   in Loop: Header=BB53_5 Depth=1
	s_waitcnt lgkmcnt(0)
	v_cmp_ne_u32_e32 vcc, 0, v10
	s_and_b64 s[2:3], vcc, s[2:3]
	v_cndmask_b32_e64 v10, 0, 1, s[2:3]
	ds_write_b32 v1, v10
	s_branch .LBB53_3
.LBB53_260:
	s_or_b64 exec, exec, s[4:5]
	v_cmp_eq_u32_e32 vcc, 0, v0
	s_and_saveexec_b64 s[0:1], vcc
	s_cbranch_execz .LBB53_262
; %bb.261:
	s_mul_i32 s0, s33, s7
	s_add_i32 s0, s0, s6
	s_ashr_i32 s1, s0, 31
	s_lshl_b64 s[0:1], s[0:1], 2
	s_add_u32 s0, s10, s0
	s_addc_u32 s1, s11, s1
	v_mov_b32_e32 v0, 0
	global_store_dword v0, v2, s[0:1]
.LBB53_262:
	s_endpgm
	.section	.rodata,"a",@progbits
	.p2align	6, 0x0
	.amdhsa_kernel _ZL25flash_attn_mask_to_KV_maxILi64EEvPK7__half2Piiii
		.amdhsa_group_segment_fixed_size 128
		.amdhsa_private_segment_fixed_size 0
		.amdhsa_kernarg_size 288
		.amdhsa_user_sgpr_count 6
		.amdhsa_user_sgpr_private_segment_buffer 1
		.amdhsa_user_sgpr_dispatch_ptr 0
		.amdhsa_user_sgpr_queue_ptr 0
		.amdhsa_user_sgpr_kernarg_segment_ptr 1
		.amdhsa_user_sgpr_dispatch_id 0
		.amdhsa_user_sgpr_flat_scratch_init 0
		.amdhsa_user_sgpr_kernarg_preload_length 0
		.amdhsa_user_sgpr_kernarg_preload_offset 0
		.amdhsa_user_sgpr_private_segment_size 0
		.amdhsa_uses_dynamic_stack 0
		.amdhsa_system_sgpr_private_segment_wavefront_offset 0
		.amdhsa_system_sgpr_workgroup_id_x 1
		.amdhsa_system_sgpr_workgroup_id_y 1
		.amdhsa_system_sgpr_workgroup_id_z 0
		.amdhsa_system_sgpr_workgroup_info 0
		.amdhsa_system_vgpr_workitem_id 0
		.amdhsa_next_free_vgpr 15
		.amdhsa_next_free_sgpr 96
		.amdhsa_accum_offset 16
		.amdhsa_reserve_vcc 1
		.amdhsa_reserve_flat_scratch 0
		.amdhsa_float_round_mode_32 0
		.amdhsa_float_round_mode_16_64 0
		.amdhsa_float_denorm_mode_32 3
		.amdhsa_float_denorm_mode_16_64 3
		.amdhsa_dx10_clamp 1
		.amdhsa_ieee_mode 1
		.amdhsa_fp16_overflow 0
		.amdhsa_tg_split 0
		.amdhsa_exception_fp_ieee_invalid_op 0
		.amdhsa_exception_fp_denorm_src 0
		.amdhsa_exception_fp_ieee_div_zero 0
		.amdhsa_exception_fp_ieee_overflow 0
		.amdhsa_exception_fp_ieee_underflow 0
		.amdhsa_exception_fp_ieee_inexact 0
		.amdhsa_exception_int_div_zero 0
	.end_amdhsa_kernel
	.section	.text._ZL25flash_attn_mask_to_KV_maxILi64EEvPK7__half2Piiii,"axG",@progbits,_ZL25flash_attn_mask_to_KV_maxILi64EEvPK7__half2Piiii,comdat
.Lfunc_end53:
	.size	_ZL25flash_attn_mask_to_KV_maxILi64EEvPK7__half2Piiii, .Lfunc_end53-_ZL25flash_attn_mask_to_KV_maxILi64EEvPK7__half2Piiii
                                        ; -- End function
	.section	.AMDGPU.csdata,"",@progbits
; Kernel info:
; codeLenInByte = 10324
; NumSgprs: 100
; NumVgprs: 15
; NumAgprs: 0
; TotalNumVgprs: 15
; ScratchSize: 0
; MemoryBound: 0
; FloatMode: 240
; IeeeMode: 1
; LDSByteSize: 128 bytes/workgroup (compile time only)
; SGPRBlocks: 12
; VGPRBlocks: 1
; NumSGPRsForWavesPerEU: 100
; NumVGPRsForWavesPerEU: 15
; AccumOffset: 16
; Occupancy: 8
; WaveLimiterHint : 0
; COMPUTE_PGM_RSRC2:SCRATCH_EN: 0
; COMPUTE_PGM_RSRC2:USER_SGPR: 6
; COMPUTE_PGM_RSRC2:TRAP_HANDLER: 0
; COMPUTE_PGM_RSRC2:TGID_X_EN: 1
; COMPUTE_PGM_RSRC2:TGID_Y_EN: 1
; COMPUTE_PGM_RSRC2:TGID_Z_EN: 0
; COMPUTE_PGM_RSRC2:TIDIG_COMP_CNT: 0
; COMPUTE_PGM_RSRC3_GFX90A:ACCUM_OFFSET: 3
; COMPUTE_PGM_RSRC3_GFX90A:TG_SPLIT: 0
	.section	.text._ZL33flash_attn_stream_k_fixup_uniformILi64ELi64ELi1EEvPfPK15HIP_vector_typeIfLj2EEiiiiiiS1_IjLj3EES5_S5_,"axG",@progbits,_ZL33flash_attn_stream_k_fixup_uniformILi64ELi64ELi1EEvPfPK15HIP_vector_typeIfLj2EEiiiiiiS1_IjLj3EES5_S5_,comdat
	.globl	_ZL33flash_attn_stream_k_fixup_uniformILi64ELi64ELi1EEvPfPK15HIP_vector_typeIfLj2EEiiiiiiS1_IjLj3EES5_S5_ ; -- Begin function _ZL33flash_attn_stream_k_fixup_uniformILi64ELi64ELi1EEvPfPK15HIP_vector_typeIfLj2EEiiiiiiS1_IjLj3EES5_S5_
	.p2align	8
	.type	_ZL33flash_attn_stream_k_fixup_uniformILi64ELi64ELi1EEvPfPK15HIP_vector_typeIfLj2EEiiiiiiS1_IjLj3EES5_S5_,@function
_ZL33flash_attn_stream_k_fixup_uniformILi64ELi64ELi1EEvPfPK15HIP_vector_typeIfLj2EEiiiiiiS1_IjLj3EES5_S5_: ; @_ZL33flash_attn_stream_k_fixup_uniformILi64ELi64ELi1EEvPfPK15HIP_vector_typeIfLj2EEiiiiiiS1_IjLj3EES5_S5_
; %bb.0:
	s_load_dwordx8 s[12:19], s[4:5], 0x1c
	s_load_dwordx2 s[10:11], s[4:5], 0x10
	s_load_dwordx4 s[0:3], s[4:5], 0x3c
	s_waitcnt lgkmcnt(0)
	s_mul_hi_u32 s9, s15, s6
	s_add_i32 s9, s6, s9
	s_lshr_b32 s9, s9, s16
	s_mul_i32 s15, s9, s17
	s_sub_i32 s15, s6, s15
	s_mul_hi_u32 s16, s15, s18
	s_add_i32 s16, s15, s16
	s_lshr_b32 s16, s16, s19
	s_mul_i32 s0, s16, s0
	s_sub_i32 s0, s15, s0
	;; [unrolled: 5-line block ×3, first 2 shown]
	s_lshl_b32 s0, s17, 6
	s_add_i32 s0, s0, s7
	s_cmp_lt_i32 s0, s10
	s_cselect_b64 s[0:1], -1, 0
	s_add_i32 s2, s15, s8
	s_cmp_lt_i32 s2, s13
	s_cselect_b64 s[2:3], -1, 0
	s_and_b64 s[0:1], s[0:1], s[2:3]
	s_andn2_b64 vcc, exec, s[0:1]
	s_cbranch_vccnz .LBB54_6
; %bb.1:
	s_load_dwordx4 s[0:3], s[4:5], 0x0
	s_mul_i32 s4, s9, s10
	s_add_i32 s4, s4, s7
	s_mul_i32 s4, s4, s11
	s_mul_i32 s16, s16, s13
	s_add_i32 s4, s4, s8
	s_add_i32 s4, s4, s16
	s_mul_i32 s5, s11, s17
	s_add_i32 s4, s4, s15
	s_lshl_b32 s5, s5, 12
	s_lshl_b32 s4, s4, 6
	s_add_i32 s5, s5, s4
	v_or_b32_e32 v2, s5, v0
	v_ashrrev_i32_e32 v3, 31, v2
	v_lshlrev_b64 v[2:3], 2, v[2:3]
	s_waitcnt lgkmcnt(0)
	v_mov_b32_e32 v1, s1
	v_add_co_u32_e32 v2, vcc, s0, v2
	v_addc_co_u32_e32 v3, vcc, v1, v3, vcc
	global_load_dword v8, v[2:3], off
	s_add_i32 s4, s7, s8
	s_mul_i32 s7, s6, s14
	s_add_i32 s5, s7, s14
	s_lshl_b32 s0, s5, 6
	s_add_i32 s0, s4, s0
	s_sub_i32 s0, s0, 64
	s_ashr_i32 s1, s0, 31
	s_lshl_b64 s[0:1], s[0:1], 3
	s_add_u32 s0, s2, s0
	s_addc_u32 s1, s3, s1
	s_load_dword s10, s[0:1], 0x4
	s_add_i32 s8, s5, -2
	s_cmp_lt_i32 s8, s7
	s_cbranch_scc1 .LBB54_4
; %bb.2:
	s_lshl_b32 s8, s12, 8
	s_ashr_i32 s9, s8, 31
	s_lshl_b64 s[8:9], s[8:9], 2
	s_add_u32 s8, s2, s8
	s_addc_u32 s11, s3, s9
	s_add_i32 s6, s6, 1
	s_add_i32 s9, s5, -1
	s_mul_i32 s5, s14, s6
	s_load_dword s0, s[0:1], 0x0
	s_lshl_b32 s1, s4, 6
	s_lshl_b32 s6, s5, 12
	s_add_i32 s1, s1, s6
	v_or_b32_e32 v0, s1, v0
	s_lshl_b32 s1, s5, 6
	s_add_i32 s1, s4, s1
	s_lshl_b32 s4, s12, 6
	s_add_i32 s1, s1, s4
	v_add_u32_e32 v0, 0xffffe000, v0
	s_add_i32 s4, s1, 0xffffff80
	s_waitcnt lgkmcnt(0)
	v_mov_b32_e32 v7, s10
	v_mov_b32_e32 v6, s0
	;; [unrolled: 1-line block ×3, first 2 shown]
	s_mov_b32 s6, 0x3fb8aa3b
	s_mov_b32 s10, 0xc2ce8ed0
	;; [unrolled: 1-line block ×3, first 2 shown]
	v_mov_b32_e32 v5, 0x7f800000
	s_mov_b32 s12, 0xc1a00000
.LBB54_3:                               ; =>This Inner Loop Header: Depth=1
	v_ashrrev_i32_e32 v1, 31, v0
	v_lshlrev_b64 v[10:11], 2, v[0:1]
	v_add_co_u32_e32 v10, vcc, s8, v10
	v_addc_co_u32_e32 v11, vcc, v4, v11, vcc
	global_load_dword v1, v[10:11], off
	s_ashr_i32 s5, s4, 31
	s_lshl_b64 s[0:1], s[4:5], 3
	s_add_u32 s0, s2, s0
	s_addc_u32 s1, s3, s1
	s_load_dwordx2 s[14:15], s[0:1], 0x0
	s_waitcnt vmcnt(1)
	v_mov_b32_e32 v9, v8
	v_max_f32_e32 v8, v6, v6
	v_mov_b32_e32 v10, v7
	s_add_i32 s9, s9, -1
	s_waitcnt lgkmcnt(0)
	v_max_f32_e64 v7, s14, s14
	v_max_f32_e32 v7, v8, v7
	v_sub_f32_e32 v11, s14, v7
	v_sub_f32_e32 v8, v6, v7
	v_mul_f32_e32 v12, 0x3fb8aa3b, v11
	v_mov_b32_e32 v6, v7
	v_mul_f32_e32 v7, 0x3fb8aa3b, v8
	v_fma_f32 v15, v11, s6, -v12
	v_rndne_f32_e32 v16, v12
	v_fma_f32 v13, v8, s6, -v7
	v_rndne_f32_e32 v14, v7
	v_fmac_f32_e32 v15, 0x32a5705f, v11
	v_sub_f32_e32 v12, v12, v16
	v_fmac_f32_e32 v13, 0x32a5705f, v8
	v_sub_f32_e32 v7, v7, v14
	v_add_f32_e32 v12, v12, v15
	v_cvt_i32_f32_e32 v16, v16
	v_add_f32_e32 v7, v7, v13
	v_exp_f32_e32 v12, v12
	v_cvt_i32_f32_e32 v14, v14
	v_exp_f32_e32 v7, v7
	v_cmp_ngt_f32_e32 vcc, s10, v11
	v_ldexp_f32 v12, v12, v16
	v_cmp_ngt_f32_e64 s[0:1], s10, v8
	v_ldexp_f32 v7, v7, v14
	v_cndmask_b32_e32 v12, 0, v12, vcc
	v_cmp_nlt_f32_e32 vcc, s11, v11
	v_cndmask_b32_e64 v7, 0, v7, s[0:1]
	v_cmp_nlt_f32_e64 s[0:1], s11, v8
	v_cndmask_b32_e32 v12, v5, v12, vcc
	v_cmp_le_f32_e32 vcc, s12, v11
	v_cndmask_b32_e64 v7, v5, v7, s[0:1]
	v_cmp_le_f32_e64 s[0:1], s12, v8
	v_cndmask_b32_e32 v8, 0, v12, vcc
	s_sub_i32 s4, s4, 64
	v_cndmask_b32_e64 v11, 0, v7, s[0:1]
	v_mul_f32_e32 v7, s15, v8
	v_add_u32_e32 v0, 0xfffff000, v0
	s_cmp_le_i32 s9, s7
	v_fmac_f32_e32 v7, v10, v11
	s_waitcnt vmcnt(0)
	v_mul_f32_e32 v8, v1, v8
	v_fmac_f32_e32 v8, v9, v11
	s_cbranch_scc0 .LBB54_3
	s_branch .LBB54_5
.LBB54_4:
	s_waitcnt lgkmcnt(0)
	v_mov_b32_e32 v7, s10
.LBB54_5:
	s_waitcnt vmcnt(0)
	v_div_scale_f32 v0, s[0:1], v7, v7, v8
	v_rcp_f32_e32 v1, v0
	v_div_scale_f32 v4, vcc, v8, v7, v8
	v_fma_f32 v5, -v0, v1, 1.0
	v_fmac_f32_e32 v1, v5, v1
	v_mul_f32_e32 v5, v4, v1
	v_fma_f32 v6, -v0, v5, v4
	v_fmac_f32_e32 v5, v6, v1
	v_fma_f32 v0, -v0, v5, v4
	v_div_fmas_f32 v0, v0, v1, v5
	v_div_fixup_f32 v0, v0, v7, v8
	global_store_dword v[2:3], v0, off
.LBB54_6:
	s_endpgm
	.section	.rodata,"a",@progbits
	.p2align	6, 0x0
	.amdhsa_kernel _ZL33flash_attn_stream_k_fixup_uniformILi64ELi64ELi1EEvPfPK15HIP_vector_typeIfLj2EEiiiiiiS1_IjLj3EES5_S5_
		.amdhsa_group_segment_fixed_size 0
		.amdhsa_private_segment_fixed_size 0
		.amdhsa_kernarg_size 76
		.amdhsa_user_sgpr_count 6
		.amdhsa_user_sgpr_private_segment_buffer 1
		.amdhsa_user_sgpr_dispatch_ptr 0
		.amdhsa_user_sgpr_queue_ptr 0
		.amdhsa_user_sgpr_kernarg_segment_ptr 1
		.amdhsa_user_sgpr_dispatch_id 0
		.amdhsa_user_sgpr_flat_scratch_init 0
		.amdhsa_user_sgpr_kernarg_preload_length 0
		.amdhsa_user_sgpr_kernarg_preload_offset 0
		.amdhsa_user_sgpr_private_segment_size 0
		.amdhsa_uses_dynamic_stack 0
		.amdhsa_system_sgpr_private_segment_wavefront_offset 0
		.amdhsa_system_sgpr_workgroup_id_x 1
		.amdhsa_system_sgpr_workgroup_id_y 1
		.amdhsa_system_sgpr_workgroup_id_z 1
		.amdhsa_system_sgpr_workgroup_info 0
		.amdhsa_system_vgpr_workitem_id 0
		.amdhsa_next_free_vgpr 17
		.amdhsa_next_free_sgpr 20
		.amdhsa_accum_offset 20
		.amdhsa_reserve_vcc 1
		.amdhsa_reserve_flat_scratch 0
		.amdhsa_float_round_mode_32 0
		.amdhsa_float_round_mode_16_64 0
		.amdhsa_float_denorm_mode_32 3
		.amdhsa_float_denorm_mode_16_64 3
		.amdhsa_dx10_clamp 1
		.amdhsa_ieee_mode 1
		.amdhsa_fp16_overflow 0
		.amdhsa_tg_split 0
		.amdhsa_exception_fp_ieee_invalid_op 0
		.amdhsa_exception_fp_denorm_src 0
		.amdhsa_exception_fp_ieee_div_zero 0
		.amdhsa_exception_fp_ieee_overflow 0
		.amdhsa_exception_fp_ieee_underflow 0
		.amdhsa_exception_fp_ieee_inexact 0
		.amdhsa_exception_int_div_zero 0
	.end_amdhsa_kernel
	.section	.text._ZL33flash_attn_stream_k_fixup_uniformILi64ELi64ELi1EEvPfPK15HIP_vector_typeIfLj2EEiiiiiiS1_IjLj3EES5_S5_,"axG",@progbits,_ZL33flash_attn_stream_k_fixup_uniformILi64ELi64ELi1EEvPfPK15HIP_vector_typeIfLj2EEiiiiiiS1_IjLj3EES5_S5_,comdat
.Lfunc_end54:
	.size	_ZL33flash_attn_stream_k_fixup_uniformILi64ELi64ELi1EEvPfPK15HIP_vector_typeIfLj2EEiiiiiiS1_IjLj3EES5_S5_, .Lfunc_end54-_ZL33flash_attn_stream_k_fixup_uniformILi64ELi64ELi1EEvPfPK15HIP_vector_typeIfLj2EEiiiiiiS1_IjLj3EES5_S5_
                                        ; -- End function
	.section	.AMDGPU.csdata,"",@progbits
; Kernel info:
; codeLenInByte = 840
; NumSgprs: 24
; NumVgprs: 17
; NumAgprs: 0
; TotalNumVgprs: 17
; ScratchSize: 0
; MemoryBound: 0
; FloatMode: 240
; IeeeMode: 1
; LDSByteSize: 0 bytes/workgroup (compile time only)
; SGPRBlocks: 2
; VGPRBlocks: 2
; NumSGPRsForWavesPerEU: 24
; NumVGPRsForWavesPerEU: 17
; AccumOffset: 20
; Occupancy: 8
; WaveLimiterHint : 0
; COMPUTE_PGM_RSRC2:SCRATCH_EN: 0
; COMPUTE_PGM_RSRC2:USER_SGPR: 6
; COMPUTE_PGM_RSRC2:TRAP_HANDLER: 0
; COMPUTE_PGM_RSRC2:TGID_X_EN: 1
; COMPUTE_PGM_RSRC2:TGID_Y_EN: 1
; COMPUTE_PGM_RSRC2:TGID_Z_EN: 1
; COMPUTE_PGM_RSRC2:TIDIG_COMP_CNT: 0
; COMPUTE_PGM_RSRC3_GFX90A:ACCUM_OFFSET: 4
; COMPUTE_PGM_RSRC3_GFX90A:TG_SPLIT: 0
	.section	.text._ZL33flash_attn_stream_k_fixup_generalILi64ELi64ELi1EEvPfPK15HIP_vector_typeIfLj2EEiiiiS1_IjLj3EES5_S5_S5_,"axG",@progbits,_ZL33flash_attn_stream_k_fixup_generalILi64ELi64ELi1EEvPfPK15HIP_vector_typeIfLj2EEiiiiS1_IjLj3EES5_S5_S5_,comdat
	.globl	_ZL33flash_attn_stream_k_fixup_generalILi64ELi64ELi1EEvPfPK15HIP_vector_typeIfLj2EEiiiiS1_IjLj3EES5_S5_S5_ ; -- Begin function _ZL33flash_attn_stream_k_fixup_generalILi64ELi64ELi1EEvPfPK15HIP_vector_typeIfLj2EEiiiiS1_IjLj3EES5_S5_S5_
	.p2align	8
	.type	_ZL33flash_attn_stream_k_fixup_generalILi64ELi64ELi1EEvPfPK15HIP_vector_typeIfLj2EEiiiiS1_IjLj3EES5_S5_S5_,@function
_ZL33flash_attn_stream_k_fixup_generalILi64ELi64ELi1EEvPfPK15HIP_vector_typeIfLj2EEiiiiS1_IjLj3EES5_S5_S5_: ; @_ZL33flash_attn_stream_k_fixup_generalILi64ELi64ELi1EEvPfPK15HIP_vector_typeIfLj2EEiiiiS1_IjLj3EES5_S5_S5_
; %bb.0:
	s_load_dwordx4 s[12:15], s[4:5], 0x10
	s_load_dword s9, s[4:5], 0x50
	s_mov_b32 s2, 0
	s_waitcnt lgkmcnt(0)
	s_mul_hi_i32 s3, s15, s6
	s_cmp_lg_u64 s[2:3], 0
	s_mul_i32 s2, s15, s6
	s_cbranch_scc0 .LBB55_21
; %bb.1:
	v_cvt_f32_u32_e32 v1, s9
	v_cvt_f32_ubyte0_e32 v2, 0
	s_sub_u32 s10, 0, s9
	s_subb_u32 s11, 0, 0
	v_madmk_f32 v1, v2, 0x4f800000, v1
	v_rcp_f32_e32 v1, v1
	v_mul_f32_e32 v1, 0x5f7ffffc, v1
	v_mul_f32_e32 v2, 0x2f800000, v1
	v_trunc_f32_e32 v2, v2
	v_madmk_f32 v1, v2, 0xcf800000, v1
	v_cvt_u32_f32_e32 v2, v2
	v_cvt_u32_f32_e32 v1, v1
	v_readfirstlane_b32 s16, v2
	v_readfirstlane_b32 s17, v1
	s_mul_i32 s18, s10, s16
	s_mul_hi_u32 s20, s10, s17
	s_mul_i32 s19, s11, s17
	s_add_i32 s18, s20, s18
	s_add_i32 s18, s18, s19
	s_mul_i32 s21, s10, s17
	s_mul_hi_u32 s19, s17, s18
	s_mul_i32 s20, s17, s18
	s_mul_hi_u32 s17, s17, s21
	s_add_u32 s17, s17, s20
	s_addc_u32 s19, 0, s19
	s_mul_hi_u32 s22, s16, s21
	s_mul_i32 s21, s16, s21
	s_add_u32 s17, s17, s21
	s_mul_hi_u32 s20, s16, s18
	s_addc_u32 s17, s19, s22
	s_addc_u32 s19, s20, 0
	s_mul_i32 s18, s16, s18
	s_add_u32 s17, s17, s18
	s_addc_u32 s18, 0, s19
	v_add_co_u32_e32 v1, vcc, s17, v1
	s_cmp_lg_u64 vcc, 0
	s_addc_u32 s16, s16, s18
	v_readfirstlane_b32 s18, v1
	s_mul_i32 s17, s10, s16
	s_mul_hi_u32 s19, s10, s18
	s_add_i32 s17, s19, s17
	s_mul_i32 s11, s11, s18
	s_add_i32 s17, s17, s11
	s_mul_i32 s10, s10, s18
	s_mul_hi_u32 s19, s16, s10
	s_mul_i32 s20, s16, s10
	s_mul_i32 s22, s18, s17
	s_mul_hi_u32 s10, s18, s10
	s_mul_hi_u32 s21, s18, s17
	s_add_u32 s10, s10, s22
	s_addc_u32 s18, 0, s21
	s_add_u32 s10, s10, s20
	s_mul_hi_u32 s11, s16, s17
	s_addc_u32 s10, s18, s19
	s_addc_u32 s11, s11, 0
	s_mul_i32 s17, s16, s17
	s_add_u32 s10, s10, s17
	s_addc_u32 s11, 0, s11
	v_add_co_u32_e32 v1, vcc, s10, v1
	s_cmp_lg_u64 vcc, 0
	s_addc_u32 s18, s16, s11
	s_ashr_i32 s10, s3, 31
	s_add_u32 s16, s2, s10
	s_mov_b32 s11, s10
	s_addc_u32 s17, s3, s10
	s_xor_b64 s[16:17], s[16:17], s[10:11]
	v_readfirstlane_b32 s20, v1
	s_mul_i32 s19, s16, s18
	s_mul_hi_u32 s21, s16, s20
	s_mul_hi_u32 s3, s16, s18
	s_add_u32 s19, s21, s19
	s_addc_u32 s3, 0, s3
	s_mul_hi_u32 s22, s17, s20
	s_mul_i32 s20, s17, s20
	s_add_u32 s19, s19, s20
	s_mul_hi_u32 s21, s17, s18
	s_addc_u32 s3, s3, s22
	s_addc_u32 s19, s21, 0
	s_mul_i32 s18, s17, s18
	s_add_u32 s3, s3, s18
	s_addc_u32 s18, 0, s19
	s_add_u32 s19, s3, 1
	s_addc_u32 s20, s18, 0
	s_add_u32 s21, s3, 2
	s_mul_i32 s23, s9, s18
	s_mul_hi_u32 s24, s9, s3
	s_addc_u32 s22, s18, 0
	s_add_i32 s24, s24, s23
	s_mul_i32 s23, s9, s3
	v_mov_b32_e32 v1, s23
	v_sub_co_u32_e32 v1, vcc, s16, v1
	s_cmp_lg_u64 vcc, 0
	s_subb_u32 s16, s17, s24
	v_subrev_co_u32_e32 v2, vcc, s9, v1
	s_cmp_lg_u64 vcc, 0
	s_subb_u32 s17, s16, 0
	v_readfirstlane_b32 s23, v2
	s_cmp_ge_u32 s23, s9
	s_cselect_b32 s23, -1, 0
	s_cmp_eq_u32 s17, 0
	s_cselect_b32 s17, s23, -1
	s_cmp_lg_u32 s17, 0
	s_cselect_b32 s17, s22, s20
	v_readfirstlane_b32 s20, v1
	s_cselect_b32 s19, s21, s19
	s_cmp_ge_u32 s20, s9
	s_cselect_b32 s20, -1, 0
	s_cmp_eq_u32 s16, 0
	s_cselect_b32 s16, s20, -1
	s_cmp_lg_u32 s16, 0
	s_cselect_b32 s17, s17, s18
	s_cselect_b32 s16, s19, s3
	s_xor_b64 s[16:17], s[16:17], s[10:11]
	s_sub_u32 s20, s16, s10
	s_load_dwordx4 s[16:19], s[4:5], 0x44
	s_cbranch_execnz .LBB55_3
.LBB55_2:
	v_cvt_f32_u32_e32 v1, s9
	s_sub_i32 s0, 0, s9
	v_rcp_iflag_f32_e32 v1, v1
	v_mul_f32_e32 v1, 0x4f7ffffe, v1
	v_cvt_u32_f32_e32 v1, v1
	v_readfirstlane_b32 s1, v1
	s_mul_i32 s0, s0, s1
	s_mul_hi_u32 s0, s1, s0
	s_add_i32 s1, s1, s0
	s_mul_hi_u32 s0, s2, s1
	s_mul_i32 s3, s0, s9
	s_sub_i32 s2, s2, s3
	s_add_i32 s1, s0, 1
	s_sub_i32 s3, s2, s9
	s_cmp_ge_u32 s2, s9
	s_cselect_b32 s0, s1, s0
	s_cselect_b32 s2, s3, s2
	s_add_i32 s1, s0, 1
	s_cmp_ge_u32 s2, s9
	s_cselect_b32 s20, s1, s0
.LBB55_3:
	s_add_i32 s0, s6, 1
	s_mul_hi_i32 s3, s15, s0
	s_mov_b32 s2, 0
	s_cmp_lg_u64 s[2:3], 0
	s_mul_i32 s2, s15, s0
	s_cbranch_scc0 .LBB55_22
; %bb.4:
	v_cvt_f32_u32_e32 v1, s9
	v_cvt_f32_ubyte0_e32 v2, 0
	s_sub_u32 s10, 0, s9
	s_subb_u32 s11, 0, 0
	v_madmk_f32 v1, v2, 0x4f800000, v1
	v_rcp_f32_e32 v1, v1
	v_mul_f32_e32 v1, 0x5f7ffffc, v1
	v_mul_f32_e32 v2, 0x2f800000, v1
	v_trunc_f32_e32 v2, v2
	v_madmk_f32 v1, v2, 0xcf800000, v1
	v_cvt_u32_f32_e32 v2, v2
	v_cvt_u32_f32_e32 v1, v1
	s_waitcnt lgkmcnt(0)
	v_readfirstlane_b32 s19, v2
	v_readfirstlane_b32 s21, v1
	s_mul_i32 s22, s10, s19
	s_mul_hi_u32 s24, s10, s21
	s_mul_i32 s23, s11, s21
	s_add_i32 s22, s24, s22
	s_add_i32 s22, s22, s23
	s_mul_i32 s25, s10, s21
	s_mul_hi_u32 s23, s21, s22
	s_mul_i32 s24, s21, s22
	s_mul_hi_u32 s21, s21, s25
	s_add_u32 s21, s21, s24
	s_addc_u32 s23, 0, s23
	s_mul_hi_u32 s26, s19, s25
	s_mul_i32 s25, s19, s25
	s_add_u32 s21, s21, s25
	s_mul_hi_u32 s24, s19, s22
	s_addc_u32 s21, s23, s26
	s_addc_u32 s23, s24, 0
	s_mul_i32 s22, s19, s22
	s_add_u32 s21, s21, s22
	s_addc_u32 s22, 0, s23
	v_add_co_u32_e32 v1, vcc, s21, v1
	s_cmp_lg_u64 vcc, 0
	s_addc_u32 s19, s19, s22
	v_readfirstlane_b32 s22, v1
	s_mul_i32 s21, s10, s19
	s_mul_hi_u32 s23, s10, s22
	s_add_i32 s21, s23, s21
	s_mul_i32 s11, s11, s22
	s_add_i32 s21, s21, s11
	s_mul_i32 s10, s10, s22
	s_mul_hi_u32 s23, s19, s10
	s_mul_i32 s24, s19, s10
	s_mul_i32 s26, s22, s21
	s_mul_hi_u32 s10, s22, s10
	s_mul_hi_u32 s25, s22, s21
	s_add_u32 s10, s10, s26
	s_addc_u32 s22, 0, s25
	s_add_u32 s10, s10, s24
	s_mul_hi_u32 s11, s19, s21
	s_addc_u32 s10, s22, s23
	s_addc_u32 s11, s11, 0
	s_mul_i32 s21, s19, s21
	s_add_u32 s10, s10, s21
	s_addc_u32 s11, 0, s11
	v_add_co_u32_e32 v1, vcc, s10, v1
	s_cmp_lg_u64 vcc, 0
	s_addc_u32 s19, s19, s11
	s_ashr_i32 s10, s3, 31
	s_add_u32 s22, s2, s10
	s_mov_b32 s11, s10
	s_addc_u32 s23, s3, s10
	s_xor_b64 s[22:23], s[22:23], s[10:11]
	v_readfirstlane_b32 s21, v1
	s_mul_i32 s11, s22, s19
	s_mul_hi_u32 s24, s22, s21
	s_mul_hi_u32 s3, s22, s19
	s_add_u32 s11, s24, s11
	s_addc_u32 s3, 0, s3
	s_mul_hi_u32 s25, s23, s21
	s_mul_i32 s21, s23, s21
	s_add_u32 s11, s11, s21
	s_mul_hi_u32 s24, s23, s19
	s_addc_u32 s3, s3, s25
	s_addc_u32 s11, s24, 0
	s_mul_i32 s19, s23, s19
	s_add_u32 s3, s3, s19
	s_addc_u32 s11, 0, s11
	s_mul_i32 s11, s9, s11
	s_mul_hi_u32 s24, s9, s3
	s_add_i32 s24, s24, s11
	s_mul_i32 s11, s9, s3
	v_mov_b32_e32 v1, s11
	s_add_u32 s19, s3, 1
	s_add_u32 s21, s3, 2
	v_sub_co_u32_e32 v1, vcc, s22, v1
	s_cmp_lg_u64 vcc, 0
	s_subb_u32 s11, s23, s24
	v_subrev_co_u32_e32 v2, vcc, s9, v1
	s_cmp_lg_u64 vcc, 0
	s_subb_u32 s22, s11, 0
	v_cmp_le_u32_e32 vcc, s9, v2
	s_cmp_eq_u32 s22, 0
	v_cndmask_b32_e64 v2, 0, -1, vcc
	s_cselect_b64 vcc, -1, 0
	v_cndmask_b32_e32 v2, -1, v2, vcc
	v_mov_b32_e32 v3, s19
	v_mov_b32_e32 v4, s21
	v_cmp_ne_u32_e32 vcc, 0, v2
	v_cndmask_b32_e32 v2, v3, v4, vcc
	v_cmp_le_u32_e32 vcc, s9, v1
	s_cmp_eq_u32 s11, 0
	v_cndmask_b32_e64 v1, 0, -1, vcc
	s_cselect_b64 vcc, -1, 0
	v_cndmask_b32_e32 v1, -1, v1, vcc
	v_mov_b32_e32 v3, s3
	v_cmp_ne_u32_e32 vcc, 0, v1
	v_cndmask_b32_e32 v1, v3, v2, vcc
	v_xor_b32_e32 v1, s10, v1
	v_subrev_co_u32_e32 v2, vcc, s10, v1
	s_cbranch_execnz .LBB55_6
.LBB55_5:
	v_cvt_f32_u32_e32 v1, s9
	s_sub_i32 s0, 0, s9
	s_mov_b32 s1, 0
	v_rcp_iflag_f32_e32 v1, v1
	v_mul_f32_e32 v1, 0x4f7ffffe, v1
	v_cvt_u32_f32_e32 v1, v1
	v_readfirstlane_b32 s3, v1
	s_mul_i32 s0, s0, s3
	s_mul_hi_u32 s0, s3, s0
	s_add_i32 s3, s3, s0
	s_mul_hi_u32 s0, s2, s3
	s_mul_i32 s10, s0, s9
	s_sub_i32 s2, s2, s10
	s_add_i32 s3, s0, 1
	s_sub_i32 s10, s2, s9
	s_cmp_ge_u32 s2, s9
	s_cselect_b32 s0, s3, s0
	s_cselect_b32 s2, s10, s2
	s_add_i32 s3, s0, 1
	s_cmp_ge_u32 s2, s9
	s_cselect_b32 s0, s3, s0
	v_pk_mov_b32 v[2:3], s[0:1], s[0:1] op_sel:[0,1]
.LBB55_6:
	s_waitcnt lgkmcnt(0)
	s_mul_hi_u32 s0, s20, s16
	s_add_i32 s0, s0, s20
	v_mul_hi_u32 v1, v2, s16
	s_lshr_b32 s19, s0, s17
	v_add_u32_e32 v1, v1, v2
	s_mul_i32 s0, s19, s18
	v_lshrrev_b32_e32 v1, s17, v1
	s_cmp_eq_u32 s0, s20
	v_cmp_eq_u32_e64 s[0:1], s19, v1
	v_mul_lo_u32 v1, v1, s18
	v_cmp_eq_u32_e32 vcc, s20, v2
	s_cselect_b64 s[10:11], -1, 0
	v_cmp_ne_u32_e64 s[2:3], v1, v2
	s_and_b64 s[0:1], s[0:1], s[2:3]
	s_or_b64 s[2:3], vcc, s[10:11]
	s_or_b64 s[0:1], s[2:3], s[0:1]
	s_and_b64 vcc, exec, s[0:1]
	s_cbranch_vccnz .LBB55_24
; %bb.7:
	s_load_dwordx8 s[24:31], s[4:5], 0x20
	s_load_dword s0, s[4:5], 0x40
	s_mov_b32 s10, 0
	s_waitcnt lgkmcnt(0)
	s_mul_hi_u32 s1, s20, s24
	s_add_i32 s1, s1, s20
	s_lshr_b32 s11, s1, s25
	s_mul_i32 s1, s11, s26
	s_sub_i32 s1, s20, s1
	s_mul_hi_u32 s2, s1, s27
	s_add_i32 s2, s1, s2
	s_lshr_b32 s25, s2, s28
	s_mul_i32 s2, s25, s29
	s_sub_i32 s1, s1, s2
	;; [unrolled: 5-line block ×3, first 2 shown]
	s_mul_hi_u32 s1, s0, s16
	s_add_i32 s0, s0, s1
	s_lshr_b32 s26, s0, s17
	s_lshl_b32 s0, s26, 6
	s_add_i32 s0, s0, s7
	s_cmp_lt_i32 s0, s12
	s_cselect_b64 s[0:1], -1, 0
	s_add_i32 s2, s24, s8
	s_cmp_lt_i32 s2, s14
	s_cselect_b64 s[2:3], -1, 0
	s_and_b64 s[0:1], s[0:1], s[2:3]
	s_andn2_b64 vcc, exec, s[0:1]
	s_cbranch_vccnz .LBB55_24
; %bb.8:
	s_load_dwordx4 s[0:3], s[4:5], 0x0
	s_lshl_b32 s4, s9, 8
	s_mov_b32 s5, s10
	s_add_i32 s21, s7, s8
	s_lshl_b64 s[4:5], s[4:5], 2
	s_waitcnt lgkmcnt(0)
	s_add_u32 s22, s2, s4
	s_mul_i32 s4, s11, s12
	s_addc_u32 s23, s3, s5
	s_add_i32 s4, s4, s7
	s_mul_i32 s4, s4, s13
	s_mul_i32 s25, s25, s14
	s_add_i32 s4, s4, s8
	s_add_i32 s4, s4, s25
	s_mul_i32 s5, s13, s26
	s_add_i32 s4, s4, s24
	s_lshl_b32 s5, s5, 12
	s_lshl_b32 s4, s4, 6
	s_add_i32 s5, s5, s4
	v_or_b32_e32 v2, s5, v0
	v_ashrrev_i32_e32 v3, 31, v2
	v_lshlrev_b64 v[2:3], 2, v[2:3]
	v_mov_b32_e32 v1, s1
	v_add_co_u32_e32 v2, vcc, s0, v2
	v_addc_co_u32_e32 v3, vcc, v1, v3, vcc
	global_load_dword v5, v[2:3], off
	v_lshl_or_b32 v4, s21, 6, v0
	v_cvt_f32_u32_e32 v0, s9
	v_cvt_f32_ubyte0_e32 v1, 0
	s_lshl_b32 s0, s6, 6
	s_add_i32 s0, s0, s21
	v_mac_f32_e32 v0, 0x4f800000, v1
	v_rcp_f32_e32 v0, v0
	v_cvt_f32_u32_e32 v1, s9
	s_ashr_i32 s1, s0, 31
	s_lshl_b64 s[0:1], s[0:1], 3
	v_mul_f32_e32 v0, 0x5f7ffffc, v0
	v_rcp_iflag_f32_e32 v1, v1
	s_add_u32 s0, s2, s0
	v_mul_f32_e32 v9, 0x2f800000, v0
	s_addc_u32 s1, s3, s1
	v_trunc_f32_e32 v10, v9
	s_load_dwordx2 s[0:1], s[0:1], 0x0
	v_mac_f32_e32 v0, 0xcf800000, v10
	v_cvt_u32_f32_e32 v9, v0
	v_mul_f32_e32 v0, 0x4f7ffffe, v1
	v_cvt_u32_f32_e32 v10, v10
	v_cvt_u32_f32_e32 v11, v0
	s_add_i32 s8, s6, -1
	s_waitcnt lgkmcnt(0)
	v_mov_b32_e32 v6, s1
	v_mov_b32_e32 v7, s0
	v_mov_b32_e32 v8, s20
	s_mov_b32 s6, 0x3fb8aa3b
	s_mov_b32 s7, 0xc2ce8ed0
	;; [unrolled: 1-line block ×4, first 2 shown]
	v_mov_b32_e32 v12, 0x7f800000
	s_mul_hi_i32 s11, s8, s15
	s_cmp_lg_u64 s[10:11], 0
	s_mul_i32 s4, s8, s15
	s_cbranch_scc0 .LBB55_15
.LBB55_9:
	s_sub_u32 s0, 0, s9
	v_readfirstlane_b32 s5, v9
	v_readfirstlane_b32 s24, v10
	s_subb_u32 s1, 0, 0
	s_mul_hi_u32 s20, s0, s5
	s_mul_i32 s25, s0, s24
	s_mul_i32 s14, s1, s5
	s_add_i32 s20, s20, s25
	s_add_i32 s20, s20, s14
	s_mul_i32 s26, s0, s5
	s_mul_hi_u32 s14, s5, s20
	s_mul_i32 s25, s5, s20
	s_mul_hi_u32 s5, s5, s26
	s_add_u32 s5, s5, s25
	s_addc_u32 s14, 0, s14
	s_mul_hi_u32 s27, s24, s26
	s_mul_i32 s26, s24, s26
	s_add_u32 s5, s5, s26
	s_mul_hi_u32 s25, s24, s20
	s_addc_u32 s5, s14, s27
	s_addc_u32 s14, s25, 0
	s_mul_i32 s20, s24, s20
	s_add_u32 s5, s5, s20
	s_addc_u32 s14, 0, s14
	v_add_co_u32_e32 v0, vcc, s5, v9
	s_cmp_lg_u64 vcc, 0
	s_addc_u32 s5, s24, s14
	v_readfirstlane_b32 s20, v0
	s_mul_i32 s14, s0, s5
	s_mul_hi_u32 s24, s0, s20
	s_add_i32 s14, s24, s14
	s_mul_i32 s1, s1, s20
	s_add_i32 s14, s14, s1
	s_mul_i32 s0, s0, s20
	s_mul_hi_u32 s24, s5, s0
	s_mul_i32 s25, s5, s0
	s_mul_i32 s27, s20, s14
	s_mul_hi_u32 s0, s20, s0
	s_mul_hi_u32 s26, s20, s14
	s_add_u32 s0, s0, s27
	s_addc_u32 s20, 0, s26
	s_add_u32 s0, s0, s25
	s_mul_hi_u32 s1, s5, s14
	s_addc_u32 s0, s20, s24
	s_addc_u32 s1, s1, 0
	s_mul_i32 s14, s5, s14
	s_add_u32 s0, s0, s14
	s_addc_u32 s1, 0, s1
	v_add_co_u32_e32 v0, vcc, s0, v0
	s_cmp_lg_u64 vcc, 0
	s_addc_u32 s5, s5, s1
	s_ashr_i32 s0, s11, 31
	s_add_u32 s24, s4, s0
	s_mov_b32 s1, s0
	s_addc_u32 s25, s11, s0
	s_xor_b64 s[24:25], s[24:25], s[0:1]
	v_readfirstlane_b32 s14, v0
	s_mul_i32 s11, s24, s5
	s_mul_hi_u32 s20, s24, s14
	s_mul_hi_u32 s1, s24, s5
	s_add_u32 s11, s20, s11
	s_addc_u32 s1, 0, s1
	s_mul_hi_u32 s26, s25, s14
	s_mul_i32 s14, s25, s14
	s_add_u32 s11, s11, s14
	s_mul_hi_u32 s20, s25, s5
	s_addc_u32 s1, s1, s26
	s_addc_u32 s11, s20, 0
	s_mul_i32 s5, s25, s5
	s_add_u32 s1, s1, s5
	s_addc_u32 s5, 0, s11
	s_mul_i32 s5, s9, s5
	s_mul_hi_u32 s20, s9, s1
	s_add_i32 s20, s20, s5
	s_mul_i32 s5, s9, s1
	v_mov_b32_e32 v0, s5
	s_add_u32 s11, s1, 1
	s_add_u32 s14, s1, 2
	v_sub_co_u32_e32 v0, vcc, s24, v0
	s_cmp_lg_u64 vcc, 0
	s_subb_u32 s5, s25, s20
	v_subrev_co_u32_e32 v1, vcc, s9, v0
	s_cmp_lg_u64 vcc, 0
	s_subb_u32 s20, s5, 0
	v_cmp_le_u32_e32 vcc, s9, v1
	s_cmp_eq_u32 s20, 0
	v_cndmask_b32_e64 v1, 0, -1, vcc
	s_cselect_b64 vcc, -1, 0
	v_cndmask_b32_e32 v1, -1, v1, vcc
	v_mov_b32_e32 v13, s11
	v_mov_b32_e32 v14, s14
	v_cmp_ne_u32_e32 vcc, 0, v1
	v_cndmask_b32_e32 v1, v13, v14, vcc
	v_cmp_le_u32_e32 vcc, s9, v0
	s_cmp_eq_u32 s5, 0
	v_cndmask_b32_e64 v0, 0, -1, vcc
	s_cselect_b64 vcc, -1, 0
	v_cndmask_b32_e32 v0, -1, v0, vcc
	v_mov_b32_e32 v13, s1
	v_cmp_ne_u32_e32 vcc, 0, v0
	v_cndmask_b32_e32 v0, v13, v1, vcc
	v_xor_b32_e32 v0, s0, v0
	v_subrev_co_u32_e32 v0, vcc, s0, v0
	s_cbranch_execnz .LBB55_11
.LBB55_10:
	s_sub_i32 s0, 0, s9
	v_mul_lo_u32 v0, s0, v11
	v_mul_hi_u32 v0, v11, v0
	v_add_u32_e32 v0, v11, v0
	v_mul_hi_u32 v0, s4, v0
	v_mul_lo_u32 v13, v0, s9
	v_sub_u32_e32 v13, s4, v13
	v_add_u32_e32 v1, 1, v0
	v_subrev_u32_e32 v14, s9, v13
	v_cmp_le_u32_e32 vcc, s9, v13
	v_cndmask_b32_e32 v13, v13, v14, vcc
	v_cndmask_b32_e32 v0, v0, v1, vcc
	v_add_u32_e32 v1, 1, v0
	v_cmp_le_u32_e32 vcc, s9, v13
	v_cndmask_b32_e32 v0, v0, v1, vcc
.LBB55_11:
	v_cmp_ne_u32_e32 vcc, v8, v0
	s_cbranch_vccz .LBB55_14
; %bb.12:
	s_add_i32 s0, s8, s9
	s_lshl_b32 s0, s0, 6
	v_mul_hi_u32 v1, v0, s16
	s_add_i32 s0, s0, s21
	s_mov_b32 s1, s10
	v_add_u32_e32 v1, v1, v0
	s_lshl_b64 s[0:1], s[0:1], 3
	v_lshrrev_b32_e32 v1, s17, v1
	s_add_u32 s4, s2, s0
	v_mul_lo_u32 v13, v1, s18
	s_addc_u32 s5, s3, s1
	v_cmp_eq_u32_e32 vcc, v13, v0
	v_cmp_gt_u32_e64 s[0:1], s19, v1
	s_or_b64 s[0:1], s[0:1], vcc
	s_and_b64 vcc, exec, s[0:1]
	s_cbranch_vccnz .LBB55_16
; %bb.13:
	s_add_i32 s11, s8, -1
	s_mov_b64 s[0:1], 0
	s_branch .LBB55_17
.LBB55_14:
                                        ; implicit-def: $sgpr0_sgpr1
                                        ; implicit-def: $vgpr14
                                        ; implicit-def: $vgpr1
                                        ; implicit-def: $vgpr13
                                        ; implicit-def: $sgpr11
                                        ; implicit-def: $vgpr0
	s_branch .LBB55_18
.LBB55_15:
                                        ; implicit-def: $vgpr0_vgpr1
	s_branch .LBB55_10
.LBB55_16:
	s_mov_b64 s[0:1], -1
	s_mov_b32 s11, s8
	v_mov_b32_e32 v0, v8
.LBB55_17:
	v_lshl_add_u32 v14, s8, 12, v4
	v_ashrrev_i32_e32 v15, 31, v14
	v_lshlrev_b64 v[14:15], 2, v[14:15]
	v_mov_b32_e32 v1, s23
	v_add_co_u32_e32 v14, vcc, s22, v14
	v_addc_co_u32_e32 v15, vcc, v1, v15, vcc
	global_load_dword v14, v[14:15], off
	s_load_dwordx2 s[4:5], s[4:5], 0x0
	v_max_f32_e32 v1, v7, v7
	s_waitcnt lgkmcnt(0)
	v_max_f32_e64 v13, s4, s4
	v_max_f32_e32 v1, v1, v13
	v_sub_f32_e32 v13, v7, v1
	v_sub_f32_e32 v15, s4, v1
	v_mul_f32_e32 v16, 0x3fb8aa3b, v13
	v_mul_f32_e32 v17, 0x3fb8aa3b, v15
	v_fma_f32 v18, v13, s6, -v16
	v_rndne_f32_e32 v19, v16
	v_fma_f32 v20, v15, s6, -v17
	v_rndne_f32_e32 v21, v17
	v_fmac_f32_e32 v18, 0x32a5705f, v13
	v_sub_f32_e32 v16, v16, v19
	v_fmac_f32_e32 v20, 0x32a5705f, v15
	v_sub_f32_e32 v17, v17, v21
	v_add_f32_e32 v16, v16, v18
	v_cvt_i32_f32_e32 v19, v19
	v_add_f32_e32 v17, v17, v20
	v_exp_f32_e32 v16, v16
	v_cvt_i32_f32_e32 v21, v21
	v_exp_f32_e32 v17, v17
	v_cmp_ngt_f32_e32 vcc, s7, v13
	v_ldexp_f32 v16, v16, v19
	v_cndmask_b32_e32 v16, 0, v16, vcc
	v_ldexp_f32 v17, v17, v21
	v_cmp_ngt_f32_e32 vcc, s7, v15
	v_cndmask_b32_e32 v17, 0, v17, vcc
	v_cmp_nlt_f32_e32 vcc, s12, v13
	v_cndmask_b32_e32 v16, v12, v16, vcc
	v_cmp_nlt_f32_e32 vcc, s12, v15
	v_cndmask_b32_e32 v17, v12, v17, vcc
	v_cmp_le_f32_e32 vcc, s13, v13
	v_cndmask_b32_e32 v16, 0, v16, vcc
	v_cmp_le_f32_e32 vcc, s13, v15
	v_cndmask_b32_e32 v15, 0, v17, vcc
	v_mul_f32_e32 v13, s5, v15
	v_fmac_f32_e32 v13, v6, v16
	s_waitcnt vmcnt(0)
	v_mul_f32_e32 v14, v14, v15
	v_fmac_f32_e32 v14, v5, v16
	s_cbranch_execnz .LBB55_19
.LBB55_18:
	s_add_i32 s11, s8, -1
	s_mov_b64 s[0:1], 0
	v_mov_b32_e32 v0, v8
	v_mov_b32_e32 v13, v6
	;; [unrolled: 1-line block ×3, first 2 shown]
	s_waitcnt vmcnt(0)
	v_mov_b32_e32 v14, v5
.LBB55_19:
	s_andn2_b64 vcc, exec, s[0:1]
	s_cbranch_vccz .LBB55_23
; %bb.20:
	v_mov_b32_e32 v8, v0
	s_mov_b32 s8, s11
	v_mov_b32_e32 v6, v13
	v_mov_b32_e32 v7, v1
	s_waitcnt vmcnt(0)
	v_mov_b32_e32 v5, v14
	s_mul_hi_i32 s11, s8, s15
	s_cmp_lg_u64 s[10:11], 0
	s_mul_i32 s4, s8, s15
	s_cbranch_scc1 .LBB55_9
	s_branch .LBB55_15
.LBB55_21:
                                        ; implicit-def: $sgpr20_sgpr21
	s_load_dwordx4 s[16:19], s[4:5], 0x44
	s_branch .LBB55_2
.LBB55_22:
                                        ; implicit-def: $vgpr2_vgpr3
	s_branch .LBB55_5
.LBB55_23:
	v_div_scale_f32 v0, s[0:1], v13, v13, v14
	v_rcp_f32_e32 v1, v0
	v_div_scale_f32 v4, vcc, v14, v13, v14
	s_waitcnt vmcnt(0)
	v_fma_f32 v5, -v0, v1, 1.0
	v_fmac_f32_e32 v1, v5, v1
	v_mul_f32_e32 v5, v4, v1
	v_fma_f32 v6, -v0, v5, v4
	v_fmac_f32_e32 v5, v6, v1
	v_fma_f32 v0, -v0, v5, v4
	v_div_fmas_f32 v0, v0, v1, v5
	v_div_fixup_f32 v0, v0, v13, v14
	global_store_dword v[2:3], v0, off
.LBB55_24:
	s_endpgm
	.section	.rodata,"a",@progbits
	.p2align	6, 0x0
	.amdhsa_kernel _ZL33flash_attn_stream_k_fixup_generalILi64ELi64ELi1EEvPfPK15HIP_vector_typeIfLj2EEiiiiS1_IjLj3EES5_S5_S5_
		.amdhsa_group_segment_fixed_size 0
		.amdhsa_private_segment_fixed_size 0
		.amdhsa_kernarg_size 336
		.amdhsa_user_sgpr_count 6
		.amdhsa_user_sgpr_private_segment_buffer 1
		.amdhsa_user_sgpr_dispatch_ptr 0
		.amdhsa_user_sgpr_queue_ptr 0
		.amdhsa_user_sgpr_kernarg_segment_ptr 1
		.amdhsa_user_sgpr_dispatch_id 0
		.amdhsa_user_sgpr_flat_scratch_init 0
		.amdhsa_user_sgpr_kernarg_preload_length 0
		.amdhsa_user_sgpr_kernarg_preload_offset 0
		.amdhsa_user_sgpr_private_segment_size 0
		.amdhsa_uses_dynamic_stack 0
		.amdhsa_system_sgpr_private_segment_wavefront_offset 0
		.amdhsa_system_sgpr_workgroup_id_x 1
		.amdhsa_system_sgpr_workgroup_id_y 1
		.amdhsa_system_sgpr_workgroup_id_z 1
		.amdhsa_system_sgpr_workgroup_info 0
		.amdhsa_system_vgpr_workitem_id 0
		.amdhsa_next_free_vgpr 22
		.amdhsa_next_free_sgpr 32
		.amdhsa_accum_offset 24
		.amdhsa_reserve_vcc 1
		.amdhsa_reserve_flat_scratch 0
		.amdhsa_float_round_mode_32 0
		.amdhsa_float_round_mode_16_64 0
		.amdhsa_float_denorm_mode_32 3
		.amdhsa_float_denorm_mode_16_64 3
		.amdhsa_dx10_clamp 1
		.amdhsa_ieee_mode 1
		.amdhsa_fp16_overflow 0
		.amdhsa_tg_split 0
		.amdhsa_exception_fp_ieee_invalid_op 0
		.amdhsa_exception_fp_denorm_src 0
		.amdhsa_exception_fp_ieee_div_zero 0
		.amdhsa_exception_fp_ieee_overflow 0
		.amdhsa_exception_fp_ieee_underflow 0
		.amdhsa_exception_fp_ieee_inexact 0
		.amdhsa_exception_int_div_zero 0
	.end_amdhsa_kernel
	.section	.text._ZL33flash_attn_stream_k_fixup_generalILi64ELi64ELi1EEvPfPK15HIP_vector_typeIfLj2EEiiiiS1_IjLj3EES5_S5_S5_,"axG",@progbits,_ZL33flash_attn_stream_k_fixup_generalILi64ELi64ELi1EEvPfPK15HIP_vector_typeIfLj2EEiiiiS1_IjLj3EES5_S5_S5_,comdat
.Lfunc_end55:
	.size	_ZL33flash_attn_stream_k_fixup_generalILi64ELi64ELi1EEvPfPK15HIP_vector_typeIfLj2EEiiiiS1_IjLj3EES5_S5_S5_, .Lfunc_end55-_ZL33flash_attn_stream_k_fixup_generalILi64ELi64ELi1EEvPfPK15HIP_vector_typeIfLj2EEiiiiS1_IjLj3EES5_S5_S5_
                                        ; -- End function
	.section	.AMDGPU.csdata,"",@progbits
; Kernel info:
; codeLenInByte = 2816
; NumSgprs: 36
; NumVgprs: 22
; NumAgprs: 0
; TotalNumVgprs: 22
; ScratchSize: 0
; MemoryBound: 0
; FloatMode: 240
; IeeeMode: 1
; LDSByteSize: 0 bytes/workgroup (compile time only)
; SGPRBlocks: 4
; VGPRBlocks: 2
; NumSGPRsForWavesPerEU: 36
; NumVGPRsForWavesPerEU: 22
; AccumOffset: 24
; Occupancy: 8
; WaveLimiterHint : 0
; COMPUTE_PGM_RSRC2:SCRATCH_EN: 0
; COMPUTE_PGM_RSRC2:USER_SGPR: 6
; COMPUTE_PGM_RSRC2:TRAP_HANDLER: 0
; COMPUTE_PGM_RSRC2:TGID_X_EN: 1
; COMPUTE_PGM_RSRC2:TGID_Y_EN: 1
; COMPUTE_PGM_RSRC2:TGID_Z_EN: 1
; COMPUTE_PGM_RSRC2:TIDIG_COMP_CNT: 0
; COMPUTE_PGM_RSRC3_GFX90A:ACCUM_OFFSET: 5
; COMPUTE_PGM_RSRC3_GFX90A:TG_SPLIT: 0
	.section	.text._ZL15flash_attn_tileILi64ELi64ELi32ELi1ELb0EEvPKcS1_S1_S1_S1_PKiPfP15HIP_vector_typeIfLj2EEffffjfiS5_IjLj3EEiiiiiiiiiiiliiliiiiil,"axG",@progbits,_ZL15flash_attn_tileILi64ELi64ELi32ELi1ELb0EEvPKcS1_S1_S1_S1_PKiPfP15HIP_vector_typeIfLj2EEffffjfiS5_IjLj3EEiiiiiiiiiiiliiliiiiil,comdat
	.globl	_ZL15flash_attn_tileILi64ELi64ELi32ELi1ELb0EEvPKcS1_S1_S1_S1_PKiPfP15HIP_vector_typeIfLj2EEffffjfiS5_IjLj3EEiiiiiiiiiiiliiliiiiil ; -- Begin function _ZL15flash_attn_tileILi64ELi64ELi32ELi1ELb0EEvPKcS1_S1_S1_S1_PKiPfP15HIP_vector_typeIfLj2EEffffjfiS5_IjLj3EEiiiiiiiiiiiliiliiiiil
	.p2align	8
	.type	_ZL15flash_attn_tileILi64ELi64ELi32ELi1ELb0EEvPKcS1_S1_S1_S1_PKiPfP15HIP_vector_typeIfLj2EEffffjfiS5_IjLj3EEiiiiiiiiiiiliiliiiiil,@function
_ZL15flash_attn_tileILi64ELi64ELi32ELi1ELb0EEvPKcS1_S1_S1_S1_PKiPfP15HIP_vector_typeIfLj2EEffffjfiS5_IjLj3EEiiiiiiiiiiiliiliiiiil: ; @_ZL15flash_attn_tileILi64ELi64ELi32ELi1ELb0EEvPKcS1_S1_S1_S1_PKiPfP15HIP_vector_typeIfLj2EEffffjfiS5_IjLj3EEiiiiiiiiiiiliiliiiiil
; %bb.0:
	s_load_dwordx4 s[36:39], s[6:7], 0x5c
	s_load_dwordx2 s[46:47], s[6:7], 0x80
	s_add_u32 flat_scratch_lo, s8, s13
	s_addc_u32 flat_scratch_hi, s9, 0
	s_add_u32 s0, s0, s13
	s_waitcnt lgkmcnt(0)
	v_cvt_f32_u32_e32 v1, s39
	s_addc_u32 s1, s1, 0
	s_sub_i32 s8, 0, s39
	s_load_dwordx16 s[16:31], s[6:7], 0x0
	v_rcp_iflag_f32_e32 v1, v1
	s_load_dwordx2 s[48:49], s[6:7], 0xb8
	s_mov_b64 s[44:45], 0
	v_mul_f32_e32 v1, 0x4f7ffffe, v1
	v_cvt_u32_f32_e32 v1, v1
	v_readfirstlane_b32 s9, v1
	s_mul_i32 s8, s8, s9
	s_mul_hi_u32 s8, s9, s8
	s_add_i32 s9, s9, s8
	s_mul_hi_u32 s8, s12, s9
	s_mul_i32 s9, s8, s39
	s_sub_i32 s9, s12, s9
	s_add_i32 s13, s8, 1
	s_sub_i32 s14, s9, s39
	s_cmp_ge_u32 s9, s39
	s_cselect_b32 s8, s13, s8
	s_cselect_b32 s9, s14, s9
	s_add_i32 s13, s8, 1
	s_cmp_ge_u32 s9, s39
	s_cselect_b32 s33, s13, s8
	s_abs_i32 s8, s47
	v_cvt_f32_u32_e32 v1, s8
	s_mul_i32 s14, s33, s39
	s_sub_i32 s15, 0, s8
	s_sub_i32 s34, s12, s14
	v_rcp_iflag_f32_e32 v1, v1
	s_abs_i32 s13, s39
	s_xor_b32 s9, s39, s47
	s_ashr_i32 s9, s9, 31
	v_mul_f32_e32 v1, 0x4f7ffffe, v1
	v_cvt_u32_f32_e32 v1, v1
	v_readfirstlane_b32 s12, v1
	s_mul_i32 s15, s15, s12
	s_mul_hi_u32 s14, s12, s15
	s_add_i32 s12, s12, s14
	s_mul_hi_u32 s12, s13, s12
	s_mul_i32 s14, s12, s8
	s_sub_i32 s13, s13, s14
	s_add_i32 s15, s12, 1
	s_sub_i32 s14, s13, s8
	s_cmp_ge_u32 s13, s8
	s_cselect_b32 s12, s15, s12
	s_cselect_b32 s13, s14, s13
	s_add_i32 s14, s12, 1
	s_cmp_ge_u32 s13, s8
	s_cselect_b32 s8, s14, s12
	s_xor_b32 s8, s8, s9
	s_sub_i32 s51, s8, s9
	s_abs_i32 s47, s51
	v_cvt_f32_u32_e32 v1, s47
	s_sub_i32 s8, 0, s47
	s_abs_i32 s50, s34
	v_rcp_iflag_f32_e32 v1, v1
	v_mul_f32_e32 v1, 0x4f7ffffe, v1
	v_cvt_u32_f32_e32 v1, v1
	v_readfirstlane_b32 s9, v1
	s_mul_i32 s8, s8, s9
	s_mul_hi_u32 s8, s9, s8
	s_add_i32 s8, s9, s8
	s_waitcnt lgkmcnt(0)
	s_cmp_eq_u64 s[22:23], 0
	s_cbranch_scc1 .LBB56_2
; %bb.1:
	s_abs_i32 s9, s48
	v_cvt_f32_u32_e32 v1, s9
	s_sub_i32 s35, 0, s9
	s_abs_i32 s15, s33
	s_ashr_i32 s14, s33, 31
	v_rcp_iflag_f32_e32 v1, v1
	s_load_dwordx2 s[12:13], s[6:7], 0xc8
	v_mul_f32_e32 v1, 0x4f7ffffe, v1
	v_cvt_u32_f32_e32 v1, v1
	v_readfirstlane_b32 s40, v1
	s_mul_i32 s35, s35, s40
	s_mul_hi_u32 s35, s40, s35
	s_add_i32 s40, s40, s35
	s_mul_hi_u32 s35, s15, s40
	s_mul_i32 s35, s35, s9
	s_sub_i32 s15, s15, s35
	s_sub_i32 s35, s15, s9
	s_cmp_ge_u32 s15, s9
	s_cselect_b32 s15, s35, s15
	s_sub_i32 s35, s15, s9
	s_cmp_ge_u32 s15, s9
	s_cselect_b32 s9, s35, s15
	s_xor_b32 s9, s9, s14
	s_sub_i32 s9, s9, s14
	s_ashr_i32 s14, s9, 31
	s_waitcnt lgkmcnt(0)
	s_mul_i32 s13, s9, s13
	s_mul_hi_u32 s15, s9, s12
	s_add_i32 s13, s15, s13
	s_mul_i32 s14, s14, s12
	s_add_i32 s13, s13, s14
	s_mul_i32 s9, s9, s12
	s_add_u32 s44, s22, s9
	s_addc_u32 s45, s23, s13
.LBB56_2:
	s_load_dwordx4 s[40:43], s[6:7], 0x40
	s_mul_hi_u32 s23, s50, s8
	s_load_dword s8, s[6:7], 0x50
	v_mov_b32_e32 v46, 1.0
	s_waitcnt lgkmcnt(0)
	v_cmp_le_f32_e64 s[12:13], s41, 0
	s_and_b64 vcc, exec, s[12:13]
	s_cbranch_vccnz .LBB56_4
; %bb.3:
	s_sub_i32 s9, s34, s8
	s_lshl_b32 s9, s9, 1
	s_add_i32 s12, s34, 1
	s_or_b32 s13, s9, 1
	s_cmp_lt_u32 s34, s8
	s_cselect_b64 vcc, -1, 0
	s_and_b64 s[8:9], vcc, exec
	v_mov_b32_e32 v1, s43
	v_mov_b32_e32 v2, s42
	s_cselect_b32 s8, s12, s13
	v_cndmask_b32_e32 v18, v1, v2, vcc
	v_cvt_f32_i32_e32 v1, s8
	v_cmp_neq_f32_e32 vcc, 1.0, v18
	s_mov_b32 s8, 0x3f2aaaab
	s_movk_i32 s12, 0x204
	v_cndmask_b32_e32 v19, 1.0, v1, vcc
	v_cmp_eq_f32_e32 vcc, 0, v19
	v_cndmask_b32_e64 v20, |v18|, 1.0, vcc
	v_frexp_mant_f32_e32 v1, v20
	v_cmp_gt_f32_e64 s[8:9], s8, v1
	v_cndmask_b32_e64 v2, 1.0, 2.0, s[8:9]
	v_mul_f32_e32 v1, v1, v2
	v_add_f32_e32 v2, 1.0, v1
	v_rcp_f32_e32 v10, v2
	v_add_f32_e32 v3, -1.0, v2
	v_sub_f32_e32 v5, v1, v3
	v_add_f32_e32 v3, -1.0, v1
	v_mul_f32_e32 v1, v3, v10
	v_mul_f32_e32 v4, v2, v1
	v_fma_f32 v6, v1, v2, -v4
	v_fmac_f32_e32 v6, v1, v5
	v_add_f32_e32 v2, v4, v6
	v_sub_f32_e32 v5, v3, v2
	v_pk_add_f32 v[8:9], v[2:3], v[4:5] neg_lo:[0,1] neg_hi:[0,1]
	v_mov_b32_e32 v7, v2
	v_pk_add_f32 v[2:3], v[8:9], v[6:7] neg_lo:[0,1] neg_hi:[0,1]
	v_add_f32_e32 v2, v2, v3
	v_add_f32_e32 v2, v5, v2
	v_mul_f32_e32 v3, v10, v2
	v_add_f32_e32 v2, v1, v3
	v_sub_f32_e32 v1, v2, v1
	v_sub_f32_e32 v1, v3, v1
	v_mul_f32_e32 v3, v2, v2
	v_fma_f32 v5, v2, v2, -v3
	v_add_f32_e32 v4, v1, v1
	v_fmac_f32_e32 v5, v2, v4
	v_add_f32_e32 v4, v3, v5
	v_mov_b32_e32 v6, 0x3e91f4c4
	v_fmac_f32_e32 v6, 0x3e76c4e1, v4
	v_mov_b32_e32 v7, 0x3ecccdef
	v_fmac_f32_e32 v7, v4, v6
	v_sub_f32_e32 v3, v4, v3
	v_sub_f32_e32 v12, v5, v3
	v_mul_f32_e32 v3, v4, v7
	v_fma_f32 v5, v4, v7, -v3
	v_fmac_f32_e32 v5, v12, v7
	v_add_f32_e32 v6, v3, v5
	v_add_f32_e32 v7, 0x3f2aaaaa, v6
	v_sub_f32_e32 v3, v6, v3
	v_sub_f32_e32 v3, v5, v3
	v_add_f32_e32 v5, 0xbf2aaaaa, v7
	v_add_f32_e32 v3, 0x31739010, v3
	v_sub_f32_e32 v5, v6, v5
	v_pk_mul_f32 v[8:9], v[2:3], v[4:5]
	v_fma_f32 v6, v4, v2, -v8
	v_pk_add_f32 v[10:11], v[2:3], v[4:5]
	v_fmac_f32_e32 v6, v4, v1
	v_mov_b32_e32 v9, v11
	v_fmac_f32_e32 v6, v12, v2
	v_pk_add_f32 v[4:5], v[8:9], v[6:7]
	v_sub_f32_e32 v3, v4, v8
	v_sub_f32_e32 v3, v6, v3
	;; [unrolled: 1-line block ×3, first 2 shown]
	v_add_f32_e32 v9, v11, v6
	v_mov_b32_e32 v6, v5
	v_pk_mul_f32 v[6:7], v[4:5], v[6:7]
	v_cvt_f64_f32_e32 v[10:11], v20
	v_frexp_exp_i32_f64_e32 v7, v[10:11]
	v_subbrev_co_u32_e64 v7, s[8:9], 0, v7, s[8:9]
	v_cvt_f32_i32_e32 v7, v7
	v_fma_f32 v8, v4, v5, -v6
	v_fmac_f32_e32 v8, v4, v9
	s_mov_b32 s8, 0x3f317218
	v_mul_f32_e32 v4, 0x3f317218, v7
	v_fmac_f32_e32 v8, v3, v5
	v_fma_f32 v10, v7, s8, -v4
	v_fmac_f32_e32 v10, 0xb102e308, v7
	v_ldexp_f32 v11, v2, 1
	v_add_f32_e32 v5, v6, v8
	v_pk_add_f32 v[2:3], v[4:5], v[10:11]
	v_mov_b32_e32 v12, v5
	v_mov_b32_e32 v13, v3
	;; [unrolled: 1-line block ×3, first 2 shown]
	v_pk_add_f32 v[6:7], v[12:13], v[6:7] neg_lo:[0,1] neg_hi:[0,1]
	v_mov_b32_e32 v9, v5
	v_ldexp_f32 v1, v1, 1
	v_pk_add_f32 v[6:7], v[8:9], v[6:7] neg_lo:[0,1] neg_hi:[0,1]
	v_add_f32_e32 v1, v1, v6
	v_add_f32_e32 v5, v1, v7
	v_pk_add_f32 v[6:7], v[2:3], v[4:5] neg_lo:[0,1] neg_hi:[0,1]
	v_pk_add_f32 v[8:9], v[2:3], v[4:5]
	v_mov_b32_e32 v12, v6
	v_mov_b32_e32 v13, v9
	;; [unrolled: 1-line block ×3, first 2 shown]
	v_pk_add_f32 v[12:13], v[10:11], v[12:13]
	v_mov_b32_e32 v4, v13
	v_pk_add_f32 v[14:15], v[4:5], v[2:3] neg_lo:[0,1] neg_hi:[0,1]
	v_mov_b32_e32 v1, v14
	v_mov_b32_e32 v12, v9
	;; [unrolled: 1-line block ×4, first 2 shown]
	v_pk_add_f32 v[6:7], v[10:11], v[6:7] neg_lo:[0,1] neg_hi:[0,1]
	v_pk_add_f32 v[16:17], v[8:9], v[0:1] neg_lo:[0,1] neg_hi:[0,1]
	;; [unrolled: 1-line block ×3, first 2 shown]
	v_mov_b32_e32 v10, v5
	v_pk_add_f32 v[2:3], v[10:11], v[2:3] neg_lo:[0,1] neg_hi:[0,1]
	v_mov_b32_e32 v16, v6
	v_pk_add_f32 v[8:9], v[16:17], v[2:3]
	v_mov_b32_e32 v10, v9
	v_pk_add_f32 v[10:11], v[8:9], v[10:11]
	v_pk_add_f32 v[4:5], v[4:5], v[10:11]
	v_mov_b32_e32 v7, v13
	v_mov_b32_e32 v9, v4
	v_pk_add_f32 v[12:13], v[8:9], v[6:7] neg_lo:[0,1] neg_hi:[0,1]
	v_mov_b32_e32 v3, v10
	v_sub_f32_e32 v1, v8, v12
	v_pk_add_f32 v[2:3], v[2:3], v[12:13] neg_lo:[0,1] neg_hi:[0,1]
	v_sub_f32_e32 v1, v6, v1
	v_add_f32_e32 v1, v2, v1
	v_add_f32_e32 v1, v1, v3
	;; [unrolled: 1-line block ×3, first 2 shown]
	v_sub_f32_e32 v3, v2, v4
	v_sub_f32_e32 v1, v1, v3
	v_mul_f32_e32 v3, v19, v2
	v_fma_f32 v2, v19, v2, -v3
	v_fmac_f32_e32 v2, v19, v1
	v_add_f32_e32 v1, v3, v2
	v_cmp_class_f32_e64 s[8:9], v3, s12
	v_sub_f32_e32 v4, v1, v3
	v_cndmask_b32_e64 v1, v1, v3, s[8:9]
	s_mov_b32 s14, 0x42b17218
	v_mov_b32_e32 v3, 0x37000000
	v_cmp_eq_f32_e64 s[8:9], s14, v1
	v_cndmask_b32_e64 v3, 0, v3, s[8:9]
	v_sub_f32_e32 v2, v2, v4
	v_sub_f32_e32 v4, v1, v3
	s_mov_b32 s8, 0x3fb8aa3b
	v_mul_f32_e32 v5, 0x3fb8aa3b, v4
	v_fma_f32 v6, v4, s8, -v5
	v_rndne_f32_e32 v7, v5
	v_fmac_f32_e32 v6, 0x32a5705f, v4
	v_sub_f32_e32 v5, v5, v7
	v_add_f32_e32 v5, v5, v6
	v_exp_f32_e32 v5, v5
	v_cvt_i32_f32_e32 v6, v7
	s_mov_b32 s13, 0x7f800000
	v_cmp_neq_f32_e64 s[8:9], |v1|, s13
	v_cndmask_b32_e64 v1, 0, v2, s[8:9]
	s_mov_b32 s8, 0xc2ce8ed0
	v_ldexp_f32 v2, v5, v6
	v_cmp_ngt_f32_e64 s[8:9], s8, v4
	v_add_f32_e32 v1, v3, v1
	v_cndmask_b32_e64 v2, 0, v2, s[8:9]
	v_mov_b32_e32 v3, 0x7f800000
	v_cmp_nlt_f32_e64 s[8:9], s14, v4
	v_cndmask_b32_e64 v2, v3, v2, s[8:9]
	v_fma_f32 v1, v2, v1, v2
	v_cmp_class_f32_e64 s[8:9], v2, s12
	v_trunc_f32_e32 v4, v19
	v_cndmask_b32_e64 v1, v1, v2, s[8:9]
	v_cndmask_b32_e64 v2, v18, 1.0, vcc
	v_cmp_eq_f32_e32 vcc, v4, v19
	v_mul_f32_e32 v4, 0.5, v19
	v_trunc_f32_e32 v6, v4
	v_cmp_neq_f32_e64 s[8:9], v6, v4
	s_and_b64 s[8:9], vcc, s[8:9]
	v_cndmask_b32_e64 v4, 1.0, v2, s[8:9]
	s_brev_b32 s22, -2
	v_mov_b32_e32 v5, 0x7fc00000
	v_bfi_b32 v1, s22, v1, v4
	v_cndmask_b32_e32 v4, v5, v1, vcc
	v_cmp_gt_f32_e32 vcc, 0, v2
	v_cndmask_b32_e32 v1, v1, v4, vcc
	v_cmp_eq_f32_e32 vcc, s13, v20
	v_cmp_eq_f32_e64 s[12:13], 0, v2
	v_cmp_gt_f32_e64 s[14:15], 0, v19
	s_xor_b64 s[14:15], s[14:15], s[12:13]
	v_cndmask_b32_e64 v3, v3, 0, s[14:15]
	v_cndmask_b32_e64 v4, 0, v2, s[8:9]
	v_bfi_b32 v3, s22, v3, v4
	s_or_b64 vcc, vcc, s[12:13]
	v_cndmask_b32_e32 v1, v1, v3, vcc
	v_cmp_o_f32_e32 vcc, v2, v2
	v_cndmask_b32_e32 v46, v5, v1, vcc
.LBB56_4:
	s_load_dwordx4 s[12:15], s[6:7], 0x70
	s_ashr_i32 s35, s34, 31
	s_ashr_i32 s8, s51, 31
	s_lshl_b32 s22, s10, 5
	v_and_b32_e32 v36, 0x3ff, v0
	s_waitcnt lgkmcnt(0)
	s_mul_i32 s9, s33, s14
	s_ashr_i32 s14, s9, 31
	s_add_u32 s9, s16, s9
	s_mul_i32 s13, s34, s13
	s_addc_u32 s14, s17, s14
	s_ashr_i32 s15, s13, 31
	v_bfe_u32 v45, v0, 10, 10
	s_add_u32 s9, s9, s13
	s_addc_u32 s13, s14, s15
	v_lshlrev_b32_e32 v37, 2, v45
	v_lshlrev_b32_e32 v6, 3, v36
	v_mov_b32_e32 v1, s13
	v_add_co_u32_e32 v7, vcc, s9, v6
	v_add_u32_e32 v38, s22, v37
	v_addc_co_u32_e32 v16, vcc, 0, v1, vcc
	v_mul_hi_u32 v1, v38, s36
	v_add_u32_e32 v1, v38, v1
	v_lshrrev_b32_e32 v1, s37, v1
	s_ashr_i32 s14, s12, 31
	v_mul_lo_u32 v1, v1, s38
	v_mov_b32_e32 v2, s12
	v_sub_u32_e32 v1, v38, v1
	v_alignbit_b32 v17, s14, v2, 2
	v_mad_u64_u32 v[2:3], s[12:13], v17, v1, 0
	v_mov_b32_e32 v4, v3
	s_lshr_b32 s9, s14, 2
	v_or_b32_e32 v34, 1, v37
	v_mad_u64_u32 v[4:5], s[12:13], s9, v1, v[4:5]
	v_add_u32_e32 v35, s22, v34
	v_mov_b32_e32 v3, v4
	v_mul_hi_u32 v4, v35, s36
	v_add_u32_e32 v4, v35, v4
	v_lshrrev_b32_e32 v4, s37, v4
	v_mul_lo_u32 v4, v4, s38
	v_sub_u32_e32 v9, v35, v4
	v_mad_u64_u32 v[4:5], s[12:13], v17, v9, 0
	v_mov_b32_e32 v8, v5
	v_or_b32_e32 v32, 2, v37
	v_mad_u64_u32 v[8:9], s[12:13], s9, v9, v[8:9]
	v_add_u32_e32 v33, s22, v32
	v_mov_b32_e32 v5, v8
	v_mul_hi_u32 v8, v33, s36
	v_add_u32_e32 v8, v33, v8
	v_lshrrev_b32_e32 v8, s37, v8
	v_mul_lo_u32 v8, v8, s38
	v_sub_u32_e32 v11, v33, v8
	v_lshlrev_b64 v[2:3], 2, v[2:3]
	v_mad_u64_u32 v[8:9], s[12:13], v17, v11, 0
	v_add_co_u32_e32 v2, vcc, v7, v2
	v_mov_b32_e32 v10, v9
	v_addc_co_u32_e32 v3, vcc, v16, v3, vcc
	v_lshlrev_b64 v[4:5], 2, v[4:5]
	v_mad_u64_u32 v[10:11], s[12:13], s9, v11, v[10:11]
	v_add_co_u32_e32 v4, vcc, v7, v4
	v_mov_b32_e32 v9, v10
	v_addc_co_u32_e32 v5, vcc, v16, v5, vcc
	v_lshlrev_b64 v[8:9], 2, v[8:9]
	v_or_b32_e32 v30, 3, v37
	v_add_co_u32_e32 v8, vcc, v7, v8
	v_add_u32_e32 v31, s22, v30
	v_addc_co_u32_e32 v9, vcc, v16, v9, vcc
	global_load_dwordx2 v[10:11], v[2:3], off
	global_load_dwordx2 v[12:13], v[4:5], off
	;; [unrolled: 1-line block ×3, first 2 shown]
	v_mul_hi_u32 v2, v31, s36
	v_add_u32_e32 v2, v31, v2
	v_lshrrev_b32_e32 v2, s37, v2
	v_mul_lo_u32 v2, v2, s38
	v_sub_u32_e32 v5, v31, v2
	v_mad_u64_u32 v[2:3], s[12:13], v17, v5, 0
	v_mov_b32_e32 v4, v3
	v_mad_u64_u32 v[4:5], s[12:13], s9, v5, v[4:5]
	v_mov_b32_e32 v3, v4
	v_lshlrev_b64 v[2:3], 2, v[2:3]
	v_add_co_u32_e32 v2, vcc, v7, v2
	v_addc_co_u32_e32 v3, vcc, v16, v3, vcc
	global_load_dwordx2 v[2:3], v[2:3], off
	v_lshlrev_b32_e32 v5, 7, v45
	v_add_lshl_u32 v5, v5, v36, 2
	s_cmp_eq_u64 s[26:27], 0
	s_waitcnt vmcnt(3)
	v_fma_mixlo_f16 v4, v10, s40, 0
	v_fma_mixhi_f16 v4, v11, s40, 0
	ds_write_b32 v5, v4 offset:13312
	s_waitcnt vmcnt(2)
	v_fma_mixlo_f16 v4, v12, s40, 0
	v_lshlrev_b32_e32 v5, 5, v34
	v_fma_mixhi_f16 v4, v13, s40, 0
	v_add_lshl_u32 v5, v5, v36, 2
	ds_write_b32 v5, v4 offset:13312
	s_waitcnt vmcnt(1)
	v_fma_mixlo_f16 v4, v14, s40, 0
	v_lshlrev_b32_e32 v5, 5, v32
	v_fma_mixhi_f16 v4, v15, s40, 0
	v_add_lshl_u32 v5, v5, v36, 2
	ds_write_b32 v5, v4 offset:13312
	s_waitcnt vmcnt(0)
	v_fma_mixlo_f16 v2, v2, s40, 0
	v_fma_mixhi_f16 v2, v3, s40, 0
	v_lshlrev_b32_e32 v3, 5, v30
	v_add_lshl_u32 v3, v3, v36, 2
	ds_write_b32 v3, v2 offset:13312
	s_waitcnt lgkmcnt(0)
	s_barrier
	s_cbranch_scc1 .LBB56_6
; %bb.5:
	s_load_dword s9, s[6:7], 0xd0
	s_mov_b32 s13, 0
	s_waitcnt lgkmcnt(0)
	s_mul_i32 s9, s9, s33
	s_add_i32 s12, s9, s10
	s_lshl_b64 s[12:13], s[12:13], 2
	s_add_u32 s12, s26, s12
	s_addc_u32 s13, s27, s13
	s_load_dword s46, s[12:13], 0x0
.LBB56_6:
	s_nop 0
	s_load_dwordx2 s[12:13], s[6:7], 0x8c
	s_load_dwordx4 s[52:55], s[6:7], 0x98
	s_load_dwordx2 s[26:27], s[6:7], 0xa8
	s_ashr_i32 s9, s33, 31
	s_ashr_i32 s40, s49, 1
	s_waitcnt lgkmcnt(0)
	s_ashr_i32 s14, s12, 2
	s_mul_i32 s12, s33, s53
	s_mul_hi_u32 s15, s33, s52
	s_add_i32 s12, s15, s12
	s_mul_i32 s15, s9, s52
	s_ashr_i32 s10, s54, 2
	s_add_i32 s12, s12, s15
	s_mul_i32 s15, s33, s52
	s_add_u32 s15, s18, s15
	s_mul_i32 s16, s23, s47
	s_addc_u32 s12, s19, s12
	s_sub_i32 s16, s50, s16
	s_xor_b32 s8, s35, s8
	s_add_i32 s17, s23, 1
	s_sub_i32 s18, s16, s47
	s_cmp_ge_u32 s16, s47
	s_cselect_b32 s17, s17, s23
	s_cselect_b32 s16, s18, s16
	s_add_i32 s18, s17, 1
	s_cmp_ge_u32 s16, s47
	s_cselect_b32 s16, s18, s17
	s_xor_b32 s16, s16, s8
	s_sub_i32 s8, s16, s8
	s_mul_i32 s13, s8, s13
	s_ashr_i32 s16, s13, 31
	s_add_u32 s15, s15, s13
	s_addc_u32 s16, s12, s16
	s_mul_i32 s12, s33, s27
	s_mul_hi_u32 s13, s33, s26
	s_add_i32 s12, s13, s12
	s_mul_i32 s9, s9, s26
	s_add_i32 s12, s12, s9
	s_mul_i32 s9, s33, s26
	s_add_u32 s9, s20, s9
	s_mul_i32 s8, s8, s55
	s_addc_u32 s12, s21, s12
	s_ashr_i32 s13, s8, 31
	s_add_u32 s23, s9, s8
	s_addc_u32 s26, s12, s13
	s_lshl_b32 s27, s11, 6
	s_sub_i32 s17, s46, 64
	s_mov_b32 s48, 0xfeffffff
	s_cmp_ge_i32 s27, s17
	v_mov_b32_e32 v13, 0
	v_mov_b32_e32 v44, 0
	v_mul_lo_u32 v51, v1, s40
	v_lshrrev_b32_e32 v1, 3, v36
	v_lshlrev_b32_e32 v40, 2, v36
	v_lshlrev_b32_e32 v39, 9, v45
	v_or_b32_e32 v49, 1, v38
	v_or_b32_e32 v48, 2, v38
	;; [unrolled: 1-line block ×3, first 2 shown]
	v_mbcnt_lo_u32_b32 v50, -1, 0
	s_cbranch_scc1 .LBB56_27
; %bb.7:
	v_mul_hi_u32 v10, s36, v49
	v_add_u32_e32 v10, v49, v10
	v_lshrrev_b32_e32 v10, s37, v10
	v_mul_lo_u32 v10, v10, s38
	v_sub_u32_e32 v10, v49, v10
	v_mul_lo_u32 v56, v10, s40
	v_mul_hi_u32 v10, s36, v48
	v_add_u32_e32 v10, v48, v10
	v_lshrrev_b32_e32 v10, s37, v10
	v_mul_lo_u32 v10, v10, s38
	v_sub_u32_e32 v10, v48, v10
	v_mul_lo_u32 v57, v10, s40
	v_mul_hi_u32 v10, s36, v47
	v_add_u32_e32 v10, v47, v10
	v_lshrrev_b32_e32 v10, s37, v10
	v_and_b32_e32 v4, 28, v40
	v_mul_lo_u32 v10, v10, s38
	v_add_u32_e32 v5, v1, v37
	v_lshlrev_b32_e32 v7, 2, v4
	s_movk_i32 s8, 0x90
	s_cmp_lg_u64 s[44:45], 0
	v_sub_u32_e32 v10, v47, v10
	v_mad_u32_u24 v52, v5, s8, v7
	v_mul_lo_u32 v2, s14, v5
	v_mul_lo_u32 v58, v10, s40
	;; [unrolled: 1-line block ×3, first 2 shown]
	s_cselect_b64 s[8:9], -1, 0
	s_add_u32 s12, s6, 0xd0
	v_lshl_add_u32 v8, s14, 5, v2
	v_lshl_add_u32 v12, s10, 5, v10
	s_addc_u32 s13, s7, 0
	v_mov_b32_e32 v43, 0
	v_ashrrev_i32_e32 v3, 31, v2
	v_ashrrev_i32_e32 v9, 31, v8
	v_add_u32_e32 v59, 0x2400, v39
	v_lshl_or_b32 v60, v5, 7, v7
	v_ashrrev_i32_e32 v11, 31, v10
	v_ashrrev_i32_e32 v13, 31, v12
	s_add_u32 s18, s44, 64
	v_mov_b32_e32 v18, 0xfeffffff
	v_cndmask_b32_e64 v14, 0, 1, s[8:9]
	v_add_u32_e32 v53, 0x1200, v52
	v_mul_u32_u24_e32 v54, 0x90, v36
	v_add_u32_e32 v55, 0x3400, v39
	v_add_u32_e32 v61, 0x1000, v60
	s_addc_u32 s19, s45, 0
	v_lshlrev_b64 v[2:3], 2, v[2:3]
	v_lshlrev_b32_e32 v62, 2, v4
	v_lshlrev_b64 v[4:5], 2, v[8:9]
	v_mbcnt_hi_u32_b32 v63, -1, v50
	s_mov_b32 s20, 0x3fb8aa3b
	s_mov_b32 s21, 0xc2ce8ed0
	s_mov_b32 s41, 0x42b17218
	v_add_u32_e32 v64, v59, v6
	v_lshlrev_b64 v[6:7], 2, v[10:11]
	v_lshlrev_b64 v[8:9], 2, v[12:13]
	v_cmp_ne_u32_e64 s[8:9], 1, v14
	v_mov_b32_e32 v65, 0x7f800000
	v_mov_b32_e32 v41, 0
	;; [unrolled: 1-line block ×11, first 2 shown]
.LBB56_8:                               ; =>This Inner Loop Header: Depth=1
	s_mul_hi_i32 s43, s27, s14
	s_mul_i32 s42, s27, s14
	s_lshl_b64 s[42:43], s[42:43], 2
	s_add_u32 s42, s15, s42
	s_addc_u32 s43, s16, s43
	v_mov_b32_e32 v16, s43
	v_add_co_u32_e32 v17, vcc, s42, v2
	v_addc_co_u32_e32 v20, vcc, v16, v3, vcc
	v_add_co_u32_e32 v16, vcc, v17, v62
	v_addc_co_u32_e32 v17, vcc, 0, v20, vcc
	v_mov_b32_e32 v20, s43
	v_add_co_u32_e32 v21, vcc, s42, v4
	v_addc_co_u32_e32 v22, vcc, v20, v5, vcc
	v_add_co_u32_e32 v20, vcc, v21, v62
	v_addc_co_u32_e32 v21, vcc, 0, v22, vcc
	global_load_dwordx4 v[66:69], v[16:17], off
	global_load_dwordx4 v[70:73], v[20:21], off
	v_mov_b32_e32 v22, 0
	v_mov_b32_e32 v23, 0
	;; [unrolled: 1-line block ×8, first 2 shown]
	s_and_b64 vcc, exec, s[8:9]
	s_waitcnt vmcnt(1)
	ds_write_b128 v52, v[66:69]
	s_waitcnt vmcnt(0)
	ds_write_b128 v53, v[70:73]
	s_waitcnt lgkmcnt(0)
	s_barrier
	ds_read_b128 v[66:69], v55
	ds_read_b128 v[70:73], v54
	ds_read_b128 v[74:77], v54 offset:4608
	ds_read_b128 v[78:81], v55 offset:128
	;; [unrolled: 1-line block ×4, first 2 shown]
	s_waitcnt lgkmcnt(4)
	;;#ASMSTART
	v_dot2_f32_f16 v22, v70, v66, v22
	;;#ASMEND
	;;#ASMSTART
	v_dot2_f32_f16 v22, v71, v67, v22
	;;#ASMEND
	;;#ASMSTART
	v_dot2_f32_f16 v22, v72, v68, v22
	;;#ASMEND
	;;#ASMSTART
	v_dot2_f32_f16 v22, v73, v69, v22
	;;#ASMEND
	s_waitcnt lgkmcnt(2)
	;;#ASMSTART
	v_dot2_f32_f16 v23, v70, v78, v23
	;;#ASMEND
	;;#ASMSTART
	v_dot2_f32_f16 v23, v71, v79, v23
	;;#ASMEND
	;;#ASMSTART
	v_dot2_f32_f16 v23, v72, v80, v23
	;;#ASMEND
	;;#ASMSTART
	v_dot2_f32_f16 v23, v73, v81, v23
	;;#ASMEND
	;; [unrolled: 13-line block ×4, first 2 shown]
	;;#ASMSTART
	v_dot2_f32_f16 v24, v74, v66, v24
	;;#ASMEND
	;;#ASMSTART
	v_dot2_f32_f16 v24, v75, v67, v24
	;;#ASMEND
	;; [unrolled: 3-line block ×16, first 2 shown]
	ds_read_b128 v[66:69], v55 offset:16
	ds_read_b128 v[70:73], v54 offset:16
	;; [unrolled: 1-line block ×6, first 2 shown]
	s_waitcnt lgkmcnt(4)
	;;#ASMSTART
	v_dot2_f32_f16 v22, v70, v66, v22
	;;#ASMEND
	;;#ASMSTART
	v_dot2_f32_f16 v22, v71, v67, v22
	;;#ASMEND
	;;#ASMSTART
	v_dot2_f32_f16 v22, v72, v68, v22
	;;#ASMEND
	;;#ASMSTART
	v_dot2_f32_f16 v22, v73, v69, v22
	;;#ASMEND
	s_waitcnt lgkmcnt(2)
	;;#ASMSTART
	v_dot2_f32_f16 v23, v70, v78, v23
	;;#ASMEND
	;;#ASMSTART
	v_dot2_f32_f16 v23, v71, v79, v23
	;;#ASMEND
	;;#ASMSTART
	v_dot2_f32_f16 v23, v72, v80, v23
	;;#ASMEND
	;;#ASMSTART
	v_dot2_f32_f16 v23, v73, v81, v23
	;;#ASMEND
	s_waitcnt lgkmcnt(1)
	;;#ASMSTART
	v_dot2_f32_f16 v28, v70, v82, v28
	;;#ASMEND
	;;#ASMSTART
	v_dot2_f32_f16 v28, v71, v83, v28
	;;#ASMEND
	;;#ASMSTART
	v_dot2_f32_f16 v28, v72, v84, v28
	;;#ASMEND
	;;#ASMSTART
	v_dot2_f32_f16 v28, v73, v85, v28
	;;#ASMEND
	s_waitcnt lgkmcnt(0)
	;;#ASMSTART
	v_dot2_f32_f16 v16, v70, v86, v16
	;;#ASMEND
	;;#ASMSTART
	v_dot2_f32_f16 v16, v71, v87, v16
	;;#ASMEND
	;;#ASMSTART
	v_dot2_f32_f16 v16, v72, v88, v16
	;;#ASMEND
	;;#ASMSTART
	v_dot2_f32_f16 v16, v73, v89, v16
	;;#ASMEND
	;;#ASMSTART
	v_dot2_f32_f16 v24, v74, v66, v24
	;;#ASMEND
	;;#ASMSTART
	v_dot2_f32_f16 v24, v75, v67, v24
	;;#ASMEND
	;;#ASMSTART
	v_dot2_f32_f16 v24, v76, v68, v24
	;;#ASMEND
	;;#ASMSTART
	v_dot2_f32_f16 v24, v77, v69, v24
	;;#ASMEND
	;;#ASMSTART
	v_dot2_f32_f16 v26, v74, v78, v26
	;;#ASMEND
	;;#ASMSTART
	v_dot2_f32_f16 v26, v75, v79, v26
	;;#ASMEND
	;;#ASMSTART
	v_dot2_f32_f16 v26, v76, v80, v26
	;;#ASMEND
	;;#ASMSTART
	v_dot2_f32_f16 v26, v77, v81, v26
	;;#ASMEND
	;;#ASMSTART
	v_dot2_f32_f16 v29, v74, v82, v29
	;;#ASMEND
	;;#ASMSTART
	v_dot2_f32_f16 v29, v75, v83, v29
	;;#ASMEND
	;;#ASMSTART
	v_dot2_f32_f16 v29, v76, v84, v29
	;;#ASMEND
	;;#ASMSTART
	v_dot2_f32_f16 v29, v77, v85, v29
	;;#ASMEND
	;;#ASMSTART
	v_dot2_f32_f16 v17, v74, v86, v17
	;;#ASMEND
	;;#ASMSTART
	v_dot2_f32_f16 v17, v75, v87, v17
	;;#ASMEND
	;;#ASMSTART
	v_dot2_f32_f16 v17, v76, v88, v17
	;;#ASMEND
	;;#ASMSTART
	v_dot2_f32_f16 v17, v77, v89, v17
	;;#ASMEND
	ds_read_b128 v[66:69], v55 offset:32
	ds_read_b128 v[70:73], v54 offset:32
	;; [unrolled: 1-line block ×6, first 2 shown]
	s_waitcnt lgkmcnt(4)
	;;#ASMSTART
	v_dot2_f32_f16 v22, v70, v66, v22
	;;#ASMEND
	;;#ASMSTART
	v_dot2_f32_f16 v22, v71, v67, v22
	;;#ASMEND
	;;#ASMSTART
	v_dot2_f32_f16 v22, v72, v68, v22
	;;#ASMEND
	;;#ASMSTART
	v_dot2_f32_f16 v22, v73, v69, v22
	;;#ASMEND
	s_waitcnt lgkmcnt(2)
	;;#ASMSTART
	v_dot2_f32_f16 v23, v70, v78, v23
	;;#ASMEND
	;;#ASMSTART
	v_dot2_f32_f16 v23, v71, v79, v23
	;;#ASMEND
	;;#ASMSTART
	v_dot2_f32_f16 v23, v72, v80, v23
	;;#ASMEND
	;;#ASMSTART
	v_dot2_f32_f16 v23, v73, v81, v23
	;;#ASMEND
	;; [unrolled: 13-line block ×4, first 2 shown]
	;;#ASMSTART
	v_dot2_f32_f16 v24, v74, v66, v24
	;;#ASMEND
	;;#ASMSTART
	v_dot2_f32_f16 v24, v75, v67, v24
	;;#ASMEND
	;; [unrolled: 3-line block ×16, first 2 shown]
	ds_read_b128 v[66:69], v55 offset:48
	ds_read_b128 v[70:73], v54 offset:48
	;; [unrolled: 1-line block ×6, first 2 shown]
	s_waitcnt lgkmcnt(4)
	;;#ASMSTART
	v_dot2_f32_f16 v22, v70, v66, v22
	;;#ASMEND
	;;#ASMSTART
	v_dot2_f32_f16 v22, v71, v67, v22
	;;#ASMEND
	;;#ASMSTART
	v_dot2_f32_f16 v22, v72, v68, v22
	;;#ASMEND
	;;#ASMSTART
	v_dot2_f32_f16 v22, v73, v69, v22
	;;#ASMEND
	s_waitcnt lgkmcnt(2)
	;;#ASMSTART
	v_dot2_f32_f16 v23, v70, v78, v23
	;;#ASMEND
	;;#ASMSTART
	v_dot2_f32_f16 v23, v71, v79, v23
	;;#ASMEND
	;;#ASMSTART
	v_dot2_f32_f16 v23, v72, v80, v23
	;;#ASMEND
	;;#ASMSTART
	v_dot2_f32_f16 v23, v73, v81, v23
	;;#ASMEND
	;; [unrolled: 13-line block ×4, first 2 shown]
	;;#ASMSTART
	v_dot2_f32_f16 v24, v74, v66, v24
	;;#ASMEND
	;;#ASMSTART
	v_dot2_f32_f16 v24, v75, v67, v24
	;;#ASMEND
	;; [unrolled: 3-line block ×16, first 2 shown]
	ds_read_b128 v[66:69], v55 offset:64
	ds_read_b128 v[70:73], v54 offset:64
	;; [unrolled: 1-line block ×6, first 2 shown]
	s_waitcnt lgkmcnt(4)
	;;#ASMSTART
	v_dot2_f32_f16 v22, v70, v66, v22
	;;#ASMEND
	;;#ASMSTART
	v_dot2_f32_f16 v22, v71, v67, v22
	;;#ASMEND
	;;#ASMSTART
	v_dot2_f32_f16 v22, v72, v68, v22
	;;#ASMEND
	;;#ASMSTART
	v_dot2_f32_f16 v22, v73, v69, v22
	;;#ASMEND
	s_waitcnt lgkmcnt(2)
	;;#ASMSTART
	v_dot2_f32_f16 v23, v70, v78, v23
	;;#ASMEND
	;;#ASMSTART
	v_dot2_f32_f16 v23, v71, v79, v23
	;;#ASMEND
	;;#ASMSTART
	v_dot2_f32_f16 v23, v72, v80, v23
	;;#ASMEND
	;;#ASMSTART
	v_dot2_f32_f16 v23, v73, v81, v23
	;;#ASMEND
	;; [unrolled: 13-line block ×4, first 2 shown]
	;;#ASMSTART
	v_dot2_f32_f16 v24, v74, v66, v24
	;;#ASMEND
	;;#ASMSTART
	v_dot2_f32_f16 v24, v75, v67, v24
	;;#ASMEND
	;; [unrolled: 3-line block ×16, first 2 shown]
	ds_read_b128 v[66:69], v55 offset:80
	ds_read_b128 v[70:73], v54 offset:80
	;; [unrolled: 1-line block ×6, first 2 shown]
	s_waitcnt lgkmcnt(4)
	;;#ASMSTART
	v_dot2_f32_f16 v22, v70, v66, v22
	;;#ASMEND
	;;#ASMSTART
	v_dot2_f32_f16 v22, v71, v67, v22
	;;#ASMEND
	;;#ASMSTART
	v_dot2_f32_f16 v22, v72, v68, v22
	;;#ASMEND
	;;#ASMSTART
	v_dot2_f32_f16 v22, v73, v69, v22
	;;#ASMEND
	s_waitcnt lgkmcnt(2)
	;;#ASMSTART
	v_dot2_f32_f16 v23, v70, v78, v23
	;;#ASMEND
	;;#ASMSTART
	v_dot2_f32_f16 v23, v71, v79, v23
	;;#ASMEND
	;;#ASMSTART
	v_dot2_f32_f16 v23, v72, v80, v23
	;;#ASMEND
	;;#ASMSTART
	v_dot2_f32_f16 v23, v73, v81, v23
	;;#ASMEND
	;; [unrolled: 13-line block ×4, first 2 shown]
	;;#ASMSTART
	v_dot2_f32_f16 v24, v74, v66, v24
	;;#ASMEND
	;;#ASMSTART
	v_dot2_f32_f16 v24, v75, v67, v24
	;;#ASMEND
	;;#ASMSTART
	v_dot2_f32_f16 v24, v76, v68, v24
	;;#ASMEND
	;;#ASMSTART
	v_dot2_f32_f16 v24, v77, v69, v24
	;;#ASMEND
	;;#ASMSTART
	v_dot2_f32_f16 v26, v74, v78, v26
	;;#ASMEND
	;;#ASMSTART
	v_dot2_f32_f16 v26, v75, v79, v26
	;;#ASMEND
	;;#ASMSTART
	v_dot2_f32_f16 v26, v76, v80, v26
	;;#ASMEND
	;;#ASMSTART
	v_dot2_f32_f16 v26, v77, v81, v26
	;;#ASMEND
	;;#ASMSTART
	v_dot2_f32_f16 v29, v74, v82, v29
	;;#ASMEND
	;;#ASMSTART
	v_dot2_f32_f16 v29, v75, v83, v29
	;;#ASMEND
	;;#ASMSTART
	v_dot2_f32_f16 v29, v76, v84, v29
	;;#ASMEND
	;;#ASMSTART
	v_dot2_f32_f16 v29, v77, v85, v29
	;;#ASMEND
	;;#ASMSTART
	v_dot2_f32_f16 v17, v74, v86, v17
	;;#ASMEND
	;;#ASMSTART
	v_dot2_f32_f16 v17, v75, v87, v17
	;;#ASMEND
	;;#ASMSTART
	v_dot2_f32_f16 v17, v76, v88, v17
	;;#ASMEND
	;;#ASMSTART
	v_dot2_f32_f16 v17, v77, v89, v17
	;;#ASMEND
	ds_read_b128 v[66:69], v55 offset:96
	ds_read_b128 v[70:73], v54 offset:96
	;; [unrolled: 1-line block ×6, first 2 shown]
	s_waitcnt lgkmcnt(4)
	;;#ASMSTART
	v_dot2_f32_f16 v22, v70, v66, v22
	;;#ASMEND
	;;#ASMSTART
	v_dot2_f32_f16 v22, v71, v67, v22
	;;#ASMEND
	;;#ASMSTART
	v_dot2_f32_f16 v22, v72, v68, v22
	;;#ASMEND
	;;#ASMSTART
	v_dot2_f32_f16 v22, v73, v69, v22
	;;#ASMEND
	s_waitcnt lgkmcnt(2)
	;;#ASMSTART
	v_dot2_f32_f16 v23, v70, v78, v23
	;;#ASMEND
	;;#ASMSTART
	v_dot2_f32_f16 v23, v71, v79, v23
	;;#ASMEND
	;;#ASMSTART
	v_dot2_f32_f16 v23, v72, v80, v23
	;;#ASMEND
	;;#ASMSTART
	v_dot2_f32_f16 v23, v73, v81, v23
	;;#ASMEND
	;; [unrolled: 13-line block ×4, first 2 shown]
	;;#ASMSTART
	v_dot2_f32_f16 v24, v74, v66, v24
	;;#ASMEND
	;;#ASMSTART
	v_dot2_f32_f16 v24, v75, v67, v24
	;;#ASMEND
	;; [unrolled: 3-line block ×16, first 2 shown]
	ds_read_b128 v[66:69], v55 offset:112
	ds_read_b128 v[70:73], v54 offset:112
	;; [unrolled: 1-line block ×6, first 2 shown]
	s_waitcnt lgkmcnt(4)
	;;#ASMSTART
	v_dot2_f32_f16 v22, v70, v66, v22
	;;#ASMEND
	;;#ASMSTART
	v_dot2_f32_f16 v22, v71, v67, v22
	;;#ASMEND
	;;#ASMSTART
	v_dot2_f32_f16 v22, v72, v68, v22
	;;#ASMEND
	;;#ASMSTART
	v_dot2_f32_f16 v22, v73, v69, v22
	;;#ASMEND
	s_waitcnt lgkmcnt(2)
	;;#ASMSTART
	v_dot2_f32_f16 v23, v70, v78, v23
	;;#ASMEND
	;;#ASMSTART
	v_dot2_f32_f16 v23, v71, v79, v23
	;;#ASMEND
	;;#ASMSTART
	v_dot2_f32_f16 v23, v72, v80, v23
	;;#ASMEND
	;;#ASMSTART
	v_dot2_f32_f16 v23, v73, v81, v23
	;;#ASMEND
	;; [unrolled: 13-line block ×4, first 2 shown]
	;;#ASMSTART
	v_dot2_f32_f16 v24, v74, v66, v24
	;;#ASMEND
	;;#ASMSTART
	v_dot2_f32_f16 v24, v75, v67, v24
	;;#ASMEND
	;; [unrolled: 3-line block ×13, first 2 shown]
	v_add_u32_e32 v73, s27, v36
	;;#ASMSTART
	v_dot2_f32_f16 v17, v75, v87, v17
	;;#ASMEND
	v_add_u32_e32 v20, v73, v51
	;;#ASMSTART
	v_dot2_f32_f16 v17, v76, v88, v17
	;;#ASMEND
	v_ashrrev_i32_e32 v21, 31, v20
	v_mov_b32_e32 v66, 0
	;;#ASMSTART
	v_dot2_f32_f16 v17, v77, v89, v17
	;;#ASMEND
	s_cbranch_vccnz .LBB56_10
; %bb.9:                                ;   in Loop: Header=BB56_8 Depth=1
	v_lshlrev_b64 v[66:67], 1, v[20:21]
	v_mov_b32_e32 v25, s45
	v_add_co_u32_e32 v66, vcc, s44, v66
	v_addc_co_u32_e32 v67, vcc, v25, v67, vcc
	flat_load_ushort v25, v[66:67]
	s_waitcnt vmcnt(0) lgkmcnt(0)
	v_cvt_f32_f16_e32 v25, v25
	v_mul_f32_e32 v66, v46, v25
.LBB56_10:                              ;   in Loop: Header=BB56_8 Depth=1
	s_and_b64 vcc, exec, s[8:9]
	v_mov_b32_e32 v27, 0
	v_mov_b32_e32 v25, 0
	s_cbranch_vccnz .LBB56_12
; %bb.11:                               ;   in Loop: Header=BB56_8 Depth=1
	v_lshlrev_b64 v[20:21], 1, v[20:21]
	v_mov_b32_e32 v25, s19
	v_add_co_u32_e32 v20, vcc, s18, v20
	v_addc_co_u32_e32 v21, vcc, v25, v21, vcc
	flat_load_ushort v20, v[20:21]
	s_waitcnt vmcnt(0) lgkmcnt(0)
	v_cvt_f32_f16_e32 v20, v20
	v_mul_f32_e32 v25, v46, v20
.LBB56_12:                              ;   in Loop: Header=BB56_8 Depth=1
	v_and_b32_e32 v20, 0x60, v63
	v_add_f32_e32 v22, v22, v66
	v_add_u32_e32 v66, 32, v20
	v_xor_b32_e32 v20, 16, v63
	v_cmp_lt_i32_e32 vcc, v20, v66
	v_cndmask_b32_e32 v20, v63, v20, vcc
	v_lshlrev_b32_e32 v71, 2, v20
	v_add_f32_e32 v20, v24, v25
	v_add_f32_e32 v21, 0x40051340, v22
	v_add_f32_e32 v24, 0x40051340, v20
	v_max3_f32 v21, v18, v21, v24
	ds_bpermute_b32 v24, v71, v21
	v_xor_b32_e32 v25, 8, v63
	v_cmp_lt_i32_e32 vcc, v25, v66
	v_cndmask_b32_e32 v25, v63, v25, vcc
	v_lshlrev_b32_e32 v75, 2, v25
	s_waitcnt lgkmcnt(0)
	v_max_f32_e32 v24, v24, v24
	v_max_f32_e32 v21, v21, v24
	ds_bpermute_b32 v24, v75, v21
	v_xor_b32_e32 v25, 4, v63
	v_cmp_lt_i32_e32 vcc, v25, v66
	v_cndmask_b32_e32 v25, v63, v25, vcc
	v_lshlrev_b32_e32 v74, 2, v25
	s_waitcnt lgkmcnt(0)
	v_max_f32_e32 v24, v24, v24
	v_max_f32_e32 v21, v21, v24
	;; [unrolled: 8-line block ×4, first 2 shown]
	ds_bpermute_b32 v67, v70, v66
	v_add_u32_e32 v24, v73, v56
	s_and_b64 vcc, exec, s[8:9]
	v_ashrrev_i32_e32 v25, 31, v24
	s_cbranch_vccnz .LBB56_14
; %bb.13:                               ;   in Loop: Header=BB56_8 Depth=1
	v_lshlrev_b64 v[68:69], 1, v[24:25]
	v_mov_b32_e32 v21, s45
	v_add_co_u32_e32 v68, vcc, s44, v68
	v_addc_co_u32_e32 v69, vcc, v21, v69, vcc
	flat_load_ushort v21, v[68:69]
	s_waitcnt vmcnt(0) lgkmcnt(0)
	v_cvt_f32_f16_e32 v21, v21
	v_mul_f32_e32 v27, v46, v21
.LBB56_14:                              ;   in Loop: Header=BB56_8 Depth=1
	s_and_b64 vcc, exec, s[8:9]
	v_mov_b32_e32 v76, 0
	v_mov_b32_e32 v21, 0
	s_cbranch_vccnz .LBB56_16
; %bb.15:                               ;   in Loop: Header=BB56_8 Depth=1
	v_lshlrev_b64 v[24:25], 1, v[24:25]
	v_mov_b32_e32 v21, s19
	v_add_co_u32_e32 v24, vcc, s18, v24
	v_addc_co_u32_e32 v25, vcc, v21, v25, vcc
	flat_load_ushort v21, v[24:25]
	s_waitcnt vmcnt(0) lgkmcnt(0)
	v_cvt_f32_f16_e32 v21, v21
	v_mul_f32_e32 v21, v46, v21
.LBB56_16:                              ;   in Loop: Header=BB56_8 Depth=1
	v_add_f32_e32 v23, v23, v27
	v_add_f32_e32 v21, v26, v21
	;; [unrolled: 1-line block ×4, first 2 shown]
	v_max3_f32 v24, v19, v24, v25
	ds_bpermute_b32 v25, v71, v24
	v_add_u32_e32 v26, v73, v57
	s_and_b64 vcc, exec, s[8:9]
	v_ashrrev_i32_e32 v27, 31, v26
	s_waitcnt lgkmcnt(0)
	v_max_f32_e32 v25, v25, v25
	v_max_f32_e32 v24, v24, v25
	ds_bpermute_b32 v25, v75, v24
	s_waitcnt lgkmcnt(0)
	v_max_f32_e32 v25, v25, v25
	v_max_f32_e32 v24, v24, v25
	ds_bpermute_b32 v25, v74, v24
	;; [unrolled: 4-line block ×4, first 2 shown]
	s_cbranch_vccnz .LBB56_18
; %bb.17:                               ;   in Loop: Header=BB56_8 Depth=1
	v_lshlrev_b64 v[24:25], 1, v[26:27]
	v_mov_b32_e32 v76, s45
	v_add_co_u32_e32 v24, vcc, s44, v24
	v_addc_co_u32_e32 v25, vcc, v76, v25, vcc
	flat_load_ushort v24, v[24:25]
	s_waitcnt vmcnt(0) lgkmcnt(0)
	v_cvt_f32_f16_e32 v24, v24
	v_mul_f32_e32 v76, v46, v24
.LBB56_18:                              ;   in Loop: Header=BB56_8 Depth=1
	s_and_b64 vcc, exec, s[8:9]
	v_mov_b32_e32 v24, 0
	v_mov_b32_e32 v25, 0
	s_cbranch_vccnz .LBB56_20
; %bb.19:                               ;   in Loop: Header=BB56_8 Depth=1
	v_lshlrev_b64 v[26:27], 1, v[26:27]
	v_mov_b32_e32 v25, s19
	v_add_co_u32_e32 v26, vcc, s18, v26
	v_addc_co_u32_e32 v27, vcc, v25, v27, vcc
	flat_load_ushort v25, v[26:27]
	s_waitcnt vmcnt(0) lgkmcnt(0)
	v_cvt_f32_f16_e32 v25, v25
	v_mul_f32_e32 v25, v46, v25
.LBB56_20:                              ;   in Loop: Header=BB56_8 Depth=1
	v_add_f32_e32 v76, v28, v76
	v_add_f32_e32 v28, v29, v25
	;; [unrolled: 1-line block ×4, first 2 shown]
	v_max3_f32 v25, v14, v26, v25
	ds_bpermute_b32 v26, v71, v25
	s_and_b64 vcc, exec, s[8:9]
	s_waitcnt lgkmcnt(0)
	v_max_f32_e32 v26, v26, v26
	v_max_f32_e32 v25, v25, v26
	ds_bpermute_b32 v26, v75, v25
	s_waitcnt lgkmcnt(0)
	v_max_f32_e32 v26, v26, v26
	v_max_f32_e32 v25, v25, v26
	ds_bpermute_b32 v26, v74, v25
	;; [unrolled: 4-line block ×4, first 2 shown]
	v_add_u32_e32 v26, v73, v58
	v_ashrrev_i32_e32 v27, 31, v26
	s_cbranch_vccnz .LBB56_22
; %bb.21:                               ;   in Loop: Header=BB56_8 Depth=1
	v_lshlrev_b64 v[24:25], 1, v[26:27]
	v_mov_b32_e32 v73, s45
	v_add_co_u32_e32 v24, vcc, s44, v24
	v_addc_co_u32_e32 v25, vcc, v73, v25, vcc
	flat_load_ushort v24, v[24:25]
	s_waitcnt vmcnt(0) lgkmcnt(0)
	v_cvt_f32_f16_e32 v24, v24
	v_mul_f32_e32 v24, v46, v24
.LBB56_22:                              ;   in Loop: Header=BB56_8 Depth=1
	s_and_b64 vcc, exec, s[8:9]
	s_cbranch_vccnz .LBB56_24
; %bb.23:                               ;   in Loop: Header=BB56_8 Depth=1
	v_lshlrev_b64 v[26:27], 1, v[26:27]
	v_mov_b32_e32 v25, s19
	v_add_co_u32_e32 v26, vcc, s18, v26
	v_addc_co_u32_e32 v27, vcc, v25, v27, vcc
	flat_load_ushort v25, v[26:27]
	s_waitcnt vmcnt(0) lgkmcnt(0)
	v_cvt_f32_f16_e32 v25, v25
	v_mul_f32_e32 v25, v46, v25
	s_branch .LBB56_25
.LBB56_24:                              ;   in Loop: Header=BB56_8 Depth=1
	v_mov_b32_e32 v25, 0
.LBB56_25:                              ;   in Loop: Header=BB56_8 Depth=1
	v_pk_add_f32 v[78:79], v[16:17], v[24:25]
	v_add_f32_e32 v16, 0x40051340, v78
	v_add_f32_e32 v17, 0x40051340, v79
	v_max3_f32 v16, v15, v16, v17
	ds_bpermute_b32 v17, v71, v16
	v_max_f32_e32 v25, v29, v29
	v_max_f32_e32 v66, v66, v66
	s_mul_hi_i32 s43, s27, s10
	s_mul_i32 s42, s27, s10
	s_waitcnt lgkmcnt(0)
	v_max_f32_e32 v17, v17, v17
	v_max_f32_e32 v17, v16, v17
	ds_bpermute_b32 v24, v75, v17
	v_max_f32_e32 v16, v77, v77
	v_max_f32_e32 v16, v25, v16
	v_sub_f32_e32 v25, v76, v16
	v_mul_f32_e32 v26, 0x3fb8aa3b, v25
	s_waitcnt lgkmcnt(0)
	v_max_f32_e32 v24, v24, v24
	v_max_f32_e32 v17, v17, v24
	ds_bpermute_b32 v24, v74, v17
	v_fma_f32 v27, v25, s20, -v26
	v_rndne_f32_e32 v29, v26
	v_fmac_f32_e32 v27, 0x32a5705f, v25
	v_sub_f32_e32 v26, v26, v29
	s_waitcnt lgkmcnt(0)
	v_max_f32_e32 v24, v24, v24
	v_max_f32_e32 v17, v17, v24
	ds_bpermute_b32 v24, v72, v17
	v_add_f32_e32 v26, v26, v27
	v_cvt_i32_f32_e32 v29, v29
	v_exp_f32_e32 v26, v26
	v_sub_f32_e32 v27, v28, v16
	s_waitcnt lgkmcnt(0)
	v_max_f32_e32 v24, v24, v24
	v_max_f32_e32 v17, v17, v24
	ds_bpermute_b32 v24, v70, v17
	v_ldexp_f32 v26, v26, v29
	v_cmp_ngt_f32_e32 vcc, s21, v25
	v_cndmask_b32_e32 v26, 0, v26, vcc
	v_cmp_nlt_f32_e32 vcc, s41, v25
	s_waitcnt lgkmcnt(0)
	v_max_f32_e32 v24, v24, v24
	v_max_f32_e32 v17, v17, v24
	v_mul_f32_e32 v24, 0x3fb8aa3b, v27
	v_fma_f32 v28, v27, s20, -v24
	v_rndne_f32_e32 v29, v24
	v_fmac_f32_e32 v28, 0x32a5705f, v27
	v_sub_f32_e32 v24, v24, v29
	v_add_f32_e32 v24, v24, v28
	v_exp_f32_e32 v28, v24
	v_cvt_i32_f32_e32 v29, v29
	v_pk_add_f32 v[14:15], v[14:15], v[16:17] neg_lo:[0,1] neg_hi:[0,1]
	v_cndmask_b32_e32 v24, v65, v26, vcc
	v_mul_f32_e32 v26, 0x3fb8aa3b, v15
	v_ldexp_f32 v25, v28, v29
	v_fma_f32 v28, v15, s20, -v26
	v_rndne_f32_e32 v29, v26
	v_fmac_f32_e32 v28, 0x32a5705f, v15
	v_sub_f32_e32 v26, v26, v29
	v_add_f32_e32 v26, v26, v28
	v_exp_f32_e32 v28, v26
	v_cvt_i32_f32_e32 v29, v29
	v_cmp_ngt_f32_e32 vcc, s21, v27
	v_cndmask_b32_e32 v25, 0, v25, vcc
	v_cmp_nlt_f32_e32 vcc, s41, v27
	v_mul_f32_e32 v27, 0x3fb8aa3b, v14
	v_cndmask_b32_e32 v26, v65, v25, vcc
	v_ldexp_f32 v25, v28, v29
	v_fma_f32 v28, v14, s20, -v27
	v_rndne_f32_e32 v29, v27
	v_fmac_f32_e32 v28, 0x32a5705f, v14
	v_sub_f32_e32 v27, v27, v29
	v_add_f32_e32 v27, v27, v28
	v_exp_f32_e32 v27, v27
	v_cvt_i32_f32_e32 v28, v29
	v_cmp_ngt_f32_e32 vcc, s21, v15
	v_cndmask_b32_e32 v25, 0, v25, vcc
	v_cmp_nlt_f32_e32 vcc, s41, v15
	v_cndmask_b32_e32 v29, v65, v25, vcc
	v_ldexp_f32 v15, v27, v28
	v_mov_b32_e32 v28, v17
	v_pk_add_f32 v[70:71], v[78:79], v[28:29] op_sel_hi:[1,0] neg_lo:[0,1] neg_hi:[0,1]
	v_mul_f32_e32 v25, 0x3fb8aa3b, v71
	v_fma_f32 v27, v71, s20, -v25
	v_rndne_f32_e32 v28, v25
	v_fmac_f32_e32 v27, 0x32a5705f, v71
	v_sub_f32_e32 v25, v25, v28
	v_add_f32_e32 v25, v25, v27
	v_exp_f32_e32 v25, v25
	v_cvt_i32_f32_e32 v27, v28
	v_cmp_ngt_f32_e32 vcc, s21, v14
	v_cndmask_b32_e32 v15, 0, v15, vcc
	v_cmp_nlt_f32_e32 vcc, s41, v14
	v_cndmask_b32_e32 v28, v65, v15, vcc
	v_mul_f32_e32 v15, 0x3fb8aa3b, v70
	v_ldexp_f32 v14, v25, v27
	v_fma_f32 v25, v70, s20, -v15
	v_rndne_f32_e32 v27, v15
	v_fmac_f32_e32 v25, 0x32a5705f, v70
	v_sub_f32_e32 v15, v15, v27
	v_add_f32_e32 v15, v15, v25
	v_exp_f32_e32 v15, v15
	v_cvt_i32_f32_e32 v25, v27
	v_cmp_ngt_f32_e32 vcc, s21, v71
	v_cndmask_b32_e32 v14, 0, v14, vcc
	v_cmp_nlt_f32_e32 vcc, s41, v71
	v_cndmask_b32_e32 v27, v65, v14, vcc
	v_ldexp_f32 v14, v15, v25
	v_cmp_ngt_f32_e32 vcc, s21, v70
	v_cndmask_b32_e32 v14, 0, v14, vcc
	v_cmp_nlt_f32_e32 vcc, s41, v70
	v_cndmask_b32_e32 v25, v65, v14, vcc
	v_max_f32_e32 v14, v69, v69
	v_max_f32_e32 v15, v68, v68
	v_max_f32_e32 v15, v15, v14
	v_max_f32_e32 v14, v67, v67
	v_max_f32_e32 v14, v66, v14
	v_pk_add_f32 v[22:23], v[22:23], v[14:15] neg_lo:[0,1] neg_hi:[0,1]
	v_mul_f32_e32 v66, 0x3fb8aa3b, v23
	v_fma_f32 v67, v23, s20, -v66
	v_rndne_f32_e32 v68, v66
	v_fmac_f32_e32 v67, 0x32a5705f, v23
	v_sub_f32_e32 v66, v66, v68
	v_add_f32_e32 v66, v66, v67
	v_exp_f32_e32 v66, v66
	v_cvt_i32_f32_e32 v67, v68
	s_lshl_b64 s[42:43], s[42:43], 2
	s_add_u32 s42, s23, s42
	s_addc_u32 s43, s26, s43
	v_ldexp_f32 v83, v66, v67
	v_mul_f32_e32 v66, 0x3fb8aa3b, v22
	v_fma_f32 v67, v22, s20, -v66
	v_rndne_f32_e32 v84, v66
	v_fmac_f32_e32 v67, 0x32a5705f, v22
	v_sub_f32_e32 v66, v66, v84
	v_add_f32_e32 v66, v66, v67
	v_exp_f32_e32 v85, v66
	v_mov_b32_e32 v66, s43
	v_add_co_u32_e32 v67, vcc, s42, v6
	v_addc_co_u32_e32 v66, vcc, v66, v7, vcc
	v_add_co_u32_e32 v74, vcc, v67, v62
	v_cvt_f16_f32_e32 v70, v29
	v_addc_co_u32_e32 v75, vcc, 0, v66, vcc
	v_mov_b32_e32 v66, s43
	v_add_co_u32_e32 v67, vcc, s42, v8
	v_addc_co_u32_e32 v66, vcc, v66, v9, vcc
	v_add_co_u32_e32 v76, vcc, v67, v62
	s_barrier
	v_pk_mul_f16 v43, v70, v43 op_sel_hi:[0,1]
	v_addc_co_u32_e32 v77, vcc, 0, v66, vcc
	global_load_dwordx4 v[66:69], v[74:75], off
	global_load_dwordx4 v[70:73], v[76:77], off
	v_cmp_ngt_f32_e32 vcc, s21, v23
	v_cndmask_b32_e32 v75, 0, v83, vcc
	v_cmp_nlt_f32_e32 vcc, s41, v23
	v_pk_add_f32 v[20:21], v[20:21], v[14:15] neg_lo:[0,1] neg_hi:[0,1]
	v_cndmask_b32_e32 v23, v65, v75, vcc
	v_mul_f32_e32 v75, 0x3fb8aa3b, v21
	v_fma_f32 v76, v21, s20, -v75
	v_rndne_f32_e32 v77, v75
	v_cvt_i32_f32_e32 v74, v84
	v_fmac_f32_e32 v76, 0x32a5705f, v21
	v_sub_f32_e32 v75, v75, v77
	v_add_f32_e32 v75, v75, v76
	v_exp_f32_e32 v75, v75
	v_cvt_i32_f32_e32 v76, v77
	v_ldexp_f32 v74, v85, v74
	v_cmp_ngt_f32_e32 vcc, s21, v22
	v_cndmask_b32_e32 v74, 0, v74, vcc
	v_cmp_nlt_f32_e32 vcc, s41, v22
	v_cndmask_b32_e32 v22, v65, v74, vcc
	v_ldexp_f32 v74, v75, v76
	v_mul_f32_e32 v75, 0x3fb8aa3b, v20
	v_fma_f32 v76, v20, s20, -v75
	v_rndne_f32_e32 v84, v75
	v_fmac_f32_e32 v76, 0x32a5705f, v20
	v_sub_f32_e32 v75, v75, v84
	v_add_f32_e32 v75, v75, v76
	v_exp_f32_e32 v75, v75
	v_cvt_i32_f32_e32 v76, v84
	v_cmp_ngt_f32_e32 vcc, s21, v21
	v_cndmask_b32_e32 v74, 0, v74, vcc
	v_cmp_nlt_f32_e32 vcc, s41, v21
	v_pk_add_f32 v[18:19], v[18:19], v[14:15] neg_lo:[0,1] neg_hi:[0,1]
	v_cndmask_b32_e32 v21, v65, v74, vcc
	v_ldexp_f32 v74, v75, v76
	v_mul_f32_e32 v75, 0x3fb8aa3b, v19
	v_fma_f32 v76, v19, s20, -v75
	v_rndne_f32_e32 v84, v75
	v_fmac_f32_e32 v76, 0x32a5705f, v19
	v_sub_f32_e32 v75, v75, v84
	v_add_f32_e32 v75, v75, v76
	v_exp_f32_e32 v75, v75
	v_cvt_i32_f32_e32 v76, v84
	v_cmp_ngt_f32_e32 vcc, s21, v20
	v_cndmask_b32_e32 v74, 0, v74, vcc
	v_cmp_nlt_f32_e32 vcc, s41, v20
	v_cndmask_b32_e32 v20, v65, v74, vcc
	v_ldexp_f32 v74, v75, v76
	v_mul_f32_e32 v75, 0x3fb8aa3b, v18
	v_fma_f32 v76, v18, s20, -v75
	v_rndne_f32_e32 v85, v75
	v_fmac_f32_e32 v76, 0x32a5705f, v18
	v_sub_f32_e32 v75, v75, v85
	v_add_f32_e32 v75, v75, v76
	v_exp_f32_e32 v76, v75
	v_cvt_i32_f32_e32 v85, v85
	v_cmp_ngt_f32_e32 vcc, s21, v19
	v_cvt_f16_f32_e32 v80, v24
	v_cvt_f16_f32_e32 v81, v26
	;; [unrolled: 1-line block ×7, first 2 shown]
	v_cndmask_b32_e32 v74, 0, v74, vcc
	v_cmp_nlt_f32_e32 vcc, s41, v19
	v_ldexp_f32 v19, v76, v85
	v_cvt_f16_f32_e32 v85, v21
	v_cndmask_b32_e32 v75, v65, v74, vcc
	v_cmp_ngt_f32_e32 vcc, s21, v18
	v_cndmask_b32_e32 v19, 0, v19, vcc
	v_cmp_nlt_f32_e32 vcc, s41, v18
	v_cndmask_b32_e32 v74, v65, v19, vcc
	v_pk_add_f32 v[18:19], v[24:25], v[26:27]
	v_pk_add_f32 v[22:23], v[22:23], v[20:21]
	v_pk_fma_f32 v[12:13], v[12:13], v[28:29], v[18:19]
	v_pack_b32_f16 v19, v80, v79
	v_pack_b32_f16 v18, v83, v77
	;; [unrolled: 1-line block ×4, first 2 shown]
	ds_write2_b64 v64, v[18:19], v[20:21] offset1:32
	s_waitcnt vmcnt(1)
	ds_write_b128 v60, v[66:69]
	s_waitcnt vmcnt(0)
	ds_write_b128 v61, v[70:73]
	s_waitcnt lgkmcnt(0)
	s_barrier
	ds_read2_b32 v[70:71], v40 offset1:32
	ds_read_b128 v[18:21], v59
	v_cvt_f16_f32_e32 v86, v75
	v_cvt_f16_f32_e32 v78, v28
	;; [unrolled: 1-line block ×3, first 2 shown]
	v_pk_fma_f32 v[10:11], v[10:11], v[74:75], v[22:23]
	s_waitcnt lgkmcnt(0)
	v_pk_mul_f16 v72, v70, v18 op_sel_hi:[1,0]
	v_pk_mul_f16 v18, v70, v18 op_sel:[0,1]
	v_pk_fma_f16 v42, v86, v42, v18 op_sel_hi:[0,1,1]
	v_pk_mul_f16 v18, v70, v19 op_sel_hi:[1,0]
	ds_read_b128 v[22:25], v59 offset:16
	ds_read_b128 v[26:29], v59 offset:32
	ds_read_b128 v[66:69], v59 offset:48
	v_pk_fma_f16 v41, v78, v41, v18 op_sel_hi:[0,1,1]
	v_pk_fma_f16 v43, v70, v19, v43 op_sel:[0,1,0]
	ds_read2_b32 v[18:19], v40 offset0:64 offset1:96
	v_pk_fma_f16 v44, v76, v44, v72 op_sel_hi:[0,1,1]
	v_pk_fma_f16 v44, v71, v20, v44 op_sel_hi:[1,0,1]
	v_pk_fma_f16 v20, v71, v20, v42 op_sel:[0,1,0]
	v_pk_fma_f16 v41, v71, v21, v41 op_sel_hi:[1,0,1]
	v_pk_fma_f16 v21, v71, v21, v43 op_sel:[0,1,0]
	s_waitcnt lgkmcnt(0)
	v_pk_fma_f16 v42, v18, v22, v44 op_sel_hi:[1,0,1]
	v_pk_fma_f16 v22, v18, v22, v20 op_sel:[0,1,0]
	v_pk_fma_f16 v41, v18, v23, v41 op_sel_hi:[1,0,1]
	v_pk_fma_f16 v18, v18, v23, v21 op_sel:[0,1,0]
	ds_read2_b32 v[20:21], v40 offset0:128 offset1:160
	v_pk_fma_f16 v23, v19, v24, v42 op_sel_hi:[1,0,1]
	v_pk_fma_f16 v22, v19, v24, v22 op_sel:[0,1,0]
	v_pk_fma_f16 v24, v19, v25, v41 op_sel_hi:[1,0,1]
	v_pk_fma_f16 v18, v19, v25, v18 op_sel:[0,1,0]
	s_waitcnt lgkmcnt(0)
	v_pk_fma_f16 v19, v20, v26, v23 op_sel_hi:[1,0,1]
	v_pk_fma_f16 v25, v20, v26, v22 op_sel:[0,1,0]
	ds_read2_b32 v[22:23], v40 offset0:192 offset1:224
	v_pk_fma_f16 v24, v20, v27, v24 op_sel_hi:[1,0,1]
	v_pk_fma_f16 v18, v20, v27, v18 op_sel:[0,1,0]
	v_pk_fma_f16 v19, v21, v28, v19 op_sel_hi:[1,0,1]
	v_pk_fma_f16 v20, v21, v28, v25 op_sel:[0,1,0]
	;; [unrolled: 2-line block ×3, first 2 shown]
	s_waitcnt lgkmcnt(0)
	v_pk_fma_f16 v19, v22, v66, v19 op_sel_hi:[1,0,1]
	v_add_u32_e32 v41, 0x400, v40
	v_pk_fma_f16 v25, v22, v66, v20 op_sel:[0,1,0]
	v_pk_fma_f16 v24, v22, v67, v24 op_sel_hi:[1,0,1]
	v_pk_fma_f16 v22, v22, v67, v18 op_sel:[0,1,0]
	v_pk_fma_f16 v28, v23, v68, v19 op_sel_hi:[1,0,1]
	ds_read2_b32 v[26:27], v41 offset1:32
	ds_read_b128 v[18:21], v59 offset:64
	v_pk_fma_f16 v29, v23, v68, v25 op_sel:[0,1,0]
	v_pk_fma_f16 v42, v23, v69, v24 op_sel_hi:[1,0,1]
	v_pk_fma_f16 v43, v23, v69, v22 op_sel:[0,1,0]
	ds_read_b128 v[22:25], v59 offset:80
	s_waitcnt lgkmcnt(1)
	v_pk_fma_f16 v44, v26, v18, v28 op_sel_hi:[1,0,1]
	v_pk_fma_f16 v18, v26, v18, v29 op_sel:[0,1,0]
	ds_read2_b32 v[28:29], v41 offset0:64 offset1:96
	v_pk_fma_f16 v42, v26, v19, v42 op_sel_hi:[1,0,1]
	v_pk_fma_f16 v19, v26, v19, v43 op_sel:[0,1,0]
	v_pk_fma_f16 v26, v27, v20, v44 op_sel_hi:[1,0,1]
	v_pk_fma_f16 v18, v27, v20, v18 op_sel:[0,1,0]
	;; [unrolled: 2-line block ×3, first 2 shown]
	s_waitcnt lgkmcnt(0)
	v_pk_fma_f16 v21, v28, v22, v26 op_sel_hi:[1,0,1]
	v_pk_fma_f16 v22, v28, v22, v18 op_sel:[0,1,0]
	v_pk_fma_f16 v42, v28, v23, v20 op_sel_hi:[1,0,1]
	v_pk_fma_f16 v23, v28, v23, v19 op_sel:[0,1,0]
	v_pk_fma_f16 v28, v29, v24, v21 op_sel_hi:[1,0,1]
	ds_read2_b32 v[26:27], v41 offset0:128 offset1:160
	ds_read_b128 v[18:21], v59 offset:96
	v_pk_fma_f16 v43, v29, v24, v22 op_sel:[0,1,0]
	v_pk_fma_f16 v42, v29, v25, v42 op_sel_hi:[1,0,1]
	v_pk_fma_f16 v29, v29, v25, v23 op_sel:[0,1,0]
	ds_read_b128 v[22:25], v59 offset:112
	s_waitcnt lgkmcnt(1)
	v_pk_fma_f16 v44, v26, v18, v28 op_sel_hi:[1,0,1]
	v_pk_fma_f16 v42, v26, v19, v42 op_sel_hi:[1,0,1]
	v_pk_fma_f16 v19, v26, v19, v29 op_sel:[0,1,0]
	ds_read2_b32 v[28:29], v41 offset0:192 offset1:224
	v_pk_fma_f16 v18, v26, v18, v43 op_sel:[0,1,0]
	v_pk_fma_f16 v26, v27, v20, v44 op_sel_hi:[1,0,1]
	v_pk_fma_f16 v18, v27, v20, v18 op_sel:[0,1,0]
	v_pk_fma_f16 v20, v27, v21, v42 op_sel_hi:[1,0,1]
	v_pk_fma_f16 v19, v27, v21, v19 op_sel:[0,1,0]
	s_waitcnt lgkmcnt(0)
	v_pk_fma_f16 v21, v28, v22, v26 op_sel_hi:[1,0,1]
	v_add_u32_e32 v42, 0x800, v40
	v_pk_fma_f16 v22, v28, v22, v18 op_sel:[0,1,0]
	v_pk_fma_f16 v41, v28, v23, v20 op_sel_hi:[1,0,1]
	v_pk_fma_f16 v23, v28, v23, v19 op_sel:[0,1,0]
	v_pk_fma_f16 v28, v29, v24, v21 op_sel_hi:[1,0,1]
	ds_read2_b32 v[26:27], v42 offset1:32
	ds_read_b128 v[18:21], v59 offset:128
	v_pk_fma_f16 v43, v29, v24, v22 op_sel:[0,1,0]
	v_pk_fma_f16 v41, v29, v25, v41 op_sel_hi:[1,0,1]
	v_pk_fma_f16 v29, v29, v25, v23 op_sel:[0,1,0]
	ds_read_b128 v[22:25], v59 offset:144
	s_waitcnt lgkmcnt(1)
	v_pk_fma_f16 v44, v26, v18, v28 op_sel_hi:[1,0,1]
	v_pk_fma_f16 v41, v26, v19, v41 op_sel_hi:[1,0,1]
	v_pk_fma_f16 v19, v26, v19, v29 op_sel:[0,1,0]
	ds_read2_b32 v[28:29], v42 offset0:64 offset1:96
	v_pk_fma_f16 v18, v26, v18, v43 op_sel:[0,1,0]
	v_pk_fma_f16 v26, v27, v20, v44 op_sel_hi:[1,0,1]
	v_pk_fma_f16 v18, v27, v20, v18 op_sel:[0,1,0]
	v_pk_fma_f16 v20, v27, v21, v41 op_sel_hi:[1,0,1]
	v_pk_fma_f16 v19, v27, v21, v19 op_sel:[0,1,0]
	s_waitcnt lgkmcnt(0)
	v_pk_fma_f16 v21, v28, v22, v26 op_sel_hi:[1,0,1]
	v_pk_fma_f16 v22, v28, v22, v18 op_sel:[0,1,0]
	v_pk_fma_f16 v41, v28, v23, v20 op_sel_hi:[1,0,1]
	v_pk_fma_f16 v23, v28, v23, v19 op_sel:[0,1,0]
	v_pk_fma_f16 v28, v29, v24, v21 op_sel_hi:[1,0,1]
	ds_read2_b32 v[26:27], v42 offset0:128 offset1:160
	ds_read_b128 v[18:21], v59 offset:160
	v_pk_fma_f16 v43, v29, v24, v22 op_sel:[0,1,0]
	v_pk_fma_f16 v41, v29, v25, v41 op_sel_hi:[1,0,1]
	v_pk_fma_f16 v29, v29, v25, v23 op_sel:[0,1,0]
	ds_read_b128 v[22:25], v59 offset:176
	s_waitcnt lgkmcnt(1)
	v_pk_fma_f16 v44, v26, v18, v28 op_sel_hi:[1,0,1]
	v_pk_fma_f16 v41, v26, v19, v41 op_sel_hi:[1,0,1]
	v_pk_fma_f16 v19, v26, v19, v29 op_sel:[0,1,0]
	ds_read2_b32 v[28:29], v42 offset0:192 offset1:224
	v_pk_fma_f16 v18, v26, v18, v43 op_sel:[0,1,0]
	v_pk_fma_f16 v26, v27, v20, v44 op_sel_hi:[1,0,1]
	v_pk_fma_f16 v18, v27, v20, v18 op_sel:[0,1,0]
	v_pk_fma_f16 v20, v27, v21, v41 op_sel_hi:[1,0,1]
	v_pk_fma_f16 v19, v27, v21, v19 op_sel:[0,1,0]
	s_waitcnt lgkmcnt(0)
	v_pk_fma_f16 v21, v28, v22, v26 op_sel_hi:[1,0,1]
	v_add_u32_e32 v42, 0xc00, v40
	v_pk_fma_f16 v22, v28, v22, v18 op_sel:[0,1,0]
	v_pk_fma_f16 v41, v28, v23, v20 op_sel_hi:[1,0,1]
	v_pk_fma_f16 v23, v28, v23, v19 op_sel:[0,1,0]
	v_pk_fma_f16 v28, v29, v24, v21 op_sel_hi:[1,0,1]
	ds_read2_b32 v[26:27], v42 offset1:32
	ds_read_b128 v[18:21], v59 offset:192
	v_pk_fma_f16 v43, v29, v24, v22 op_sel:[0,1,0]
	v_pk_fma_f16 v41, v29, v25, v41 op_sel_hi:[1,0,1]
	v_pk_fma_f16 v29, v29, v25, v23 op_sel:[0,1,0]
	ds_read_b128 v[22:25], v59 offset:208
	s_waitcnt lgkmcnt(1)
	v_pk_fma_f16 v44, v26, v18, v28 op_sel_hi:[1,0,1]
	v_pk_fma_f16 v41, v26, v19, v41 op_sel_hi:[1,0,1]
	v_pk_fma_f16 v19, v26, v19, v29 op_sel:[0,1,0]
	ds_read2_b32 v[28:29], v42 offset0:64 offset1:96
	v_pk_fma_f16 v18, v26, v18, v43 op_sel:[0,1,0]
	v_pk_fma_f16 v26, v27, v20, v44 op_sel_hi:[1,0,1]
	v_pk_fma_f16 v18, v27, v20, v18 op_sel:[0,1,0]
	v_pk_fma_f16 v20, v27, v21, v41 op_sel_hi:[1,0,1]
	v_pk_fma_f16 v19, v27, v21, v19 op_sel:[0,1,0]
	;; [unrolled: 45-line block ×6, first 2 shown]
	s_waitcnt lgkmcnt(0)
	v_pk_fma_f16 v21, v28, v22, v26 op_sel_hi:[1,0,1]
	v_pk_fma_f16 v22, v28, v22, v18 op_sel:[0,1,0]
	v_pk_fma_f16 v41, v28, v23, v20 op_sel_hi:[1,0,1]
	v_pk_fma_f16 v23, v28, v23, v19 op_sel:[0,1,0]
	v_pk_fma_f16 v28, v29, v24, v21 op_sel_hi:[1,0,1]
	ds_read2_b32 v[26:27], v42 offset0:128 offset1:160
	ds_read_b128 v[18:21], v59 offset:480
	v_pk_fma_f16 v43, v29, v24, v22 op_sel:[0,1,0]
	v_pk_fma_f16 v41, v29, v25, v41 op_sel_hi:[1,0,1]
	v_pk_fma_f16 v29, v29, v25, v23 op_sel:[0,1,0]
	ds_read_b128 v[22:25], v59 offset:496
	s_waitcnt lgkmcnt(1)
	v_pk_fma_f16 v28, v26, v18, v28 op_sel_hi:[1,0,1]
	v_pk_fma_f16 v43, v26, v18, v43 op_sel:[0,1,0]
	v_pk_fma_f16 v41, v26, v19, v41 op_sel_hi:[1,0,1]
	v_pk_fma_f16 v26, v26, v19, v29 op_sel:[0,1,0]
	ds_read2_b32 v[18:19], v42 offset0:192 offset1:224
	s_waitcnt lgkmcnt(0)
	s_barrier
	s_load_dword s42, s[12:13], 0x4
	v_pk_fma_f16 v28, v27, v20, v28 op_sel_hi:[1,0,1]
	v_pk_fma_f16 v20, v27, v20, v43 op_sel:[0,1,0]
	v_pk_fma_f16 v29, v27, v21, v41 op_sel_hi:[1,0,1]
	v_pk_fma_f16 v21, v27, v21, v26 op_sel:[0,1,0]
	s_waitcnt lgkmcnt(0)
	s_lshl_b32 s42, s42, 6
	v_pk_fma_f16 v26, v18, v22, v28 op_sel_hi:[1,0,1]
	v_pk_fma_f16 v20, v18, v22, v20 op_sel:[0,1,0]
	v_pk_fma_f16 v22, v18, v23, v29 op_sel_hi:[1,0,1]
	v_pk_fma_f16 v18, v18, v23, v21 op_sel:[0,1,0]
	s_add_i32 s27, s42, s27
	v_pk_fma_f16 v44, v19, v24, v26 op_sel_hi:[1,0,1]
	v_pk_fma_f16 v42, v19, v24, v20 op_sel:[0,1,0]
	v_pk_fma_f16 v41, v19, v25, v22 op_sel_hi:[1,0,1]
	s_cmp_lt_i32 s27, s17
	v_pk_fma_f16 v43, v19, v25, v18 op_sel:[0,1,0]
	s_cbranch_scc0 .LBB56_28
; %bb.26:                               ;   in Loop: Header=BB56_8 Depth=1
	v_mov_b32_e32 v18, v14
	v_mov_b32_e32 v19, v15
	;; [unrolled: 1-line block ×4, first 2 shown]
	s_branch .LBB56_8
.LBB56_27:
	s_mov_b32 s49, s48
	s_mov_b32 s50, s48
	s_mov_b32 s51, s48
	v_pk_mov_b32 v[14:15], s[48:49], s[48:49] op_sel:[0,1]
	v_pk_mov_b32 v[16:17], s[50:51], s[50:51] op_sel:[0,1]
	v_mov_b32_e32 v12, v13
	v_mov_b32_e32 v11, v13
	;; [unrolled: 1-line block ×6, first 2 shown]
.LBB56_28:
	v_lshlrev_b32_e32 v9, 1, v36
	s_cmp_gt_i32 s46, s27
	s_cbranch_scc1 .LBB56_30
; %bb.29:
	v_mbcnt_hi_u32_b32 v25, -1, v50
	v_and_b32_e32 v2, 0x60, v25
	v_add_u32_e32 v26, 32, v2
	v_xor_b32_e32 v29, 16, v25
	v_xor_b32_e32 v52, 8, v25
	v_xor_b32_e32 v53, 4, v25
	v_xor_b32_e32 v28, 2, v25
	v_xor_b32_e32 v27, 1, v25
	s_cbranch_execz .LBB56_31
	s_branch .LBB56_71
.LBB56_30:
                                        ; implicit-def: $vgpr25
                                        ; implicit-def: $vgpr26
                                        ; implicit-def: $vgpr29
                                        ; implicit-def: $vgpr52
                                        ; implicit-def: $vgpr53
                                        ; implicit-def: $vgpr28
                                        ; implicit-def: $vgpr27
.LBB56_31:
	s_mul_hi_i32 s9, s27, s14
	s_mul_i32 s8, s27, s14
	v_add_u32_e32 v24, v1, v37
	s_sub_i32 s41, s46, s27
	s_lshl_b64 s[8:9], s[8:9], 2
	v_mul_lo_u32 v6, s14, v24
	s_add_u32 s12, s15, s8
	v_ashrrev_i32_e32 v7, 31, v6
	s_addc_u32 s13, s16, s9
	v_and_b32_e32 v1, 28, v40
	v_lshlrev_b64 v[2:3], 2, v[6:7]
	v_lshlrev_b32_e32 v22, 2, v1
	v_mov_b32_e32 v1, s13
	v_add_co_u32_e32 v2, vcc, s12, v2
	v_addc_co_u32_e32 v1, vcc, v1, v3, vcc
	s_mov_b64 s[8:9], src_private_base
	v_add_co_u32_e32 v2, vcc, v2, v22
	v_addc_co_u32_e32 v1, vcc, 0, v1, vcc
	v_mov_b32_e32 v8, s9
	v_cmp_gt_i32_e64 s[8:9], s41, v24
	v_mov_b32_e32 v25, 0
	v_cndmask_b32_e64 v3, v8, v1, s[8:9]
	v_mov_b32_e32 v1, 0
	buffer_store_dword v25, off, s[0:3], 0
	buffer_store_dword v25, off, s[0:3], 0 offset:8
	buffer_store_dword v25, off, s[0:3], 0 offset:4
	;; [unrolled: 1-line block ×3, first 2 shown]
	v_cndmask_b32_e64 v2, v1, v2, s[8:9]
	flat_load_dwordx4 v[2:5], v[2:3]
	v_lshl_add_u32 v6, s14, 5, v6
	v_ashrrev_i32_e32 v7, 31, v6
	v_lshlrev_b64 v[6:7], 2, v[6:7]
	v_mov_b32_e32 v18, s13
	v_add_co_u32_e32 v6, vcc, s12, v6
	v_addc_co_u32_e32 v7, vcc, v18, v7, vcc
	s_movk_i32 s15, 0x90
	v_add_u32_e32 v23, 32, v24
	v_add_co_u32_e32 v6, vcc, v6, v22
	v_mad_u32_u24 v27, v24, s15, v22
	v_addc_co_u32_e32 v7, vcc, 0, v7, vcc
	v_cmp_gt_i32_e64 s[18:19], s41, v23
	v_cndmask_b32_e64 v7, v8, v7, s[18:19]
	v_cndmask_b32_e64 v6, v1, v6, s[18:19]
	buffer_store_dword v25, off, s[0:3], 0
	buffer_store_dword v25, off, s[0:3], 0 offset:8
	buffer_store_dword v25, off, s[0:3], 0 offset:4
	;; [unrolled: 1-line block ×3, first 2 shown]
	v_mul_u32_u24_e32 v26, 0x90, v36
	v_mov_b32_e32 v1, 0
	v_mov_b32_e32 v8, 0
	s_cmp_lg_u64 s[44:45], 0
	s_cselect_b64 s[12:13], -1, 0
	v_cndmask_b32_e64 v29, 0, 1, s[12:13]
	v_add_u32_e32 v28, s27, v51
	v_cmp_gt_i32_e64 s[14:15], s41, v36
	v_cmp_ne_u32_e64 s[12:13], 1, v29
	s_waitcnt vmcnt(0) lgkmcnt(0)
	ds_write_b128 v27, v[2:5]
	flat_load_dwordx4 v[18:21], v[6:7]
	v_mov_b32_e32 v4, 0
	v_mov_b32_e32 v2, 0
	;; [unrolled: 1-line block ×6, first 2 shown]
	s_waitcnt vmcnt(0) lgkmcnt(0)
	ds_write_b128 v27, v[18:21] offset:4608
	s_waitcnt lgkmcnt(0)
	s_barrier
	ds_read_b128 v[18:21], v39 offset:13312
	ds_read_b128 v[52:55], v26
	ds_read_b128 v[56:59], v26 offset:4608
	ds_read_b128 v[60:63], v39 offset:13440
	;; [unrolled: 1-line block ×4, first 2 shown]
	s_waitcnt lgkmcnt(4)
	;;#ASMSTART
	v_dot2_f32_f16 v4, v52, v18, v4
	;;#ASMEND
	;;#ASMSTART
	v_dot2_f32_f16 v4, v53, v19, v4
	;;#ASMEND
	;;#ASMSTART
	v_dot2_f32_f16 v4, v54, v20, v4
	;;#ASMEND
	;;#ASMSTART
	v_dot2_f32_f16 v4, v55, v21, v4
	;;#ASMEND
	s_waitcnt lgkmcnt(2)
	;;#ASMSTART
	v_dot2_f32_f16 v1, v52, v60, v1
	;;#ASMEND
	;;#ASMSTART
	v_dot2_f32_f16 v1, v53, v61, v1
	;;#ASMEND
	;;#ASMSTART
	v_dot2_f32_f16 v1, v54, v62, v1
	;;#ASMEND
	;;#ASMSTART
	v_dot2_f32_f16 v1, v55, v63, v1
	;;#ASMEND
	s_waitcnt lgkmcnt(1)
	;;#ASMSTART
	v_dot2_f32_f16 v2, v52, v64, v2
	;;#ASMEND
	;;#ASMSTART
	v_dot2_f32_f16 v2, v53, v65, v2
	;;#ASMEND
	;;#ASMSTART
	v_dot2_f32_f16 v2, v54, v66, v2
	;;#ASMEND
	;;#ASMSTART
	v_dot2_f32_f16 v2, v55, v67, v2
	;;#ASMEND
	s_waitcnt lgkmcnt(0)
	;;#ASMSTART
	v_dot2_f32_f16 v3, v52, v68, v3
	;;#ASMEND
	;;#ASMSTART
	v_dot2_f32_f16 v3, v53, v69, v3
	;;#ASMEND
	;;#ASMSTART
	v_dot2_f32_f16 v3, v54, v70, v3
	;;#ASMEND
	;;#ASMSTART
	v_dot2_f32_f16 v3, v55, v71, v3
	;;#ASMEND
	;;#ASMSTART
	v_dot2_f32_f16 v8, v56, v18, v8
	;;#ASMEND
	;;#ASMSTART
	v_dot2_f32_f16 v8, v57, v19, v8
	;;#ASMEND
	;; [unrolled: 3-line block ×16, first 2 shown]
	ds_read_b128 v[18:21], v39 offset:13328
	ds_read_b128 v[52:55], v26 offset:16
	;; [unrolled: 1-line block ×6, first 2 shown]
	s_waitcnt lgkmcnt(4)
	;;#ASMSTART
	v_dot2_f32_f16 v4, v52, v18, v4
	;;#ASMEND
	;;#ASMSTART
	v_dot2_f32_f16 v4, v53, v19, v4
	;;#ASMEND
	;;#ASMSTART
	v_dot2_f32_f16 v4, v54, v20, v4
	;;#ASMEND
	;;#ASMSTART
	v_dot2_f32_f16 v4, v55, v21, v4
	;;#ASMEND
	s_waitcnt lgkmcnt(2)
	;;#ASMSTART
	v_dot2_f32_f16 v1, v52, v60, v1
	;;#ASMEND
	;;#ASMSTART
	v_dot2_f32_f16 v1, v53, v61, v1
	;;#ASMEND
	;;#ASMSTART
	v_dot2_f32_f16 v1, v54, v62, v1
	;;#ASMEND
	;;#ASMSTART
	v_dot2_f32_f16 v1, v55, v63, v1
	;;#ASMEND
	;; [unrolled: 13-line block ×4, first 2 shown]
	;;#ASMSTART
	v_dot2_f32_f16 v8, v56, v18, v8
	;;#ASMEND
	;;#ASMSTART
	v_dot2_f32_f16 v8, v57, v19, v8
	;;#ASMEND
	;; [unrolled: 3-line block ×16, first 2 shown]
	ds_read_b128 v[18:21], v39 offset:13344
	ds_read_b128 v[52:55], v26 offset:32
	;; [unrolled: 1-line block ×6, first 2 shown]
	s_waitcnt lgkmcnt(4)
	;;#ASMSTART
	v_dot2_f32_f16 v4, v52, v18, v4
	;;#ASMEND
	;;#ASMSTART
	v_dot2_f32_f16 v4, v53, v19, v4
	;;#ASMEND
	;;#ASMSTART
	v_dot2_f32_f16 v4, v54, v20, v4
	;;#ASMEND
	;;#ASMSTART
	v_dot2_f32_f16 v4, v55, v21, v4
	;;#ASMEND
	s_waitcnt lgkmcnt(2)
	;;#ASMSTART
	v_dot2_f32_f16 v1, v52, v60, v1
	;;#ASMEND
	;;#ASMSTART
	v_dot2_f32_f16 v1, v53, v61, v1
	;;#ASMEND
	;;#ASMSTART
	v_dot2_f32_f16 v1, v54, v62, v1
	;;#ASMEND
	;;#ASMSTART
	v_dot2_f32_f16 v1, v55, v63, v1
	;;#ASMEND
	;; [unrolled: 13-line block ×4, first 2 shown]
	;;#ASMSTART
	v_dot2_f32_f16 v8, v56, v18, v8
	;;#ASMEND
	;;#ASMSTART
	v_dot2_f32_f16 v8, v57, v19, v8
	;;#ASMEND
	;;#ASMSTART
	v_dot2_f32_f16 v8, v58, v20, v8
	;;#ASMEND
	;;#ASMSTART
	v_dot2_f32_f16 v8, v59, v21, v8
	;;#ASMEND
	;;#ASMSTART
	v_dot2_f32_f16 v5, v56, v60, v5
	;;#ASMEND
	;;#ASMSTART
	v_dot2_f32_f16 v5, v57, v61, v5
	;;#ASMEND
	;;#ASMSTART
	v_dot2_f32_f16 v5, v58, v62, v5
	;;#ASMEND
	;;#ASMSTART
	v_dot2_f32_f16 v5, v59, v63, v5
	;;#ASMEND
	;;#ASMSTART
	v_dot2_f32_f16 v6, v56, v64, v6
	;;#ASMEND
	;;#ASMSTART
	v_dot2_f32_f16 v6, v57, v65, v6
	;;#ASMEND
	;;#ASMSTART
	v_dot2_f32_f16 v6, v58, v66, v6
	;;#ASMEND
	;;#ASMSTART
	v_dot2_f32_f16 v6, v59, v67, v6
	;;#ASMEND
	;;#ASMSTART
	v_dot2_f32_f16 v7, v56, v68, v7
	;;#ASMEND
	;;#ASMSTART
	v_dot2_f32_f16 v7, v57, v69, v7
	;;#ASMEND
	;;#ASMSTART
	v_dot2_f32_f16 v7, v58, v70, v7
	;;#ASMEND
	;;#ASMSTART
	v_dot2_f32_f16 v7, v59, v71, v7
	;;#ASMEND
	ds_read_b128 v[18:21], v39 offset:13360
	ds_read_b128 v[52:55], v26 offset:48
	;; [unrolled: 1-line block ×6, first 2 shown]
	s_waitcnt lgkmcnt(4)
	;;#ASMSTART
	v_dot2_f32_f16 v4, v52, v18, v4
	;;#ASMEND
	;;#ASMSTART
	v_dot2_f32_f16 v4, v53, v19, v4
	;;#ASMEND
	;;#ASMSTART
	v_dot2_f32_f16 v4, v54, v20, v4
	;;#ASMEND
	;;#ASMSTART
	v_dot2_f32_f16 v4, v55, v21, v4
	;;#ASMEND
	s_waitcnt lgkmcnt(2)
	;;#ASMSTART
	v_dot2_f32_f16 v1, v52, v60, v1
	;;#ASMEND
	;;#ASMSTART
	v_dot2_f32_f16 v1, v53, v61, v1
	;;#ASMEND
	;;#ASMSTART
	v_dot2_f32_f16 v1, v54, v62, v1
	;;#ASMEND
	;;#ASMSTART
	v_dot2_f32_f16 v1, v55, v63, v1
	;;#ASMEND
	;; [unrolled: 13-line block ×4, first 2 shown]
	;;#ASMSTART
	v_dot2_f32_f16 v8, v56, v18, v8
	;;#ASMEND
	;;#ASMSTART
	v_dot2_f32_f16 v8, v57, v19, v8
	;;#ASMEND
	;;#ASMSTART
	v_dot2_f32_f16 v8, v58, v20, v8
	;;#ASMEND
	;;#ASMSTART
	v_dot2_f32_f16 v8, v59, v21, v8
	;;#ASMEND
	;;#ASMSTART
	v_dot2_f32_f16 v5, v56, v60, v5
	;;#ASMEND
	;;#ASMSTART
	v_dot2_f32_f16 v5, v57, v61, v5
	;;#ASMEND
	;;#ASMSTART
	v_dot2_f32_f16 v5, v58, v62, v5
	;;#ASMEND
	;;#ASMSTART
	v_dot2_f32_f16 v5, v59, v63, v5
	;;#ASMEND
	;;#ASMSTART
	v_dot2_f32_f16 v6, v56, v64, v6
	;;#ASMEND
	;;#ASMSTART
	v_dot2_f32_f16 v6, v57, v65, v6
	;;#ASMEND
	;;#ASMSTART
	v_dot2_f32_f16 v6, v58, v66, v6
	;;#ASMEND
	;;#ASMSTART
	v_dot2_f32_f16 v6, v59, v67, v6
	;;#ASMEND
	;;#ASMSTART
	v_dot2_f32_f16 v7, v56, v68, v7
	;;#ASMEND
	;;#ASMSTART
	v_dot2_f32_f16 v7, v57, v69, v7
	;;#ASMEND
	;;#ASMSTART
	v_dot2_f32_f16 v7, v58, v70, v7
	;;#ASMEND
	;;#ASMSTART
	v_dot2_f32_f16 v7, v59, v71, v7
	;;#ASMEND
	ds_read_b128 v[18:21], v39 offset:13376
	ds_read_b128 v[52:55], v26 offset:64
	;; [unrolled: 1-line block ×6, first 2 shown]
	s_waitcnt lgkmcnt(4)
	;;#ASMSTART
	v_dot2_f32_f16 v4, v52, v18, v4
	;;#ASMEND
	;;#ASMSTART
	v_dot2_f32_f16 v4, v53, v19, v4
	;;#ASMEND
	;;#ASMSTART
	v_dot2_f32_f16 v4, v54, v20, v4
	;;#ASMEND
	;;#ASMSTART
	v_dot2_f32_f16 v4, v55, v21, v4
	;;#ASMEND
	s_waitcnt lgkmcnt(2)
	;;#ASMSTART
	v_dot2_f32_f16 v1, v52, v60, v1
	;;#ASMEND
	;;#ASMSTART
	v_dot2_f32_f16 v1, v53, v61, v1
	;;#ASMEND
	;;#ASMSTART
	v_dot2_f32_f16 v1, v54, v62, v1
	;;#ASMEND
	;;#ASMSTART
	v_dot2_f32_f16 v1, v55, v63, v1
	;;#ASMEND
	;; [unrolled: 13-line block ×4, first 2 shown]
	;;#ASMSTART
	v_dot2_f32_f16 v8, v56, v18, v8
	;;#ASMEND
	;;#ASMSTART
	v_dot2_f32_f16 v8, v57, v19, v8
	;;#ASMEND
	;; [unrolled: 3-line block ×16, first 2 shown]
	ds_read_b128 v[18:21], v39 offset:13392
	ds_read_b128 v[52:55], v26 offset:80
	;; [unrolled: 1-line block ×6, first 2 shown]
	s_waitcnt lgkmcnt(4)
	;;#ASMSTART
	v_dot2_f32_f16 v4, v52, v18, v4
	;;#ASMEND
	;;#ASMSTART
	v_dot2_f32_f16 v4, v53, v19, v4
	;;#ASMEND
	;;#ASMSTART
	v_dot2_f32_f16 v4, v54, v20, v4
	;;#ASMEND
	;;#ASMSTART
	v_dot2_f32_f16 v4, v55, v21, v4
	;;#ASMEND
	s_waitcnt lgkmcnt(2)
	;;#ASMSTART
	v_dot2_f32_f16 v1, v52, v60, v1
	;;#ASMEND
	;;#ASMSTART
	v_dot2_f32_f16 v1, v53, v61, v1
	;;#ASMEND
	;;#ASMSTART
	v_dot2_f32_f16 v1, v54, v62, v1
	;;#ASMEND
	;;#ASMSTART
	v_dot2_f32_f16 v1, v55, v63, v1
	;;#ASMEND
	;; [unrolled: 13-line block ×4, first 2 shown]
	;;#ASMSTART
	v_dot2_f32_f16 v8, v56, v18, v8
	;;#ASMEND
	;;#ASMSTART
	v_dot2_f32_f16 v8, v57, v19, v8
	;;#ASMEND
	;; [unrolled: 3-line block ×16, first 2 shown]
	ds_read_b128 v[18:21], v39 offset:13408
	ds_read_b128 v[52:55], v26 offset:96
	;; [unrolled: 1-line block ×6, first 2 shown]
	s_waitcnt lgkmcnt(4)
	;;#ASMSTART
	v_dot2_f32_f16 v4, v52, v18, v4
	;;#ASMEND
	;;#ASMSTART
	v_dot2_f32_f16 v4, v53, v19, v4
	;;#ASMEND
	;;#ASMSTART
	v_dot2_f32_f16 v4, v54, v20, v4
	;;#ASMEND
	;;#ASMSTART
	v_dot2_f32_f16 v4, v55, v21, v4
	;;#ASMEND
	s_waitcnt lgkmcnt(2)
	;;#ASMSTART
	v_dot2_f32_f16 v1, v52, v60, v1
	;;#ASMEND
	;;#ASMSTART
	v_dot2_f32_f16 v1, v53, v61, v1
	;;#ASMEND
	;;#ASMSTART
	v_dot2_f32_f16 v1, v54, v62, v1
	;;#ASMEND
	;;#ASMSTART
	v_dot2_f32_f16 v1, v55, v63, v1
	;;#ASMEND
	;; [unrolled: 13-line block ×4, first 2 shown]
	;;#ASMSTART
	v_dot2_f32_f16 v8, v56, v18, v8
	;;#ASMEND
	;;#ASMSTART
	v_dot2_f32_f16 v8, v57, v19, v8
	;;#ASMEND
	;; [unrolled: 3-line block ×16, first 2 shown]
	ds_read_b128 v[18:21], v39 offset:13424
	ds_read_b128 v[52:55], v26 offset:112
	;; [unrolled: 1-line block ×6, first 2 shown]
	s_waitcnt lgkmcnt(4)
	;;#ASMSTART
	v_dot2_f32_f16 v4, v52, v18, v4
	;;#ASMEND
	;;#ASMSTART
	v_dot2_f32_f16 v4, v53, v19, v4
	;;#ASMEND
	;;#ASMSTART
	v_dot2_f32_f16 v4, v54, v20, v4
	;;#ASMEND
	;;#ASMSTART
	v_dot2_f32_f16 v4, v55, v21, v4
	;;#ASMEND
	s_waitcnt lgkmcnt(2)
	;;#ASMSTART
	v_dot2_f32_f16 v1, v52, v60, v1
	;;#ASMEND
	;;#ASMSTART
	v_dot2_f32_f16 v1, v53, v61, v1
	;;#ASMEND
	;;#ASMSTART
	v_dot2_f32_f16 v1, v54, v62, v1
	;;#ASMEND
	;;#ASMSTART
	v_dot2_f32_f16 v1, v55, v63, v1
	;;#ASMEND
	;; [unrolled: 13-line block ×4, first 2 shown]
	;;#ASMSTART
	v_dot2_f32_f16 v8, v56, v18, v8
	;;#ASMEND
	;;#ASMSTART
	v_dot2_f32_f16 v8, v57, v19, v8
	;;#ASMEND
	;; [unrolled: 3-line block ×14, first 2 shown]
	v_pk_mov_b32 v[20:21], v[16:17], v[16:17] op_sel:[0,1]
	;;#ASMSTART
	v_dot2_f32_f16 v7, v58, v70, v7
	;;#ASMEND
	v_pk_mov_b32 v[18:19], v[14:15], v[14:15] op_sel:[0,1]
	;;#ASMSTART
	v_dot2_f32_f16 v7, v59, v71, v7
	;;#ASMEND
	s_and_saveexec_b64 s[16:17], s[14:15]
	s_cbranch_execz .LBB56_35
; %bb.32:
	s_and_b64 vcc, exec, s[12:13]
	s_cbranch_vccnz .LBB56_34
; %bb.33:
	v_add_u32_e32 v18, v28, v36
	v_ashrrev_i32_e32 v19, 31, v18
	v_lshlrev_b64 v[18:19], 1, v[18:19]
	v_mov_b32_e32 v20, s45
	v_add_co_u32_e32 v18, vcc, s44, v18
	v_addc_co_u32_e32 v19, vcc, v20, v19, vcc
	flat_load_ushort v18, v[18:19]
	s_waitcnt vmcnt(0) lgkmcnt(0)
	v_cvt_f32_f16_e32 v18, v18
	v_mul_f32_e32 v25, v46, v18
.LBB56_34:
	v_add_f32_e32 v4, v4, v25
	v_add_f32_e32 v18, 0x40051340, v4
	v_max_f32_e32 v19, v14, v14
	v_max_f32_e32 v25, v19, v18
	v_pk_mov_b32 v[20:21], v[16:17], v[16:17] op_sel:[0,1]
	v_pk_mov_b32 v[18:19], v[14:15], v[14:15] op_sel:[0,1]
	v_mov_b32_e32 v18, v25
.LBB56_35:
	s_or_b64 exec, exec, s[16:17]
	v_add_u32_e32 v51, 32, v36
	v_cmp_gt_i32_e64 s[16:17], s41, v51
	s_and_saveexec_b64 s[20:21], s[16:17]
	s_cbranch_execz .LBB56_40
; %bb.36:
	s_and_b64 vcc, exec, s[12:13]
	s_cbranch_vccnz .LBB56_38
; %bb.37:
	v_ashrrev_i32_e32 v25, 31, v28
	v_add_co_u32_e32 v26, vcc, v28, v36
	v_addc_co_u32_e32 v27, vcc, 0, v25, vcc
	v_lshlrev_b64 v[26:27], 1, v[26:27]
	v_mov_b32_e32 v25, s45
	v_add_co_u32_e32 v26, vcc, s44, v26
	v_addc_co_u32_e32 v27, vcc, v25, v27, vcc
	flat_load_ushort v25, v[26:27] offset:64
	s_waitcnt vmcnt(0) lgkmcnt(0)
	v_cvt_f32_f16_e32 v25, v25
	v_mul_f32_e32 v25, v46, v25
	s_branch .LBB56_39
.LBB56_38:
	v_mov_b32_e32 v25, 0
.LBB56_39:
	v_add_f32_e32 v8, v8, v25
	v_add_f32_e32 v25, 0x40051340, v8
	v_max_f32_e32 v18, v18, v18
	v_max_f32_e32 v18, v18, v25
.LBB56_40:
	s_or_b64 exec, exec, s[20:21]
	v_mbcnt_hi_u32_b32 v25, -1, v50
	v_and_b32_e32 v26, 0x60, v25
	v_add_u32_e32 v26, 32, v26
	v_xor_b32_e32 v29, 16, v25
	v_cmp_lt_i32_e32 vcc, v29, v26
	v_cndmask_b32_e32 v27, v25, v29, vcc
	v_lshlrev_b32_e32 v56, 2, v27
	ds_bpermute_b32 v27, v56, v18
	v_xor_b32_e32 v52, 8, v25
	v_cmp_lt_i32_e32 vcc, v52, v26
	v_cndmask_b32_e32 v28, v25, v52, vcc
	v_max_f32_e32 v18, v18, v18
	s_waitcnt lgkmcnt(0)
	v_max_f32_e32 v27, v27, v27
	v_lshlrev_b32_e32 v57, 2, v28
	v_max_f32_e32 v18, v18, v27
	ds_bpermute_b32 v27, v57, v18
	v_xor_b32_e32 v53, 4, v25
	v_cmp_lt_i32_e32 vcc, v53, v26
	v_cndmask_b32_e32 v28, v25, v53, vcc
	v_lshlrev_b32_e32 v55, 2, v28
	s_waitcnt lgkmcnt(0)
	v_max_f32_e32 v27, v27, v27
	v_max_f32_e32 v18, v18, v27
	ds_bpermute_b32 v27, v55, v18
	v_xor_b32_e32 v28, 2, v25
	v_cmp_lt_i32_e32 vcc, v28, v26
	v_cndmask_b32_e32 v50, v25, v28, vcc
	v_lshlrev_b32_e32 v50, 2, v50
	s_waitcnt lgkmcnt(0)
	v_max_f32_e32 v27, v27, v27
	;; [unrolled: 8-line block ×3, first 2 shown]
	v_max_f32_e32 v18, v18, v58
	ds_bpermute_b32 v58, v54, v18
	v_mul_hi_u32 v59, s36, v49
	s_waitcnt lgkmcnt(0)
	v_max_f32_e32 v58, v58, v58
	v_max_f32_e32 v18, v18, v58
	v_add_u32_e32 v58, v49, v59
	v_lshrrev_b32_e32 v58, s37, v58
	v_mul_lo_u32 v58, v58, s38
	v_sub_u32_e32 v49, v49, v58
	v_mul_lo_u32 v49, v49, s40
	v_add_u32_e32 v49, s27, v49
	s_and_saveexec_b64 s[20:21], s[14:15]
	s_cbranch_execz .LBB56_45
; %bb.41:
	s_and_b64 vcc, exec, s[12:13]
	s_cbranch_vccnz .LBB56_43
; %bb.42:
	v_add_u32_e32 v58, v49, v36
	v_ashrrev_i32_e32 v59, 31, v58
	v_lshlrev_b64 v[58:59], 1, v[58:59]
	v_mov_b32_e32 v60, s45
	v_add_co_u32_e32 v58, vcc, s44, v58
	v_addc_co_u32_e32 v59, vcc, v60, v59, vcc
	flat_load_ushort v58, v[58:59]
	s_waitcnt vmcnt(0) lgkmcnt(0)
	v_cvt_f32_f16_e32 v58, v58
	v_mul_f32_e32 v58, v46, v58
	s_branch .LBB56_44
.LBB56_43:
	v_mov_b32_e32 v58, 0
.LBB56_44:
	v_add_f32_e32 v1, v1, v58
	v_add_f32_e32 v58, 0x40051340, v1
	v_max_f32_e32 v19, v19, v19
	v_max_f32_e32 v19, v19, v58
.LBB56_45:
	s_or_b64 exec, exec, s[20:21]
	s_and_saveexec_b64 s[20:21], s[16:17]
	s_cbranch_execz .LBB56_50
; %bb.46:
	s_and_b64 vcc, exec, s[12:13]
	s_cbranch_vccnz .LBB56_48
; %bb.47:
	v_ashrrev_i32_e32 v59, 31, v49
	v_add_co_u32_e32 v58, vcc, v49, v36
	v_addc_co_u32_e32 v59, vcc, 0, v59, vcc
	v_lshlrev_b64 v[58:59], 1, v[58:59]
	v_mov_b32_e32 v49, s45
	v_add_co_u32_e32 v58, vcc, s44, v58
	v_addc_co_u32_e32 v59, vcc, v49, v59, vcc
	flat_load_ushort v49, v[58:59] offset:64
	s_waitcnt vmcnt(0) lgkmcnt(0)
	v_cvt_f32_f16_e32 v49, v49
	v_mul_f32_e32 v49, v46, v49
	s_branch .LBB56_49
.LBB56_48:
	v_mov_b32_e32 v49, 0
.LBB56_49:
	v_add_f32_e32 v5, v5, v49
	v_add_f32_e32 v49, 0x40051340, v5
	v_max_f32_e32 v19, v19, v19
	v_max_f32_e32 v19, v19, v49
.LBB56_50:
	s_or_b64 exec, exec, s[20:21]
	ds_bpermute_b32 v49, v56, v19
	v_max_f32_e32 v19, v19, v19
	v_mul_hi_u32 v58, s36, v48
	v_add_u32_e32 v58, v48, v58
	v_lshrrev_b32_e32 v58, s37, v58
	s_waitcnt lgkmcnt(0)
	v_max_f32_e32 v49, v49, v49
	v_max_f32_e32 v19, v19, v49
	ds_bpermute_b32 v49, v57, v19
	v_mul_lo_u32 v58, v58, s38
	v_sub_u32_e32 v48, v48, v58
	v_mul_lo_u32 v48, v48, s40
	v_add_u32_e32 v48, s27, v48
	s_waitcnt lgkmcnt(0)
	v_max_f32_e32 v49, v49, v49
	v_max_f32_e32 v19, v19, v49
	ds_bpermute_b32 v49, v55, v19
	s_waitcnt lgkmcnt(0)
	v_max_f32_e32 v49, v49, v49
	v_max_f32_e32 v19, v19, v49
	ds_bpermute_b32 v49, v50, v19
	;; [unrolled: 4-line block ×3, first 2 shown]
	s_waitcnt lgkmcnt(0)
	v_max_f32_e32 v49, v49, v49
	v_max_f32_e32 v19, v19, v49
	s_and_saveexec_b64 s[20:21], s[14:15]
	s_cbranch_execz .LBB56_55
; %bb.51:
	s_and_b64 vcc, exec, s[12:13]
	s_cbranch_vccnz .LBB56_53
; %bb.52:
	v_add_u32_e32 v58, v48, v36
	v_ashrrev_i32_e32 v59, 31, v58
	v_lshlrev_b64 v[58:59], 1, v[58:59]
	v_mov_b32_e32 v49, s45
	v_add_co_u32_e32 v58, vcc, s44, v58
	v_addc_co_u32_e32 v59, vcc, v49, v59, vcc
	flat_load_ushort v49, v[58:59]
	s_waitcnt vmcnt(0) lgkmcnt(0)
	v_cvt_f32_f16_e32 v49, v49
	v_mul_f32_e32 v49, v46, v49
	s_branch .LBB56_54
.LBB56_53:
	v_mov_b32_e32 v49, 0
.LBB56_54:
	v_add_f32_e32 v2, v2, v49
	v_add_f32_e32 v49, 0x40051340, v2
	v_max_f32_e32 v20, v20, v20
	v_max_f32_e32 v20, v20, v49
.LBB56_55:
	s_or_b64 exec, exec, s[20:21]
	s_and_saveexec_b64 s[20:21], s[16:17]
	s_cbranch_execz .LBB56_60
; %bb.56:
	s_and_b64 vcc, exec, s[12:13]
	s_cbranch_vccnz .LBB56_58
; %bb.57:
	v_ashrrev_i32_e32 v49, 31, v48
	v_add_co_u32_e32 v48, vcc, v48, v36
	v_addc_co_u32_e32 v49, vcc, 0, v49, vcc
	v_lshlrev_b64 v[48:49], 1, v[48:49]
	v_mov_b32_e32 v58, s45
	v_add_co_u32_e32 v48, vcc, s44, v48
	v_addc_co_u32_e32 v49, vcc, v58, v49, vcc
	flat_load_ushort v48, v[48:49] offset:64
	s_waitcnt vmcnt(0) lgkmcnt(0)
	v_cvt_f32_f16_e32 v48, v48
	v_mul_f32_e32 v48, v46, v48
	s_branch .LBB56_59
.LBB56_58:
	v_mov_b32_e32 v48, 0
.LBB56_59:
	v_add_f32_e32 v6, v6, v48
	v_add_f32_e32 v48, 0x40051340, v6
	v_max_f32_e32 v20, v20, v20
	v_max_f32_e32 v20, v20, v48
.LBB56_60:
	s_or_b64 exec, exec, s[20:21]
	ds_bpermute_b32 v48, v56, v20
	v_max_f32_e32 v20, v20, v20
	v_mul_hi_u32 v49, s36, v47
	v_add_u32_e32 v49, v47, v49
	v_lshrrev_b32_e32 v49, s37, v49
	s_waitcnt lgkmcnt(0)
	v_max_f32_e32 v48, v48, v48
	v_max_f32_e32 v20, v20, v48
	ds_bpermute_b32 v48, v57, v20
	v_mul_lo_u32 v49, v49, s38
	v_sub_u32_e32 v47, v47, v49
	v_mul_lo_u32 v47, v47, s40
	v_add_u32_e32 v47, s27, v47
	s_waitcnt lgkmcnt(0)
	v_max_f32_e32 v48, v48, v48
	v_max_f32_e32 v20, v20, v48
	ds_bpermute_b32 v48, v55, v20
	s_waitcnt lgkmcnt(0)
	v_max_f32_e32 v48, v48, v48
	v_max_f32_e32 v20, v20, v48
	ds_bpermute_b32 v48, v50, v20
	s_waitcnt lgkmcnt(0)
	v_max_f32_e32 v48, v48, v48
	v_max_f32_e32 v20, v20, v48
	ds_bpermute_b32 v48, v54, v20
	s_waitcnt lgkmcnt(0)
	v_max_f32_e32 v48, v48, v48
	v_max_f32_e32 v20, v20, v48
	s_and_saveexec_b64 s[20:21], s[14:15]
	s_cbranch_execz .LBB56_65
; %bb.61:
	s_and_b64 vcc, exec, s[12:13]
	s_cbranch_vccnz .LBB56_63
; %bb.62:
	v_add_u32_e32 v48, v47, v36
	v_ashrrev_i32_e32 v49, 31, v48
	v_lshlrev_b64 v[48:49], 1, v[48:49]
	v_mov_b32_e32 v58, s45
	v_add_co_u32_e32 v48, vcc, s44, v48
	v_addc_co_u32_e32 v49, vcc, v58, v49, vcc
	flat_load_ushort v48, v[48:49]
	s_waitcnt vmcnt(0) lgkmcnt(0)
	v_cvt_f32_f16_e32 v48, v48
	v_mul_f32_e32 v48, v46, v48
	s_branch .LBB56_64
.LBB56_63:
	v_mov_b32_e32 v48, 0
.LBB56_64:
	v_add_f32_e32 v3, v3, v48
	v_add_f32_e32 v48, 0x40051340, v3
	v_max_f32_e32 v21, v21, v21
	v_max_f32_e32 v21, v21, v48
.LBB56_65:
	s_or_b64 exec, exec, s[20:21]
	s_and_saveexec_b64 s[14:15], s[16:17]
	s_cbranch_execz .LBB56_70
; %bb.66:
	s_and_b64 vcc, exec, s[12:13]
	s_cbranch_vccnz .LBB56_68
; %bb.67:
	v_ashrrev_i32_e32 v49, 31, v47
	v_add_co_u32_e32 v48, vcc, v47, v36
	v_addc_co_u32_e32 v49, vcc, 0, v49, vcc
	v_lshlrev_b64 v[48:49], 1, v[48:49]
	v_mov_b32_e32 v47, s45
	v_add_co_u32_e32 v48, vcc, s44, v48
	v_addc_co_u32_e32 v49, vcc, v47, v49, vcc
	flat_load_ushort v47, v[48:49] offset:64
	s_waitcnt vmcnt(0) lgkmcnt(0)
	v_cvt_f32_f16_e32 v47, v47
	v_mul_f32_e32 v46, v46, v47
	s_branch .LBB56_69
.LBB56_68:
	v_mov_b32_e32 v46, 0
.LBB56_69:
	v_add_f32_e32 v7, v7, v46
	v_add_f32_e32 v46, 0x40051340, v7
	v_max_f32_e32 v21, v21, v21
	v_max_f32_e32 v21, v21, v46
.LBB56_70:
	s_or_b64 exec, exec, s[14:15]
	ds_bpermute_b32 v46, v56, v21
	v_max_f32_e32 v21, v21, v21
	s_load_dwordx2 s[4:5], s[4:5], 0x4
	v_sub_f32_e32 v4, v4, v18
	s_mov_b32 s14, 0x3fb8aa3b
	s_waitcnt lgkmcnt(0)
	v_max_f32_e32 v46, v46, v46
	v_max_f32_e32 v21, v21, v46
	ds_bpermute_b32 v46, v57, v21
	v_mul_f32_e32 v47, 0x3fb8aa3b, v4
	v_fma_f32 v48, v4, s14, -v47
	v_rndne_f32_e32 v49, v47
	v_fmac_f32_e32 v48, 0x32a5705f, v4
	s_waitcnt lgkmcnt(0)
	v_max_f32_e32 v46, v46, v46
	v_max_f32_e32 v21, v21, v46
	ds_bpermute_b32 v46, v55, v21
	v_sub_f32_e32 v47, v47, v49
	v_add_f32_e32 v47, v47, v48
	s_lshr_b32 s4, s4, 16
	v_cvt_i32_f32_e32 v49, v49
	s_waitcnt lgkmcnt(0)
	v_max_f32_e32 v46, v46, v46
	v_max_f32_e32 v21, v21, v46
	ds_bpermute_b32 v46, v50, v21
	v_exp_f32_e32 v47, v47
	s_mul_i32 s4, s4, s5
	v_mul_lo_u32 v48, s4, v36
	v_bfe_u32 v0, v0, 20, 10
	s_waitcnt lgkmcnt(0)
	v_max_f32_e32 v46, v46, v46
	v_max_f32_e32 v21, v21, v46
	ds_bpermute_b32 v46, v54, v21
	v_mad_u32_u24 v45, v45, s5, v48
	v_add_lshl_u32 v45, v45, v0, 4
	s_mov_b32 s15, 0xc2ce8ed0
	v_cmp_ngt_f32_e32 vcc, s15, v4
	s_waitcnt lgkmcnt(0)
	v_max_f32_e32 v0, v46, v46
	v_max_f32_e32 v21, v21, v0
	v_ldexp_f32 v0, v47, v49
	s_mov_b32 s16, 0x42b17218
	v_cndmask_b32_e32 v0, 0, v0, vcc
	v_cmp_nlt_f32_e32 vcc, s16, v4
	v_sub_f32_e32 v4, v8, v18
	v_mul_f32_e32 v8, 0x3fb8aa3b, v4
	v_fma_f32 v47, v4, s14, -v8
	v_rndne_f32_e32 v49, v8
	v_fmac_f32_e32 v47, 0x32a5705f, v4
	v_sub_f32_e32 v8, v8, v49
	v_add_f32_e32 v8, v8, v47
	v_exp_f32_e32 v8, v8
	v_cvt_i32_f32_e32 v47, v49
	v_cmp_ngt_f32_e64 s[4:5], s15, v4
	v_mov_b32_e32 v46, 0x7f800000
	v_sub_f32_e32 v1, v1, v19
	v_ldexp_f32 v8, v8, v47
	v_cndmask_b32_e64 v8, 0, v8, s[4:5]
	v_cmp_nlt_f32_e64 s[4:5], s16, v4
	v_cndmask_b32_e64 v4, v46, v8, s[4:5]
	v_mul_f32_e32 v8, 0x3fb8aa3b, v1
	v_fma_f32 v47, v1, s14, -v8
	v_rndne_f32_e32 v50, v8
	v_fmac_f32_e32 v47, 0x32a5705f, v1
	v_sub_f32_e32 v8, v8, v50
	v_add_f32_e32 v8, v8, v47
	v_exp_f32_e32 v8, v8
	v_cvt_i32_f32_e32 v47, v50
	v_sub_f32_e32 v5, v5, v19
	v_cmp_ngt_f32_e64 s[12:13], s15, v1
	v_cndmask_b32_e32 v0, v46, v0, vcc
	v_ldexp_f32 v8, v8, v47
	v_mul_f32_e32 v47, 0x3fb8aa3b, v5
	v_fma_f32 v54, v5, s14, -v47
	v_rndne_f32_e32 v55, v47
	v_fmac_f32_e32 v54, 0x32a5705f, v5
	v_sub_f32_e32 v47, v47, v55
	v_add_f32_e32 v47, v47, v54
	v_exp_f32_e32 v47, v47
	v_cvt_i32_f32_e32 v54, v55
	v_cndmask_b32_e64 v8, 0, v8, s[12:13]
	v_cmp_nlt_f32_e64 s[12:13], s16, v1
	v_cmp_gt_u32_e32 vcc, s41, v36
	v_cndmask_b32_e64 v1, v46, v8, s[12:13]
	v_sub_f32_e32 v2, v2, v20
	v_cndmask_b32_e32 v8, 0, v1, vcc
	v_ldexp_f32 v1, v47, v54
	v_mul_f32_e32 v47, 0x3fb8aa3b, v2
	v_fma_f32 v54, v2, s14, -v47
	v_rndne_f32_e32 v56, v47
	v_fmac_f32_e32 v54, 0x32a5705f, v2
	v_sub_f32_e32 v47, v47, v56
	v_add_f32_e32 v47, v47, v54
	v_exp_f32_e32 v47, v47
	v_cvt_i32_f32_e32 v54, v56
	v_cmp_ngt_f32_e64 s[12:13], s15, v5
	v_cndmask_b32_e64 v1, 0, v1, s[12:13]
	v_cmp_nlt_f32_e64 s[12:13], s16, v5
	v_cmp_gt_u32_e64 s[4:5], s41, v51
	v_cndmask_b32_e64 v1, v46, v1, s[12:13]
	v_sub_f32_e32 v6, v6, v20
	v_cndmask_b32_e64 v56, 0, v1, s[4:5]
	v_ldexp_f32 v1, v47, v54
	v_mul_f32_e32 v47, 0x3fb8aa3b, v6
	v_fma_f32 v54, v6, s14, -v47
	v_rndne_f32_e32 v57, v47
	v_fmac_f32_e32 v54, 0x32a5705f, v6
	v_sub_f32_e32 v47, v47, v57
	v_add_f32_e32 v47, v47, v54
	v_exp_f32_e32 v47, v47
	v_cvt_i32_f32_e32 v54, v57
	v_cmp_ngt_f32_e64 s[12:13], s15, v2
	v_sub_f32_e32 v3, v3, v21
	v_cndmask_b32_e64 v1, 0, v1, s[12:13]
	v_cmp_nlt_f32_e64 s[12:13], s16, v2
	v_ldexp_f32 v2, v47, v54
	v_mul_f32_e32 v47, 0x3fb8aa3b, v3
	v_fma_f32 v54, v3, s14, -v47
	v_rndne_f32_e32 v58, v47
	v_fmac_f32_e32 v54, 0x32a5705f, v3
	v_sub_f32_e32 v47, v47, v58
	v_add_f32_e32 v47, v47, v54
	v_exp_f32_e32 v47, v47
	v_cvt_i32_f32_e32 v54, v58
	v_cndmask_b32_e64 v1, v46, v1, s[12:13]
	v_cmp_ngt_f32_e64 s[12:13], s15, v6
	v_sub_f32_e32 v7, v7, v21
	v_cndmask_b32_e64 v2, 0, v2, s[12:13]
	v_cmp_nlt_f32_e64 s[12:13], s16, v6
	v_ldexp_f32 v6, v47, v54
	v_mul_f32_e32 v47, 0x3fb8aa3b, v7
	v_fma_f32 v54, v7, s14, -v47
	v_rndne_f32_e32 v59, v47
	v_fmac_f32_e32 v54, 0x32a5705f, v7
	v_sub_f32_e32 v47, v47, v59
	v_add_f32_e32 v47, v47, v54
	v_exp_f32_e32 v47, v47
	v_cvt_i32_f32_e32 v54, v59
	v_cndmask_b32_e64 v2, v46, v2, s[12:13]
	v_cmp_ngt_f32_e64 s[12:13], s15, v3
	v_cndmask_b32_e64 v6, 0, v6, s[12:13]
	v_cmp_nlt_f32_e64 s[12:13], s16, v3
	v_cndmask_b32_e64 v3, v46, v6, s[12:13]
	v_cndmask_b32_e32 v49, 0, v0, vcc
	v_cndmask_b32_e32 v57, 0, v1, vcc
	;; [unrolled: 1-line block ×3, first 2 shown]
	v_ldexp_f32 v6, v47, v54
	v_cmp_ngt_f32_e32 vcc, s15, v7
	v_cndmask_b32_e32 v6, 0, v6, vcc
	v_cmp_nlt_f32_e32 vcc, s16, v7
	v_cvt_f16_f32_e32 v0, v49
	v_cndmask_b32_e64 v50, 0, v4, s[4:5]
	v_cvt_f16_f32_e32 v55, v8
	v_cvt_f16_f32_e32 v1, v57
	;; [unrolled: 1-line block ×3, first 2 shown]
	v_cndmask_b32_e32 v6, v46, v6, vcc
	v_cvt_f16_f32_e32 v4, v50
	v_cvt_f16_f32_e32 v5, v56
	v_cndmask_b32_e64 v58, 0, v2, s[4:5]
	v_cndmask_b32_e64 v47, 0, v6, s[4:5]
	v_cvt_f16_f32_e32 v2, v58
	v_cvt_f16_f32_e32 v6, v47
	v_add_u32_e32 v7, 0x2400, v39
	v_lshl_add_u32 v54, v36, 3, v7
	v_pack_b32_f16 v1, v1, v3
	v_pack_b32_f16 v0, v0, v55
	s_mul_hi_i32 s5, s27, s10
	s_mul_i32 s4, s27, s10
	s_barrier
	ds_write_b64 v54, v[0:1]
	v_pack_b32_f16 v0, v4, v5
	s_lshl_b64 s[4:5], s[4:5], 2
	v_mul_lo_u32 v4, s10, v24
	v_lshl_add_u32 v3, v51, 3, v7
	v_pack_b32_f16 v1, v2, v6
	s_add_u32 s12, s23, s4
	v_ashrrev_i32_e32 v5, 31, v4
	ds_write_b64 v3, v[0:1]
	s_addc_u32 s13, s26, s5
	v_lshlrev_b64 v[0:1], 2, v[4:5]
	v_mov_b32_e32 v2, s13
	v_add_co_u32_e32 v0, vcc, s12, v0
	v_addc_co_u32_e32 v1, vcc, v2, v1, vcc
	s_mov_b64 s[4:5], src_shared_base
	v_add_co_u32_e32 v0, vcc, v0, v22
	v_add_u32_e32 v48, 0x4400, v45
	v_addc_co_u32_e32 v1, vcc, 0, v1, vcc
	v_mov_b32_e32 v7, 0
	v_mov_b32_e32 v51, s5
	v_add_u32_e32 v6, 0x4404, v45
	ds_write_b32 v45, v7 offset:17408
	ds_write2_b32 v6, v7, v7 offset1:1
	ds_write_b32 v45, v7 offset:17420
	v_cndmask_b32_e64 v1, v51, v1, s[8:9]
	v_cndmask_b32_e64 v0, v48, v0, s[8:9]
	flat_load_dwordx4 v[0:3], v[0:1]
	v_lshl_add_u32 v4, s10, 5, v4
	v_ashrrev_i32_e32 v5, 31, v4
	v_lshlrev_b64 v[4:5], 2, v[4:5]
	v_mov_b32_e32 v54, s13
	v_add_co_u32_e32 v4, vcc, s12, v4
	v_addc_co_u32_e32 v5, vcc, v54, v5, vcc
	v_add_co_u32_e32 v4, vcc, v4, v22
	v_lshl_or_b32 v24, v24, 7, v22
	v_addc_co_u32_e32 v5, vcc, 0, v5, vcc
	s_waitcnt vmcnt(0) lgkmcnt(0)
	ds_write_b128 v24, v[0:3]
	ds_write_b32 v45, v7 offset:17408
	ds_write2_b32 v6, v7, v7 offset1:1
	ds_write_b32 v45, v7 offset:17420
	v_cndmask_b32_e64 v1, v51, v5, s[18:19]
	v_cndmask_b32_e64 v0, v48, v4, s[18:19]
	flat_load_dwordx4 v[4:7], v[0:1]
	v_sub_f32_e32 v1, v14, v18
	v_mul_f32_e32 v0, 0x3fb8aa3b, v1
	v_fma_f32 v2, v1, s14, -v0
	v_rndne_f32_e32 v3, v0
	v_fmac_f32_e32 v2, 0x32a5705f, v1
	v_sub_f32_e32 v0, v0, v3
	v_add_f32_e32 v0, v0, v2
	v_exp_f32_e32 v2, v0
	v_cvt_i32_f32_e32 v3, v3
	v_cmp_ngt_f32_e32 vcc, s15, v1
	v_add_f32_e32 v0, v49, v50
	v_ldexp_f32 v2, v2, v3
	v_cndmask_b32_e32 v2, 0, v2, vcc
	v_cmp_nlt_f32_e32 vcc, s16, v1
	v_cndmask_b32_e32 v1, v46, v2, vcc
	v_sub_f32_e32 v2, v15, v19
	v_mul_f32_e32 v3, 0x3fb8aa3b, v2
	v_fma_f32 v14, v2, s14, -v3
	v_rndne_f32_e32 v15, v3
	v_fmac_f32_e32 v14, 0x32a5705f, v2
	v_sub_f32_e32 v3, v3, v15
	v_add_f32_e32 v3, v3, v14
	v_exp_f32_e32 v3, v3
	v_cvt_i32_f32_e32 v14, v15
	v_cmp_ngt_f32_e32 vcc, s15, v2
	v_fmac_f32_e32 v0, v10, v1
	v_cvt_f16_f32_e32 v24, v1
	v_ldexp_f32 v3, v3, v14
	v_cndmask_b32_e32 v3, 0, v3, vcc
	v_cmp_nlt_f32_e32 vcc, s16, v2
	v_cndmask_b32_e32 v2, v46, v3, vcc
	v_sub_f32_e32 v3, v16, v20
	v_add_f32_e32 v1, v8, v56
	v_mul_f32_e32 v8, 0x3fb8aa3b, v3
	v_fma_f32 v10, v3, s14, -v8
	v_rndne_f32_e32 v14, v8
	v_fmac_f32_e32 v10, 0x32a5705f, v3
	v_sub_f32_e32 v8, v8, v14
	v_add_f32_e32 v8, v8, v10
	v_exp_f32_e32 v8, v8
	v_cvt_i32_f32_e32 v10, v14
	v_cmp_ngt_f32_e32 vcc, s15, v3
	v_fmac_f32_e32 v1, v11, v2
	v_cvt_f16_f32_e32 v45, v2
	v_ldexp_f32 v8, v8, v10
	v_cndmask_b32_e32 v8, 0, v8, vcc
	v_cmp_nlt_f32_e32 vcc, s16, v3
	v_cndmask_b32_e32 v3, v46, v8, vcc
	v_sub_f32_e32 v8, v17, v21
	v_mul_f32_e32 v10, 0x3fb8aa3b, v8
	v_fma_f32 v11, v8, s14, -v10
	v_rndne_f32_e32 v14, v10
	v_fmac_f32_e32 v11, 0x32a5705f, v8
	v_sub_f32_e32 v10, v10, v14
	v_add_f32_e32 v10, v10, v11
	v_exp_f32_e32 v10, v10
	v_cvt_i32_f32_e32 v11, v14
	v_cmp_ngt_f32_e32 vcc, s15, v8
	v_add_f32_e32 v2, v57, v58
	v_fmac_f32_e32 v2, v12, v3
	v_ldexp_f32 v10, v10, v11
	v_cndmask_b32_e32 v10, 0, v10, vcc
	v_cmp_nlt_f32_e32 vcc, s16, v8
	v_cndmask_b32_e32 v8, v46, v10, vcc
	v_lshl_or_b32 v10, v23, 7, v22
	v_cvt_f16_f32_e32 v50, v3
	v_add_f32_e32 v3, v59, v47
	v_fmac_f32_e32 v3, v13, v8
	v_cvt_f16_f32_e32 v8, v8
	v_pk_mul_f16 v8, v8, v43 op_sel_hi:[0,1]
	s_waitcnt vmcnt(0) lgkmcnt(0)
	ds_write_b128 v10, v[4:7]
	s_waitcnt lgkmcnt(0)
	s_barrier
	ds_read2_b32 v[22:23], v40 offset1:32
	ds_read_b128 v[4:7], v39 offset:9216
	ds_read_b128 v[10:13], v39 offset:9232
	;; [unrolled: 1-line block ×4, first 2 shown]
	s_waitcnt lgkmcnt(3)
	v_pk_mul_f16 v43, v22, v4 op_sel_hi:[1,0]
	v_pk_mul_f16 v4, v22, v4 op_sel:[0,1]
	v_pk_fma_f16 v42, v45, v42, v4 op_sel_hi:[0,1,1]
	v_pk_mul_f16 v4, v22, v5 op_sel_hi:[1,0]
	v_pk_fma_f16 v41, v50, v41, v4 op_sel_hi:[0,1,1]
	v_pk_fma_f16 v8, v22, v5, v8 op_sel:[0,1,0]
	ds_read2_b32 v[4:5], v40 offset0:64 offset1:96
	v_pk_fma_f16 v24, v24, v44, v43 op_sel_hi:[0,1,1]
	v_pk_fma_f16 v22, v23, v6, v24 op_sel_hi:[1,0,1]
	v_pk_fma_f16 v6, v23, v6, v42 op_sel:[0,1,0]
	v_pk_fma_f16 v24, v23, v7, v41 op_sel_hi:[1,0,1]
	v_pk_fma_f16 v7, v23, v7, v8 op_sel:[0,1,0]
	s_waitcnt lgkmcnt(0)
	v_pk_fma_f16 v8, v4, v10, v22 op_sel_hi:[1,0,1]
	v_pk_fma_f16 v10, v4, v10, v6 op_sel:[0,1,0]
	v_pk_fma_f16 v22, v4, v11, v24 op_sel_hi:[1,0,1]
	v_pk_fma_f16 v4, v4, v11, v7 op_sel:[0,1,0]
	ds_read2_b32 v[6:7], v40 offset0:128 offset1:160
	v_pk_fma_f16 v8, v5, v12, v8 op_sel_hi:[1,0,1]
	v_pk_fma_f16 v10, v5, v12, v10 op_sel:[0,1,0]
	v_pk_fma_f16 v11, v5, v13, v22 op_sel_hi:[1,0,1]
	v_pk_fma_f16 v4, v5, v13, v4 op_sel:[0,1,0]
	s_waitcnt lgkmcnt(0)
	v_pk_fma_f16 v5, v6, v14, v8 op_sel_hi:[1,0,1]
	v_pk_fma_f16 v8, v6, v14, v10 op_sel:[0,1,0]
	v_pk_fma_f16 v12, v6, v15, v11 op_sel_hi:[1,0,1]
	ds_read2_b32 v[10:11], v40 offset0:192 offset1:224
	v_pk_fma_f16 v4, v6, v15, v4 op_sel:[0,1,0]
	v_pk_fma_f16 v5, v7, v16, v5 op_sel_hi:[1,0,1]
	v_pk_fma_f16 v6, v7, v16, v8 op_sel:[0,1,0]
	v_pk_fma_f16 v8, v7, v17, v12 op_sel_hi:[1,0,1]
	v_pk_fma_f16 v4, v7, v17, v4 op_sel:[0,1,0]
	s_waitcnt lgkmcnt(0)
	v_pk_fma_f16 v5, v10, v46, v5 op_sel_hi:[1,0,1]
	v_add_u32_e32 v22, 0x400, v40
	v_pk_fma_f16 v12, v10, v46, v6 op_sel:[0,1,0]
	v_pk_fma_f16 v8, v10, v47, v8 op_sel_hi:[1,0,1]
	v_pk_fma_f16 v10, v10, v47, v4 op_sel:[0,1,0]
	v_pk_fma_f16 v16, v11, v48, v5 op_sel_hi:[1,0,1]
	ds_read2_b32 v[14:15], v22 offset1:32
	ds_read_b128 v[4:7], v39 offset:9280
	v_pk_fma_f16 v17, v11, v48, v12 op_sel:[0,1,0]
	v_pk_fma_f16 v8, v11, v49, v8 op_sel_hi:[1,0,1]
	v_pk_fma_f16 v23, v11, v49, v10 op_sel:[0,1,0]
	ds_read_b128 v[10:13], v39 offset:9296
	s_waitcnt lgkmcnt(1)
	v_pk_fma_f16 v24, v14, v4, v16 op_sel_hi:[1,0,1]
	v_pk_fma_f16 v4, v14, v4, v17 op_sel:[0,1,0]
	ds_read2_b32 v[16:17], v22 offset0:64 offset1:96
	v_pk_fma_f16 v8, v14, v5, v8 op_sel_hi:[1,0,1]
	v_pk_fma_f16 v5, v14, v5, v23 op_sel:[0,1,0]
	v_pk_fma_f16 v14, v15, v6, v24 op_sel_hi:[1,0,1]
	v_pk_fma_f16 v4, v15, v6, v4 op_sel:[0,1,0]
	;; [unrolled: 2-line block ×3, first 2 shown]
	s_waitcnt lgkmcnt(0)
	v_pk_fma_f16 v7, v16, v10, v14 op_sel_hi:[1,0,1]
	v_pk_fma_f16 v8, v16, v10, v4 op_sel:[0,1,0]
	v_pk_fma_f16 v10, v16, v11, v6 op_sel_hi:[1,0,1]
	v_pk_fma_f16 v11, v16, v11, v5 op_sel:[0,1,0]
	v_pk_fma_f16 v16, v17, v12, v7 op_sel_hi:[1,0,1]
	ds_read2_b32 v[14:15], v22 offset0:128 offset1:160
	ds_read_b128 v[4:7], v39 offset:9312
	v_pk_fma_f16 v8, v17, v12, v8 op_sel:[0,1,0]
	v_pk_fma_f16 v23, v17, v13, v10 op_sel_hi:[1,0,1]
	v_pk_fma_f16 v17, v17, v13, v11 op_sel:[0,1,0]
	ds_read_b128 v[10:13], v39 offset:9328
	s_waitcnt lgkmcnt(1)
	v_pk_fma_f16 v24, v14, v4, v16 op_sel_hi:[1,0,1]
	v_pk_fma_f16 v4, v14, v4, v8 op_sel:[0,1,0]
	v_pk_fma_f16 v8, v14, v5, v23 op_sel_hi:[1,0,1]
	v_pk_fma_f16 v5, v14, v5, v17 op_sel:[0,1,0]
	ds_read2_b32 v[16:17], v22 offset0:192 offset1:224
	v_pk_fma_f16 v14, v15, v6, v24 op_sel_hi:[1,0,1]
	v_pk_fma_f16 v4, v15, v6, v4 op_sel:[0,1,0]
	v_pk_fma_f16 v6, v15, v7, v8 op_sel_hi:[1,0,1]
	v_pk_fma_f16 v5, v15, v7, v5 op_sel:[0,1,0]
	s_waitcnt lgkmcnt(0)
	v_pk_fma_f16 v7, v16, v10, v14 op_sel_hi:[1,0,1]
	v_add_u32_e32 v22, 0x800, v40
	v_pk_fma_f16 v8, v16, v10, v4 op_sel:[0,1,0]
	v_pk_fma_f16 v10, v16, v11, v6 op_sel_hi:[1,0,1]
	v_pk_fma_f16 v11, v16, v11, v5 op_sel:[0,1,0]
	v_pk_fma_f16 v16, v17, v12, v7 op_sel_hi:[1,0,1]
	ds_read2_b32 v[14:15], v22 offset1:32
	ds_read_b128 v[4:7], v39 offset:9344
	v_pk_fma_f16 v8, v17, v12, v8 op_sel:[0,1,0]
	v_pk_fma_f16 v23, v17, v13, v10 op_sel_hi:[1,0,1]
	v_pk_fma_f16 v17, v17, v13, v11 op_sel:[0,1,0]
	ds_read_b128 v[10:13], v39 offset:9360
	s_waitcnt lgkmcnt(1)
	v_pk_fma_f16 v24, v14, v4, v16 op_sel_hi:[1,0,1]
	v_pk_fma_f16 v4, v14, v4, v8 op_sel:[0,1,0]
	v_pk_fma_f16 v8, v14, v5, v23 op_sel_hi:[1,0,1]
	v_pk_fma_f16 v5, v14, v5, v17 op_sel:[0,1,0]
	ds_read2_b32 v[16:17], v22 offset0:64 offset1:96
	v_pk_fma_f16 v14, v15, v6, v24 op_sel_hi:[1,0,1]
	v_pk_fma_f16 v4, v15, v6, v4 op_sel:[0,1,0]
	v_pk_fma_f16 v6, v15, v7, v8 op_sel_hi:[1,0,1]
	v_pk_fma_f16 v5, v15, v7, v5 op_sel:[0,1,0]
	s_waitcnt lgkmcnt(0)
	v_pk_fma_f16 v7, v16, v10, v14 op_sel_hi:[1,0,1]
	v_pk_fma_f16 v8, v16, v10, v4 op_sel:[0,1,0]
	v_pk_fma_f16 v10, v16, v11, v6 op_sel_hi:[1,0,1]
	v_pk_fma_f16 v11, v16, v11, v5 op_sel:[0,1,0]
	v_pk_fma_f16 v16, v17, v12, v7 op_sel_hi:[1,0,1]
	ds_read2_b32 v[14:15], v22 offset0:128 offset1:160
	ds_read_b128 v[4:7], v39 offset:9376
	v_pk_fma_f16 v8, v17, v12, v8 op_sel:[0,1,0]
	v_pk_fma_f16 v23, v17, v13, v10 op_sel_hi:[1,0,1]
	v_pk_fma_f16 v17, v17, v13, v11 op_sel:[0,1,0]
	ds_read_b128 v[10:13], v39 offset:9392
	s_waitcnt lgkmcnt(1)
	v_pk_fma_f16 v24, v14, v4, v16 op_sel_hi:[1,0,1]
	v_pk_fma_f16 v4, v14, v4, v8 op_sel:[0,1,0]
	v_pk_fma_f16 v8, v14, v5, v23 op_sel_hi:[1,0,1]
	v_pk_fma_f16 v5, v14, v5, v17 op_sel:[0,1,0]
	ds_read2_b32 v[16:17], v22 offset0:192 offset1:224
	v_pk_fma_f16 v14, v15, v6, v24 op_sel_hi:[1,0,1]
	v_pk_fma_f16 v4, v15, v6, v4 op_sel:[0,1,0]
	v_pk_fma_f16 v6, v15, v7, v8 op_sel_hi:[1,0,1]
	v_pk_fma_f16 v5, v15, v7, v5 op_sel:[0,1,0]
	s_waitcnt lgkmcnt(0)
	v_pk_fma_f16 v7, v16, v10, v14 op_sel_hi:[1,0,1]
	v_add_u32_e32 v22, 0xc00, v40
	v_pk_fma_f16 v8, v16, v10, v4 op_sel:[0,1,0]
	v_pk_fma_f16 v10, v16, v11, v6 op_sel_hi:[1,0,1]
	v_pk_fma_f16 v11, v16, v11, v5 op_sel:[0,1,0]
	v_pk_fma_f16 v16, v17, v12, v7 op_sel_hi:[1,0,1]
	ds_read2_b32 v[14:15], v22 offset1:32
	ds_read_b128 v[4:7], v39 offset:9408
	v_pk_fma_f16 v8, v17, v12, v8 op_sel:[0,1,0]
	v_pk_fma_f16 v23, v17, v13, v10 op_sel_hi:[1,0,1]
	v_pk_fma_f16 v17, v17, v13, v11 op_sel:[0,1,0]
	ds_read_b128 v[10:13], v39 offset:9424
	s_waitcnt lgkmcnt(1)
	v_pk_fma_f16 v24, v14, v4, v16 op_sel_hi:[1,0,1]
	v_pk_fma_f16 v4, v14, v4, v8 op_sel:[0,1,0]
	v_pk_fma_f16 v8, v14, v5, v23 op_sel_hi:[1,0,1]
	v_pk_fma_f16 v5, v14, v5, v17 op_sel:[0,1,0]
	ds_read2_b32 v[16:17], v22 offset0:64 offset1:96
	v_pk_fma_f16 v14, v15, v6, v24 op_sel_hi:[1,0,1]
	v_pk_fma_f16 v4, v15, v6, v4 op_sel:[0,1,0]
	v_pk_fma_f16 v6, v15, v7, v8 op_sel_hi:[1,0,1]
	v_pk_fma_f16 v5, v15, v7, v5 op_sel:[0,1,0]
	;; [unrolled: 45-line block ×6, first 2 shown]
	s_waitcnt lgkmcnt(0)
	v_pk_fma_f16 v7, v16, v10, v14 op_sel_hi:[1,0,1]
	v_pk_fma_f16 v8, v16, v10, v4 op_sel:[0,1,0]
	v_pk_fma_f16 v10, v16, v11, v6 op_sel_hi:[1,0,1]
	v_pk_fma_f16 v11, v16, v11, v5 op_sel:[0,1,0]
	v_pk_fma_f16 v16, v17, v12, v7 op_sel_hi:[1,0,1]
	ds_read2_b32 v[14:15], v22 offset0:128 offset1:160
	ds_read_b128 v[4:7], v39 offset:9696
	v_pk_fma_f16 v8, v17, v12, v8 op_sel:[0,1,0]
	v_pk_fma_f16 v23, v17, v13, v10 op_sel_hi:[1,0,1]
	v_pk_fma_f16 v17, v17, v13, v11 op_sel:[0,1,0]
	ds_read_b128 v[10:13], v39 offset:9712
	s_waitcnt lgkmcnt(1)
	v_pk_fma_f16 v16, v14, v4, v16 op_sel_hi:[1,0,1]
	v_pk_fma_f16 v8, v14, v4, v8 op_sel:[0,1,0]
	v_pk_fma_f16 v23, v14, v5, v23 op_sel_hi:[1,0,1]
	v_pk_fma_f16 v14, v14, v5, v17 op_sel:[0,1,0]
	ds_read2_b32 v[4:5], v22 offset0:192 offset1:224
	v_pk_fma_f16 v16, v15, v6, v16 op_sel_hi:[1,0,1]
	v_pk_fma_f16 v6, v15, v6, v8 op_sel:[0,1,0]
	v_pk_fma_f16 v8, v15, v7, v23 op_sel_hi:[1,0,1]
	v_pk_fma_f16 v7, v15, v7, v14 op_sel:[0,1,0]
	s_waitcnt lgkmcnt(0)
	v_pk_fma_f16 v14, v4, v10, v16 op_sel_hi:[1,0,1]
	v_pk_fma_f16 v6, v4, v10, v6 op_sel:[0,1,0]
	v_pk_fma_f16 v8, v4, v11, v8 op_sel_hi:[1,0,1]
	v_pk_fma_f16 v4, v4, v11, v7 op_sel:[0,1,0]
	;; [unrolled: 2-line block ×4, first 2 shown]
	v_pk_mov_b32 v[14:15], v[18:19], v[18:19] op_sel:[0,1]
	v_pk_mov_b32 v[12:13], v[2:3], v[2:3] op_sel:[0,1]
	;; [unrolled: 1-line block ×4, first 2 shown]
	s_barrier
.LBB56_71:
	v_cmp_lt_i32_e32 vcc, v29, v26
	v_cndmask_b32_e32 v0, v25, v29, vcc
	v_cmp_lt_i32_e32 vcc, v52, v26
	v_lshlrev_b32_e32 v3, 2, v0
	v_cndmask_b32_e32 v0, v25, v52, vcc
	v_cmp_lt_i32_e32 vcc, v53, v26
	v_lshlrev_b32_e32 v7, 2, v0
	v_cndmask_b32_e32 v0, v25, v53, vcc
	v_lshlrev_b32_e32 v8, 2, v0
	ds_bpermute_b32 v0, v3, v10
	ds_bpermute_b32 v1, v3, v11
	;; [unrolled: 1-line block ×4, first 2 shown]
	v_cmp_lt_i32_e32 vcc, v28, v26
	v_cndmask_b32_e32 v18, v25, v28, vcc
	s_waitcnt lgkmcnt(2)
	v_pk_add_f32 v[0:1], v[10:11], v[0:1]
	ds_bpermute_b32 v4, v7, v0
	s_waitcnt lgkmcnt(1)
	v_pk_add_f32 v[2:3], v[12:13], v[2:3]
	ds_bpermute_b32 v5, v7, v1
	ds_bpermute_b32 v6, v7, v2
	ds_bpermute_b32 v7, v7, v3
	v_lshlrev_b32_e32 v10, 2, v18
	v_cmp_lt_i32_e32 vcc, v27, v26
	s_waitcnt lgkmcnt(2)
	v_pk_add_f32 v[0:1], v[0:1], v[4:5]
	ds_bpermute_b32 v4, v8, v0
	s_waitcnt lgkmcnt(1)
	v_pk_add_f32 v[2:3], v[2:3], v[6:7]
	ds_bpermute_b32 v5, v8, v1
	ds_bpermute_b32 v6, v8, v2
	ds_bpermute_b32 v7, v8, v3
	v_cndmask_b32_e32 v8, v25, v27, vcc
	v_lshlrev_b32_e32 v8, 2, v8
	s_waitcnt lgkmcnt(2)
	v_pk_add_f32 v[0:1], v[0:1], v[4:5]
	ds_bpermute_b32 v4, v10, v0
	s_waitcnt lgkmcnt(1)
	v_pk_add_f32 v[2:3], v[2:3], v[6:7]
	ds_bpermute_b32 v5, v10, v1
	ds_bpermute_b32 v6, v10, v2
	;; [unrolled: 1-line block ×3, first 2 shown]
	s_cmp_eq_u64 s[24:25], 0
	s_cselect_b64 s[4:5], -1, 0
	s_waitcnt lgkmcnt(2)
	v_pk_add_f32 v[0:1], v[0:1], v[4:5]
	ds_bpermute_b32 v4, v8, v0
	s_waitcnt lgkmcnt(1)
	v_pk_add_f32 v[6:7], v[2:3], v[6:7]
	ds_bpermute_b32 v5, v8, v1
	ds_bpermute_b32 v10, v8, v6
	ds_bpermute_b32 v11, v8, v7
	s_cmp_lg_u32 s11, 0
	s_cselect_b64 s[8:9], -1, 0
	s_or_b64 s[4:5], s[8:9], s[4:5]
	s_waitcnt lgkmcnt(2)
	v_pk_add_f32 v[2:3], v[0:1], v[4:5]
	s_waitcnt lgkmcnt(0)
	v_pk_add_f32 v[0:1], v[6:7], v[10:11]
	s_and_b64 vcc, exec, s[4:5]
	s_cbranch_vccnz .LBB56_73
; %bb.72:
	s_lshl_b64 s[4:5], s[34:35], 2
	s_add_u32 s4, s24, s4
	s_addc_u32 s5, s25, s5
	v_mov_b32_e32 v4, 0
	global_load_dword v8, v4, s[4:5]
	v_max_f32_e32 v4, v15, v15
	v_max_f32_e32 v6, v14, v14
	;; [unrolled: 1-line block ×4, first 2 shown]
	s_mov_b32 s8, 0x3fb8aa3b
	s_mov_b32 s5, 0xc2ce8ed0
	s_mov_b32 s4, 0x42b17218
	v_mov_b32_e32 v18, 0x7f800000
	s_waitcnt vmcnt(0)
	v_max_f32_e32 v11, v8, v8
	v_max_f32_e32 v5, v4, v11
	;; [unrolled: 1-line block ×5, first 2 shown]
	v_pk_add_f32 v[10:11], v[14:15], v[4:5] neg_lo:[0,1] neg_hi:[0,1]
	v_mul_f32_e32 v15, 0x3fb8aa3b, v11
	v_pk_add_f32 v[12:13], v[16:17], v[6:7] neg_lo:[0,1] neg_hi:[0,1]
	v_mul_f32_e32 v19, 0x3fb8aa3b, v10
	v_fma_f32 v24, v11, s8, -v15
	v_rndne_f32_e32 v25, v15
	v_mul_f32_e32 v20, 0x3fb8aa3b, v13
	v_fma_f32 v26, v10, s8, -v19
	v_rndne_f32_e32 v27, v19
	v_fmac_f32_e32 v24, 0x32a5705f, v11
	v_sub_f32_e32 v15, v15, v25
	v_sub_f32_e32 v16, v8, v6
	;; [unrolled: 1-line block ×5, first 2 shown]
	v_mul_f32_e32 v21, 0x3fb8aa3b, v12
	v_fma_f32 v28, v13, s8, -v20
	v_rndne_f32_e32 v29, v20
	v_fmac_f32_e32 v26, 0x32a5705f, v10
	v_sub_f32_e32 v19, v19, v27
	v_add_f32_e32 v15, v15, v24
	v_mul_f32_e32 v22, 0x3fb8aa3b, v8
	v_fma_f32 v39, v12, s8, -v21
	v_rndne_f32_e32 v40, v21
	v_cvt_i32_f32_e32 v25, v25
	v_fmac_f32_e32 v28, 0x32a5705f, v13
	v_sub_f32_e32 v20, v20, v29
	v_add_f32_e32 v19, v19, v26
	v_exp_f32_e32 v15, v15
	v_fma_f32 v45, v8, s8, -v22
	v_rndne_f32_e32 v46, v22
	v_cvt_i32_f32_e32 v27, v27
	v_fmac_f32_e32 v39, 0x32a5705f, v12
	v_sub_f32_e32 v21, v21, v40
	v_add_f32_e32 v20, v20, v28
	v_exp_f32_e32 v19, v19
	v_cvt_i32_f32_e32 v29, v29
	v_fmac_f32_e32 v45, 0x32a5705f, v8
	v_sub_f32_e32 v22, v22, v46
	v_add_f32_e32 v21, v21, v39
	v_exp_f32_e32 v20, v20
	v_cvt_i32_f32_e32 v40, v40
	v_add_f32_e32 v22, v22, v45
	v_exp_f32_e32 v21, v21
	v_cvt_i32_f32_e32 v46, v46
	v_exp_f32_e32 v22, v22
	v_ldexp_f32 v15, v15, v25
	v_cmp_ngt_f32_e32 vcc, s5, v11
	v_ldexp_f32 v19, v19, v27
	v_cndmask_b32_e32 v15, 0, v15, vcc
	v_cmp_ngt_f32_e32 vcc, s5, v10
	v_ldexp_f32 v20, v20, v29
	v_cndmask_b32_e32 v19, 0, v19, vcc
	;; [unrolled: 3-line block ×4, first 2 shown]
	v_cmp_ngt_f32_e32 vcc, s5, v8
	v_cndmask_b32_e32 v22, 0, v22, vcc
	v_cmp_nlt_f32_e32 vcc, s4, v11
	v_cndmask_b32_e32 v11, v18, v15, vcc
	v_cmp_nlt_f32_e32 vcc, s4, v10
	v_cndmask_b32_e32 v10, v18, v19, vcc
	v_cmp_nlt_f32_e32 vcc, s4, v12
	v_cndmask_b32_e32 v12, v18, v21, vcc
	v_cvt_f16_f32_e32 v19, v11
	v_cvt_f16_f32_e32 v21, v12
	v_mul_f32_e32 v23, 0x3fb8aa3b, v14
	v_fma_f32 v47, v14, s8, -v23
	v_rndne_f32_e32 v48, v23
	v_fmac_f32_e32 v47, 0x32a5705f, v14
	v_sub_f32_e32 v23, v23, v48
	v_cmp_nlt_f32_e32 vcc, s4, v13
	v_pk_mul_f16 v42, v42, v19 op_sel_hi:[1,0]
	v_mul_f32_e32 v19, 0x3fb8aa3b, v17
	v_add_f32_e32 v23, v23, v47
	v_cndmask_b32_e32 v13, v18, v20, vcc
	v_pk_mul_f16 v41, v41, v21 op_sel_hi:[1,0]
	v_fma_f32 v20, v17, s8, -v19
	v_rndne_f32_e32 v21, v19
	v_cvt_i32_f32_e32 v48, v48
	v_exp_f32_e32 v23, v23
	v_cvt_f16_f32_e32 v15, v10
	v_fmac_f32_e32 v20, 0x32a5705f, v17
	v_sub_f32_e32 v19, v19, v21
	v_add_f32_e32 v19, v19, v20
	v_exp_f32_e32 v19, v19
	v_cvt_i32_f32_e32 v20, v21
	v_cmp_nlt_f32_e32 vcc, s4, v8
	v_pk_mul_f16 v44, v44, v15 op_sel_hi:[1,0]
	v_cndmask_b32_e32 v15, v18, v22, vcc
	v_ldexp_f32 v8, v23, v48
	v_cmp_ngt_f32_e32 vcc, s5, v14
	v_cndmask_b32_e32 v8, 0, v8, vcc
	v_cmp_nlt_f32_e32 vcc, s4, v14
	v_cndmask_b32_e32 v14, v18, v8, vcc
	v_ldexp_f32 v8, v19, v20
	v_mul_f32_e32 v19, 0x3fb8aa3b, v16
	v_fma_f32 v20, v16, s8, -v19
	v_rndne_f32_e32 v21, v19
	v_fmac_f32_e32 v20, 0x32a5705f, v16
	v_sub_f32_e32 v19, v19, v21
	v_add_f32_e32 v19, v19, v20
	v_exp_f32_e32 v19, v19
	v_cvt_i32_f32_e32 v20, v21
	v_cmp_ngt_f32_e32 vcc, s5, v17
	v_cndmask_b32_e32 v8, 0, v8, vcc
	v_cmp_nlt_f32_e32 vcc, s4, v17
	v_cndmask_b32_e32 v17, v18, v8, vcc
	v_ldexp_f32 v8, v19, v20
	v_cmp_ngt_f32_e32 vcc, s5, v16
	v_cvt_f16_f32_e32 v19, v13
	v_cndmask_b32_e32 v8, 0, v8, vcc
	v_cmp_nlt_f32_e32 vcc, s4, v16
	v_cndmask_b32_e32 v16, v18, v8, vcc
	v_pk_fma_f32 v[0:1], v[0:1], v[12:13], v[16:17]
	v_pk_fma_f32 v[2:3], v[2:3], v[10:11], v[14:15]
	v_pk_mov_b32 v[16:17], v[6:7], v[6:7] op_sel:[0,1]
	v_pk_mul_f16 v43, v43, v19 op_sel_hi:[1,0]
	v_pk_mov_b32 v[14:15], v[4:5], v[4:5] op_sel:[0,1]
.LBB56_73:
	v_cmp_gt_i32_e32 vcc, s38, v38
	s_and_saveexec_b64 s[4:5], vcc
	s_cbranch_execz .LBB56_93
; %bb.74:
	s_load_dword s10, s[6:7], 0xd4
	v_mov_b32_e32 v4, 1.0
	s_waitcnt lgkmcnt(0)
	s_cmp_lg_u32 s10, 1
	s_cselect_b64 s[6:7], -1, 0
	s_cmp_eq_u32 s10, 1
	s_cselect_b64 s[8:9], -1, 0
	s_and_b64 vcc, exec, s[6:7]
	s_cbranch_vccnz .LBB56_76
; %bb.75:
	v_div_scale_f32 v4, s[4:5], v2, v2, 1.0
	v_rcp_f32_e32 v5, v4
	v_div_scale_f32 v6, vcc, 1.0, v2, 1.0
	v_fma_f32 v7, -v4, v5, 1.0
	v_fmac_f32_e32 v5, v7, v5
	v_mul_f32_e32 v7, v6, v5
	v_fma_f32 v8, -v4, v7, v6
	v_fmac_f32_e32 v7, v8, v5
	v_fma_f32 v4, -v4, v7, v6
	v_div_fmas_f32 v4, v4, v5, v7
	v_div_fixup_f32 v4, v4, v2, 1.0
.LBB56_76:
	s_mul_i32 s12, s33, s38
	s_add_i32 s12, s12, s22
	v_add_u32_e32 v5, s12, v37
	v_mul_lo_u32 v5, v5, s39
	v_add_u32_e32 v5, s34, v5
	v_mul_lo_u32 v5, s10, v5
	v_add_u32_e32 v6, s11, v5
	v_cvt_f32_f16_sdwa v13, v44 dst_sel:DWORD dst_unused:UNUSED_PAD src0_sel:WORD_1
	v_cvt_f32_f16_e32 v12, v44
	v_lshl_add_u32 v10, v6, 6, v9
	v_mov_b32_e32 v11, 0
	v_lshlrev_b64 v[10:11], 2, v[10:11]
	v_cmp_eq_u32_e32 vcc, 0, v36
	v_mov_b32_e32 v5, s29
	v_add_co_u32_e64 v10, s[4:5], s28, v10
	v_addc_co_u32_e64 v11, s[4:5], v5, v11, s[4:5]
	v_pk_mul_f32 v[4:5], v[4:5], v[12:13] op_sel_hi:[0,1]
	s_and_b64 s[6:7], vcc, s[6:7]
	global_store_dwordx2 v[10:11], v[4:5], off
	s_and_saveexec_b64 s[4:5], s[6:7]
	s_cbranch_execz .LBB56_78
; %bb.77:
	v_ashrrev_i32_e32 v7, 31, v6
	v_lshlrev_b64 v[4:5], 3, v[6:7]
	v_mov_b32_e32 v6, s31
	v_add_co_u32_e32 v4, vcc, s30, v4
	v_addc_co_u32_e32 v5, vcc, v6, v5, vcc
	v_mov_b32_e32 v6, v14
	v_mov_b32_e32 v7, v2
	global_store_dwordx2 v[4:5], v[6:7], off
.LBB56_78:
	s_or_b64 exec, exec, s[4:5]
	v_cmp_gt_i32_e32 vcc, s38, v35
	s_and_b64 exec, exec, vcc
	s_cbranch_execz .LBB56_93
; %bb.79:
	v_cndmask_b32_e64 v2, 0, 1, s[8:9]
	v_cmp_ne_u32_e64 s[4:5], 1, v2
	s_andn2_b64 vcc, exec, s[8:9]
	v_mov_b32_e32 v2, 1.0
	s_cbranch_vccnz .LBB56_81
; %bb.80:
	v_div_scale_f32 v2, s[8:9], v3, v3, 1.0
	v_rcp_f32_e32 v4, v2
	v_div_scale_f32 v5, vcc, 1.0, v3, 1.0
	v_fma_f32 v6, -v2, v4, 1.0
	v_fmac_f32_e32 v4, v6, v4
	v_mul_f32_e32 v6, v5, v4
	v_fma_f32 v7, -v2, v6, v5
	v_fmac_f32_e32 v6, v7, v4
	v_fma_f32 v2, -v2, v6, v5
	v_div_fmas_f32 v2, v2, v4, v6
	v_div_fixup_f32 v2, v2, v3, 1.0
.LBB56_81:
	v_add_u32_e32 v4, s12, v34
	v_mul_lo_u32 v4, v4, s39
	v_add_u32_e32 v4, s34, v4
	v_mul_lo_u32 v4, s10, v4
	v_add_u32_e32 v4, s11, v4
	v_cvt_f32_f16_sdwa v11, v42 dst_sel:DWORD dst_unused:UNUSED_PAD src0_sel:WORD_1
	v_cvt_f32_f16_e32 v10, v42
	v_lshl_add_u32 v6, v4, 6, v9
	v_mov_b32_e32 v7, 0
	v_lshlrev_b64 v[6:7], 2, v[6:7]
	v_mov_b32_e32 v5, s29
	v_add_co_u32_e32 v6, vcc, s28, v6
	v_addc_co_u32_e32 v7, vcc, v5, v7, vcc
	v_pk_mul_f32 v[10:11], v[2:3], v[10:11] op_sel_hi:[0,1]
	global_store_dwordx2 v[6:7], v[10:11], off
	s_and_saveexec_b64 s[8:9], s[6:7]
	s_cbranch_execz .LBB56_83
; %bb.82:
	v_ashrrev_i32_e32 v5, 31, v4
	v_lshlrev_b64 v[4:5], 3, v[4:5]
	v_mov_b32_e32 v2, s31
	v_add_co_u32_e32 v4, vcc, s30, v4
	v_addc_co_u32_e32 v5, vcc, v2, v5, vcc
	v_mov_b32_e32 v2, v15
	global_store_dwordx2 v[4:5], v[2:3], off
.LBB56_83:
	s_or_b64 exec, exec, s[8:9]
	v_cmp_gt_i32_e32 vcc, s38, v33
	s_and_b64 exec, exec, vcc
	s_cbranch_execz .LBB56_93
; %bb.84:
	s_and_b64 vcc, exec, s[4:5]
	v_mov_b32_e32 v2, 1.0
	s_cbranch_vccnz .LBB56_86
; %bb.85:
	v_div_scale_f32 v2, s[8:9], v0, v0, 1.0
	v_rcp_f32_e32 v3, v2
	v_div_scale_f32 v4, vcc, 1.0, v0, 1.0
	v_fma_f32 v5, -v2, v3, 1.0
	v_fmac_f32_e32 v3, v5, v3
	v_mul_f32_e32 v5, v4, v3
	v_fma_f32 v6, -v2, v5, v4
	v_fmac_f32_e32 v5, v6, v3
	v_fma_f32 v2, -v2, v5, v4
	v_div_fmas_f32 v2, v2, v3, v5
	v_div_fixup_f32 v2, v2, v0, 1.0
.LBB56_86:
	v_add_u32_e32 v3, s12, v32
	v_mul_lo_u32 v3, v3, s39
	v_add_u32_e32 v3, s34, v3
	v_mul_lo_u32 v3, s10, v3
	v_add_u32_e32 v4, s11, v3
	v_cvt_f32_f16_sdwa v11, v41 dst_sel:DWORD dst_unused:UNUSED_PAD src0_sel:WORD_1
	v_cvt_f32_f16_e32 v10, v41
	v_lshl_add_u32 v6, v4, 6, v9
	v_mov_b32_e32 v7, 0
	v_lshlrev_b64 v[6:7], 2, v[6:7]
	v_mov_b32_e32 v3, s29
	v_add_co_u32_e32 v6, vcc, s28, v6
	v_addc_co_u32_e32 v7, vcc, v3, v7, vcc
	v_pk_mul_f32 v[2:3], v[2:3], v[10:11] op_sel_hi:[0,1]
	global_store_dwordx2 v[6:7], v[2:3], off
	s_and_saveexec_b64 s[8:9], s[6:7]
	s_cbranch_execz .LBB56_88
; %bb.87:
	v_ashrrev_i32_e32 v5, 31, v4
	v_lshlrev_b64 v[2:3], 3, v[4:5]
	v_mov_b32_e32 v4, s31
	v_add_co_u32_e32 v2, vcc, s30, v2
	v_addc_co_u32_e32 v3, vcc, v4, v3, vcc
	v_mov_b32_e32 v4, v16
	v_mov_b32_e32 v5, v0
	global_store_dwordx2 v[2:3], v[4:5], off
.LBB56_88:
	s_or_b64 exec, exec, s[8:9]
	v_cmp_gt_i32_e32 vcc, s38, v31
	s_and_b64 exec, exec, vcc
	s_cbranch_execz .LBB56_93
; %bb.89:
	s_and_b64 vcc, exec, s[4:5]
	v_mov_b32_e32 v0, 1.0
	s_cbranch_vccnz .LBB56_91
; %bb.90:
	v_div_scale_f32 v0, s[4:5], v1, v1, 1.0
	v_rcp_f32_e32 v2, v0
	v_div_scale_f32 v3, vcc, 1.0, v1, 1.0
	v_fma_f32 v4, -v0, v2, 1.0
	v_fmac_f32_e32 v2, v4, v2
	v_mul_f32_e32 v4, v3, v2
	v_fma_f32 v5, -v0, v4, v3
	v_fmac_f32_e32 v4, v5, v2
	v_fma_f32 v0, -v0, v4, v3
	v_div_fmas_f32 v0, v0, v2, v4
	v_div_fixup_f32 v0, v0, v1, 1.0
.LBB56_91:
	v_add_u32_e32 v2, s12, v30
	v_mul_lo_u32 v2, v2, s39
	v_add_u32_e32 v2, s34, v2
	v_mul_lo_u32 v2, s10, v2
	v_add_u32_e32 v2, s11, v2
	v_cvt_f32_f16_sdwa v7, v43 dst_sel:DWORD dst_unused:UNUSED_PAD src0_sel:WORD_1
	v_cvt_f32_f16_e32 v6, v43
	v_lshl_add_u32 v4, v2, 6, v9
	v_mov_b32_e32 v5, 0
	v_lshlrev_b64 v[4:5], 2, v[4:5]
	v_mov_b32_e32 v3, s29
	v_add_co_u32_e32 v4, vcc, s28, v4
	v_addc_co_u32_e32 v5, vcc, v3, v5, vcc
	v_pk_mul_f32 v[6:7], v[0:1], v[6:7] op_sel_hi:[0,1]
	global_store_dwordx2 v[4:5], v[6:7], off
	s_and_b64 exec, exec, s[6:7]
	s_cbranch_execz .LBB56_93
; %bb.92:
	v_ashrrev_i32_e32 v3, 31, v2
	v_lshlrev_b64 v[2:3], 3, v[2:3]
	v_mov_b32_e32 v0, s31
	v_add_co_u32_e32 v2, vcc, s30, v2
	v_addc_co_u32_e32 v3, vcc, v0, v3, vcc
	v_mov_b32_e32 v0, v17
	global_store_dwordx2 v[2:3], v[0:1], off
.LBB56_93:
	s_endpgm
	.section	.rodata,"a",@progbits
	.p2align	6, 0x0
	.amdhsa_kernel _ZL15flash_attn_tileILi64ELi64ELi32ELi1ELb0EEvPKcS1_S1_S1_S1_PKiPfP15HIP_vector_typeIfLj2EEffffjfiS5_IjLj3EEiiiiiiiiiiiliiliiiiil
		.amdhsa_group_segment_fixed_size 21504
		.amdhsa_private_segment_fixed_size 32
		.amdhsa_kernarg_size 464
		.amdhsa_user_sgpr_count 10
		.amdhsa_user_sgpr_private_segment_buffer 1
		.amdhsa_user_sgpr_dispatch_ptr 1
		.amdhsa_user_sgpr_queue_ptr 0
		.amdhsa_user_sgpr_kernarg_segment_ptr 1
		.amdhsa_user_sgpr_dispatch_id 0
		.amdhsa_user_sgpr_flat_scratch_init 1
		.amdhsa_user_sgpr_kernarg_preload_length 0
		.amdhsa_user_sgpr_kernarg_preload_offset 0
		.amdhsa_user_sgpr_private_segment_size 0
		.amdhsa_uses_dynamic_stack 0
		.amdhsa_system_sgpr_private_segment_wavefront_offset 1
		.amdhsa_system_sgpr_workgroup_id_x 1
		.amdhsa_system_sgpr_workgroup_id_y 1
		.amdhsa_system_sgpr_workgroup_id_z 1
		.amdhsa_system_sgpr_workgroup_info 0
		.amdhsa_system_vgpr_workitem_id 2
		.amdhsa_next_free_vgpr 90
		.amdhsa_next_free_sgpr 56
		.amdhsa_accum_offset 92
		.amdhsa_reserve_vcc 1
		.amdhsa_reserve_flat_scratch 1
		.amdhsa_float_round_mode_32 0
		.amdhsa_float_round_mode_16_64 0
		.amdhsa_float_denorm_mode_32 3
		.amdhsa_float_denorm_mode_16_64 3
		.amdhsa_dx10_clamp 1
		.amdhsa_ieee_mode 1
		.amdhsa_fp16_overflow 0
		.amdhsa_tg_split 0
		.amdhsa_exception_fp_ieee_invalid_op 0
		.amdhsa_exception_fp_denorm_src 0
		.amdhsa_exception_fp_ieee_div_zero 0
		.amdhsa_exception_fp_ieee_overflow 0
		.amdhsa_exception_fp_ieee_underflow 0
		.amdhsa_exception_fp_ieee_inexact 0
		.amdhsa_exception_int_div_zero 0
	.end_amdhsa_kernel
	.section	.text._ZL15flash_attn_tileILi64ELi64ELi32ELi1ELb0EEvPKcS1_S1_S1_S1_PKiPfP15HIP_vector_typeIfLj2EEffffjfiS5_IjLj3EEiiiiiiiiiiiliiliiiiil,"axG",@progbits,_ZL15flash_attn_tileILi64ELi64ELi32ELi1ELb0EEvPKcS1_S1_S1_S1_PKiPfP15HIP_vector_typeIfLj2EEffffjfiS5_IjLj3EEiiiiiiiiiiiliiliiiiil,comdat
.Lfunc_end56:
	.size	_ZL15flash_attn_tileILi64ELi64ELi32ELi1ELb0EEvPKcS1_S1_S1_S1_PKiPfP15HIP_vector_typeIfLj2EEffffjfiS5_IjLj3EEiiiiiiiiiiiliiliiiiil, .Lfunc_end56-_ZL15flash_attn_tileILi64ELi64ELi32ELi1ELb0EEvPKcS1_S1_S1_S1_PKiPfP15HIP_vector_typeIfLj2EEffffjfiS5_IjLj3EEiiiiiiiiiiiliiliiiiil
                                        ; -- End function
	.section	.AMDGPU.csdata,"",@progbits
; Kernel info:
; codeLenInByte = 21612
; NumSgprs: 62
; NumVgprs: 90
; NumAgprs: 0
; TotalNumVgprs: 90
; ScratchSize: 32
; MemoryBound: 0
; FloatMode: 240
; IeeeMode: 1
; LDSByteSize: 21504 bytes/workgroup (compile time only)
; SGPRBlocks: 7
; VGPRBlocks: 11
; NumSGPRsForWavesPerEU: 62
; NumVGPRsForWavesPerEU: 90
; AccumOffset: 92
; Occupancy: 3
; WaveLimiterHint : 1
; COMPUTE_PGM_RSRC2:SCRATCH_EN: 1
; COMPUTE_PGM_RSRC2:USER_SGPR: 10
; COMPUTE_PGM_RSRC2:TRAP_HANDLER: 0
; COMPUTE_PGM_RSRC2:TGID_X_EN: 1
; COMPUTE_PGM_RSRC2:TGID_Y_EN: 1
; COMPUTE_PGM_RSRC2:TGID_Z_EN: 1
; COMPUTE_PGM_RSRC2:TIDIG_COMP_CNT: 2
; COMPUTE_PGM_RSRC3_GFX90A:ACCUM_OFFSET: 22
; COMPUTE_PGM_RSRC3_GFX90A:TG_SPLIT: 0
	.section	.text._ZL33flash_attn_stream_k_fixup_uniformILi64ELi32ELi1EEvPfPK15HIP_vector_typeIfLj2EEiiiiiiS1_IjLj3EES5_S5_,"axG",@progbits,_ZL33flash_attn_stream_k_fixup_uniformILi64ELi32ELi1EEvPfPK15HIP_vector_typeIfLj2EEiiiiiiS1_IjLj3EES5_S5_,comdat
	.globl	_ZL33flash_attn_stream_k_fixup_uniformILi64ELi32ELi1EEvPfPK15HIP_vector_typeIfLj2EEiiiiiiS1_IjLj3EES5_S5_ ; -- Begin function _ZL33flash_attn_stream_k_fixup_uniformILi64ELi32ELi1EEvPfPK15HIP_vector_typeIfLj2EEiiiiiiS1_IjLj3EES5_S5_
	.p2align	8
	.type	_ZL33flash_attn_stream_k_fixup_uniformILi64ELi32ELi1EEvPfPK15HIP_vector_typeIfLj2EEiiiiiiS1_IjLj3EES5_S5_,@function
_ZL33flash_attn_stream_k_fixup_uniformILi64ELi32ELi1EEvPfPK15HIP_vector_typeIfLj2EEiiiiiiS1_IjLj3EES5_S5_: ; @_ZL33flash_attn_stream_k_fixup_uniformILi64ELi32ELi1EEvPfPK15HIP_vector_typeIfLj2EEiiiiiiS1_IjLj3EES5_S5_
; %bb.0:
	s_load_dwordx8 s[12:19], s[4:5], 0x1c
	s_load_dwordx2 s[10:11], s[4:5], 0x10
	s_load_dwordx4 s[0:3], s[4:5], 0x3c
	s_waitcnt lgkmcnt(0)
	s_mul_hi_u32 s9, s15, s6
	s_add_i32 s9, s6, s9
	s_lshr_b32 s9, s9, s16
	s_mul_i32 s15, s9, s17
	s_sub_i32 s15, s6, s15
	s_mul_hi_u32 s16, s15, s18
	s_add_i32 s16, s15, s16
	s_lshr_b32 s16, s16, s19
	s_mul_i32 s0, s16, s0
	s_sub_i32 s0, s15, s0
	;; [unrolled: 5-line block ×3, first 2 shown]
	s_lshl_b32 s0, s17, 5
	s_add_i32 s0, s0, s7
	s_cmp_lt_i32 s0, s10
	s_cselect_b64 s[0:1], -1, 0
	s_add_i32 s2, s15, s8
	s_cmp_lt_i32 s2, s13
	s_cselect_b64 s[2:3], -1, 0
	s_and_b64 s[0:1], s[0:1], s[2:3]
	s_andn2_b64 vcc, exec, s[0:1]
	s_cbranch_vccnz .LBB57_6
; %bb.1:
	s_load_dwordx4 s[0:3], s[4:5], 0x0
	s_mul_i32 s4, s9, s10
	s_add_i32 s4, s4, s7
	s_mul_i32 s4, s4, s11
	s_mul_i32 s16, s16, s13
	s_add_i32 s4, s4, s8
	s_add_i32 s4, s4, s16
	s_mul_i32 s5, s11, s17
	s_add_i32 s4, s4, s15
	s_lshl_b32 s5, s5, 11
	s_lshl_b32 s4, s4, 6
	s_add_i32 s5, s5, s4
	v_or_b32_e32 v2, s5, v0
	v_ashrrev_i32_e32 v3, 31, v2
	v_lshlrev_b64 v[2:3], 2, v[2:3]
	s_waitcnt lgkmcnt(0)
	v_mov_b32_e32 v1, s1
	v_add_co_u32_e32 v2, vcc, s0, v2
	v_addc_co_u32_e32 v3, vcc, v1, v3, vcc
	global_load_dword v8, v[2:3], off
	s_add_i32 s4, s7, s8
	s_mul_i32 s7, s6, s14
	s_add_i32 s5, s7, s14
	s_lshl_b32 s0, s5, 5
	s_add_i32 s0, s4, s0
	s_sub_i32 s0, s0, 32
	s_ashr_i32 s1, s0, 31
	s_lshl_b64 s[0:1], s[0:1], 3
	s_add_u32 s0, s2, s0
	s_addc_u32 s1, s3, s1
	s_load_dword s10, s[0:1], 0x4
	s_add_i32 s8, s5, -2
	s_cmp_lt_i32 s8, s7
	s_cbranch_scc1 .LBB57_4
; %bb.2:
	s_lshl_b32 s8, s12, 7
	s_ashr_i32 s9, s8, 31
	s_lshl_b64 s[8:9], s[8:9], 2
	s_add_u32 s8, s2, s8
	s_addc_u32 s11, s3, s9
	s_add_i32 s6, s6, 1
	s_add_i32 s9, s5, -1
	s_mul_i32 s5, s14, s6
	s_load_dword s0, s[0:1], 0x0
	s_lshl_b32 s1, s4, 6
	s_lshl_b32 s6, s5, 11
	s_add_i32 s1, s1, s6
	v_or_b32_e32 v0, s1, v0
	s_lshl_b32 s1, s5, 5
	s_add_i32 s1, s4, s1
	s_lshl_b32 s4, s12, 5
	s_add_i32 s1, s1, s4
	v_add_u32_e32 v0, 0xfffff000, v0
	s_sub_i32 s4, s1, 64
	s_waitcnt lgkmcnt(0)
	v_mov_b32_e32 v7, s10
	v_mov_b32_e32 v6, s0
	;; [unrolled: 1-line block ×3, first 2 shown]
	s_mov_b32 s6, 0x3fb8aa3b
	s_mov_b32 s10, 0xc2ce8ed0
	;; [unrolled: 1-line block ×3, first 2 shown]
	v_mov_b32_e32 v5, 0x7f800000
	s_mov_b32 s12, 0xc1a00000
.LBB57_3:                               ; =>This Inner Loop Header: Depth=1
	v_ashrrev_i32_e32 v1, 31, v0
	v_lshlrev_b64 v[10:11], 2, v[0:1]
	v_add_co_u32_e32 v10, vcc, s8, v10
	v_addc_co_u32_e32 v11, vcc, v4, v11, vcc
	global_load_dword v1, v[10:11], off
	s_ashr_i32 s5, s4, 31
	s_lshl_b64 s[0:1], s[4:5], 3
	s_add_u32 s0, s2, s0
	s_addc_u32 s1, s3, s1
	s_load_dwordx2 s[14:15], s[0:1], 0x0
	s_waitcnt vmcnt(1)
	v_mov_b32_e32 v9, v8
	v_max_f32_e32 v8, v6, v6
	v_mov_b32_e32 v10, v7
	s_add_i32 s9, s9, -1
	s_waitcnt lgkmcnt(0)
	v_max_f32_e64 v7, s14, s14
	v_max_f32_e32 v7, v8, v7
	v_sub_f32_e32 v11, s14, v7
	v_sub_f32_e32 v8, v6, v7
	v_mul_f32_e32 v12, 0x3fb8aa3b, v11
	v_mov_b32_e32 v6, v7
	v_mul_f32_e32 v7, 0x3fb8aa3b, v8
	v_fma_f32 v15, v11, s6, -v12
	v_rndne_f32_e32 v16, v12
	v_fma_f32 v13, v8, s6, -v7
	v_rndne_f32_e32 v14, v7
	v_fmac_f32_e32 v15, 0x32a5705f, v11
	v_sub_f32_e32 v12, v12, v16
	v_fmac_f32_e32 v13, 0x32a5705f, v8
	v_sub_f32_e32 v7, v7, v14
	v_add_f32_e32 v12, v12, v15
	v_cvt_i32_f32_e32 v16, v16
	v_add_f32_e32 v7, v7, v13
	v_exp_f32_e32 v12, v12
	v_cvt_i32_f32_e32 v14, v14
	v_exp_f32_e32 v7, v7
	v_cmp_ngt_f32_e32 vcc, s10, v11
	v_ldexp_f32 v12, v12, v16
	v_cmp_ngt_f32_e64 s[0:1], s10, v8
	v_ldexp_f32 v7, v7, v14
	v_cndmask_b32_e32 v12, 0, v12, vcc
	v_cmp_nlt_f32_e32 vcc, s11, v11
	v_cndmask_b32_e64 v7, 0, v7, s[0:1]
	v_cmp_nlt_f32_e64 s[0:1], s11, v8
	v_cndmask_b32_e32 v12, v5, v12, vcc
	v_cmp_le_f32_e32 vcc, s12, v11
	v_cndmask_b32_e64 v7, v5, v7, s[0:1]
	v_cmp_le_f32_e64 s[0:1], s12, v8
	v_cndmask_b32_e32 v8, 0, v12, vcc
	s_sub_i32 s4, s4, 32
	v_cndmask_b32_e64 v11, 0, v7, s[0:1]
	v_mul_f32_e32 v7, s15, v8
	v_add_u32_e32 v0, 0xfffff800, v0
	s_cmp_le_i32 s9, s7
	v_fmac_f32_e32 v7, v10, v11
	s_waitcnt vmcnt(0)
	v_mul_f32_e32 v8, v1, v8
	v_fmac_f32_e32 v8, v9, v11
	s_cbranch_scc0 .LBB57_3
	s_branch .LBB57_5
.LBB57_4:
	s_waitcnt lgkmcnt(0)
	v_mov_b32_e32 v7, s10
.LBB57_5:
	s_waitcnt vmcnt(0)
	v_div_scale_f32 v0, s[0:1], v7, v7, v8
	v_rcp_f32_e32 v1, v0
	v_div_scale_f32 v4, vcc, v8, v7, v8
	v_fma_f32 v5, -v0, v1, 1.0
	v_fmac_f32_e32 v1, v5, v1
	v_mul_f32_e32 v5, v4, v1
	v_fma_f32 v6, -v0, v5, v4
	v_fmac_f32_e32 v5, v6, v1
	v_fma_f32 v0, -v0, v5, v4
	v_div_fmas_f32 v0, v0, v1, v5
	v_div_fixup_f32 v0, v0, v7, v8
	global_store_dword v[2:3], v0, off
.LBB57_6:
	s_endpgm
	.section	.rodata,"a",@progbits
	.p2align	6, 0x0
	.amdhsa_kernel _ZL33flash_attn_stream_k_fixup_uniformILi64ELi32ELi1EEvPfPK15HIP_vector_typeIfLj2EEiiiiiiS1_IjLj3EES5_S5_
		.amdhsa_group_segment_fixed_size 0
		.amdhsa_private_segment_fixed_size 0
		.amdhsa_kernarg_size 76
		.amdhsa_user_sgpr_count 6
		.amdhsa_user_sgpr_private_segment_buffer 1
		.amdhsa_user_sgpr_dispatch_ptr 0
		.amdhsa_user_sgpr_queue_ptr 0
		.amdhsa_user_sgpr_kernarg_segment_ptr 1
		.amdhsa_user_sgpr_dispatch_id 0
		.amdhsa_user_sgpr_flat_scratch_init 0
		.amdhsa_user_sgpr_kernarg_preload_length 0
		.amdhsa_user_sgpr_kernarg_preload_offset 0
		.amdhsa_user_sgpr_private_segment_size 0
		.amdhsa_uses_dynamic_stack 0
		.amdhsa_system_sgpr_private_segment_wavefront_offset 0
		.amdhsa_system_sgpr_workgroup_id_x 1
		.amdhsa_system_sgpr_workgroup_id_y 1
		.amdhsa_system_sgpr_workgroup_id_z 1
		.amdhsa_system_sgpr_workgroup_info 0
		.amdhsa_system_vgpr_workitem_id 0
		.amdhsa_next_free_vgpr 17
		.amdhsa_next_free_sgpr 20
		.amdhsa_accum_offset 20
		.amdhsa_reserve_vcc 1
		.amdhsa_reserve_flat_scratch 0
		.amdhsa_float_round_mode_32 0
		.amdhsa_float_round_mode_16_64 0
		.amdhsa_float_denorm_mode_32 3
		.amdhsa_float_denorm_mode_16_64 3
		.amdhsa_dx10_clamp 1
		.amdhsa_ieee_mode 1
		.amdhsa_fp16_overflow 0
		.amdhsa_tg_split 0
		.amdhsa_exception_fp_ieee_invalid_op 0
		.amdhsa_exception_fp_denorm_src 0
		.amdhsa_exception_fp_ieee_div_zero 0
		.amdhsa_exception_fp_ieee_overflow 0
		.amdhsa_exception_fp_ieee_underflow 0
		.amdhsa_exception_fp_ieee_inexact 0
		.amdhsa_exception_int_div_zero 0
	.end_amdhsa_kernel
	.section	.text._ZL33flash_attn_stream_k_fixup_uniformILi64ELi32ELi1EEvPfPK15HIP_vector_typeIfLj2EEiiiiiiS1_IjLj3EES5_S5_,"axG",@progbits,_ZL33flash_attn_stream_k_fixup_uniformILi64ELi32ELi1EEvPfPK15HIP_vector_typeIfLj2EEiiiiiiS1_IjLj3EES5_S5_,comdat
.Lfunc_end57:
	.size	_ZL33flash_attn_stream_k_fixup_uniformILi64ELi32ELi1EEvPfPK15HIP_vector_typeIfLj2EEiiiiiiS1_IjLj3EES5_S5_, .Lfunc_end57-_ZL33flash_attn_stream_k_fixup_uniformILi64ELi32ELi1EEvPfPK15HIP_vector_typeIfLj2EEiiiiiiS1_IjLj3EES5_S5_
                                        ; -- End function
	.section	.AMDGPU.csdata,"",@progbits
; Kernel info:
; codeLenInByte = 836
; NumSgprs: 24
; NumVgprs: 17
; NumAgprs: 0
; TotalNumVgprs: 17
; ScratchSize: 0
; MemoryBound: 0
; FloatMode: 240
; IeeeMode: 1
; LDSByteSize: 0 bytes/workgroup (compile time only)
; SGPRBlocks: 2
; VGPRBlocks: 2
; NumSGPRsForWavesPerEU: 24
; NumVGPRsForWavesPerEU: 17
; AccumOffset: 20
; Occupancy: 8
; WaveLimiterHint : 0
; COMPUTE_PGM_RSRC2:SCRATCH_EN: 0
; COMPUTE_PGM_RSRC2:USER_SGPR: 6
; COMPUTE_PGM_RSRC2:TRAP_HANDLER: 0
; COMPUTE_PGM_RSRC2:TGID_X_EN: 1
; COMPUTE_PGM_RSRC2:TGID_Y_EN: 1
; COMPUTE_PGM_RSRC2:TGID_Z_EN: 1
; COMPUTE_PGM_RSRC2:TIDIG_COMP_CNT: 0
; COMPUTE_PGM_RSRC3_GFX90A:ACCUM_OFFSET: 4
; COMPUTE_PGM_RSRC3_GFX90A:TG_SPLIT: 0
	.section	.text._ZL33flash_attn_stream_k_fixup_generalILi64ELi32ELi1EEvPfPK15HIP_vector_typeIfLj2EEiiiiS1_IjLj3EES5_S5_S5_,"axG",@progbits,_ZL33flash_attn_stream_k_fixup_generalILi64ELi32ELi1EEvPfPK15HIP_vector_typeIfLj2EEiiiiS1_IjLj3EES5_S5_S5_,comdat
	.globl	_ZL33flash_attn_stream_k_fixup_generalILi64ELi32ELi1EEvPfPK15HIP_vector_typeIfLj2EEiiiiS1_IjLj3EES5_S5_S5_ ; -- Begin function _ZL33flash_attn_stream_k_fixup_generalILi64ELi32ELi1EEvPfPK15HIP_vector_typeIfLj2EEiiiiS1_IjLj3EES5_S5_S5_
	.p2align	8
	.type	_ZL33flash_attn_stream_k_fixup_generalILi64ELi32ELi1EEvPfPK15HIP_vector_typeIfLj2EEiiiiS1_IjLj3EES5_S5_S5_,@function
_ZL33flash_attn_stream_k_fixup_generalILi64ELi32ELi1EEvPfPK15HIP_vector_typeIfLj2EEiiiiS1_IjLj3EES5_S5_S5_: ; @_ZL33flash_attn_stream_k_fixup_generalILi64ELi32ELi1EEvPfPK15HIP_vector_typeIfLj2EEiiiiS1_IjLj3EES5_S5_S5_
; %bb.0:
	s_load_dwordx4 s[12:15], s[4:5], 0x10
	s_load_dword s9, s[4:5], 0x50
	s_mov_b32 s2, 0
	s_waitcnt lgkmcnt(0)
	s_mul_hi_i32 s3, s15, s6
	s_cmp_lg_u64 s[2:3], 0
	s_mul_i32 s2, s15, s6
	s_cbranch_scc0 .LBB58_21
; %bb.1:
	v_cvt_f32_u32_e32 v1, s9
	v_cvt_f32_ubyte0_e32 v2, 0
	s_sub_u32 s10, 0, s9
	s_subb_u32 s11, 0, 0
	v_madmk_f32 v1, v2, 0x4f800000, v1
	v_rcp_f32_e32 v1, v1
	v_mul_f32_e32 v1, 0x5f7ffffc, v1
	v_mul_f32_e32 v2, 0x2f800000, v1
	v_trunc_f32_e32 v2, v2
	v_madmk_f32 v1, v2, 0xcf800000, v1
	v_cvt_u32_f32_e32 v2, v2
	v_cvt_u32_f32_e32 v1, v1
	v_readfirstlane_b32 s16, v2
	v_readfirstlane_b32 s17, v1
	s_mul_i32 s18, s10, s16
	s_mul_hi_u32 s20, s10, s17
	s_mul_i32 s19, s11, s17
	s_add_i32 s18, s20, s18
	s_add_i32 s18, s18, s19
	s_mul_i32 s21, s10, s17
	s_mul_hi_u32 s19, s17, s18
	s_mul_i32 s20, s17, s18
	s_mul_hi_u32 s17, s17, s21
	s_add_u32 s17, s17, s20
	s_addc_u32 s19, 0, s19
	s_mul_hi_u32 s22, s16, s21
	s_mul_i32 s21, s16, s21
	s_add_u32 s17, s17, s21
	s_mul_hi_u32 s20, s16, s18
	s_addc_u32 s17, s19, s22
	s_addc_u32 s19, s20, 0
	s_mul_i32 s18, s16, s18
	s_add_u32 s17, s17, s18
	s_addc_u32 s18, 0, s19
	v_add_co_u32_e32 v1, vcc, s17, v1
	s_cmp_lg_u64 vcc, 0
	s_addc_u32 s16, s16, s18
	v_readfirstlane_b32 s18, v1
	s_mul_i32 s17, s10, s16
	s_mul_hi_u32 s19, s10, s18
	s_add_i32 s17, s19, s17
	s_mul_i32 s11, s11, s18
	s_add_i32 s17, s17, s11
	s_mul_i32 s10, s10, s18
	s_mul_hi_u32 s19, s16, s10
	s_mul_i32 s20, s16, s10
	s_mul_i32 s22, s18, s17
	s_mul_hi_u32 s10, s18, s10
	s_mul_hi_u32 s21, s18, s17
	s_add_u32 s10, s10, s22
	s_addc_u32 s18, 0, s21
	s_add_u32 s10, s10, s20
	s_mul_hi_u32 s11, s16, s17
	s_addc_u32 s10, s18, s19
	s_addc_u32 s11, s11, 0
	s_mul_i32 s17, s16, s17
	s_add_u32 s10, s10, s17
	s_addc_u32 s11, 0, s11
	v_add_co_u32_e32 v1, vcc, s10, v1
	s_cmp_lg_u64 vcc, 0
	s_addc_u32 s18, s16, s11
	s_ashr_i32 s10, s3, 31
	s_add_u32 s16, s2, s10
	s_mov_b32 s11, s10
	s_addc_u32 s17, s3, s10
	s_xor_b64 s[16:17], s[16:17], s[10:11]
	v_readfirstlane_b32 s20, v1
	s_mul_i32 s19, s16, s18
	s_mul_hi_u32 s21, s16, s20
	s_mul_hi_u32 s3, s16, s18
	s_add_u32 s19, s21, s19
	s_addc_u32 s3, 0, s3
	s_mul_hi_u32 s22, s17, s20
	s_mul_i32 s20, s17, s20
	s_add_u32 s19, s19, s20
	s_mul_hi_u32 s21, s17, s18
	s_addc_u32 s3, s3, s22
	s_addc_u32 s19, s21, 0
	s_mul_i32 s18, s17, s18
	s_add_u32 s3, s3, s18
	s_addc_u32 s18, 0, s19
	s_add_u32 s19, s3, 1
	s_addc_u32 s20, s18, 0
	s_add_u32 s21, s3, 2
	s_mul_i32 s23, s9, s18
	s_mul_hi_u32 s24, s9, s3
	s_addc_u32 s22, s18, 0
	s_add_i32 s24, s24, s23
	s_mul_i32 s23, s9, s3
	v_mov_b32_e32 v1, s23
	v_sub_co_u32_e32 v1, vcc, s16, v1
	s_cmp_lg_u64 vcc, 0
	s_subb_u32 s16, s17, s24
	v_subrev_co_u32_e32 v2, vcc, s9, v1
	s_cmp_lg_u64 vcc, 0
	s_subb_u32 s17, s16, 0
	v_readfirstlane_b32 s23, v2
	s_cmp_ge_u32 s23, s9
	s_cselect_b32 s23, -1, 0
	s_cmp_eq_u32 s17, 0
	s_cselect_b32 s17, s23, -1
	s_cmp_lg_u32 s17, 0
	s_cselect_b32 s17, s22, s20
	v_readfirstlane_b32 s20, v1
	s_cselect_b32 s19, s21, s19
	s_cmp_ge_u32 s20, s9
	s_cselect_b32 s20, -1, 0
	s_cmp_eq_u32 s16, 0
	s_cselect_b32 s16, s20, -1
	s_cmp_lg_u32 s16, 0
	s_cselect_b32 s17, s17, s18
	s_cselect_b32 s16, s19, s3
	s_xor_b64 s[16:17], s[16:17], s[10:11]
	s_sub_u32 s20, s16, s10
	s_load_dwordx4 s[16:19], s[4:5], 0x44
	s_cbranch_execnz .LBB58_3
.LBB58_2:
	v_cvt_f32_u32_e32 v1, s9
	s_sub_i32 s0, 0, s9
	v_rcp_iflag_f32_e32 v1, v1
	v_mul_f32_e32 v1, 0x4f7ffffe, v1
	v_cvt_u32_f32_e32 v1, v1
	v_readfirstlane_b32 s1, v1
	s_mul_i32 s0, s0, s1
	s_mul_hi_u32 s0, s1, s0
	s_add_i32 s1, s1, s0
	s_mul_hi_u32 s0, s2, s1
	s_mul_i32 s3, s0, s9
	s_sub_i32 s2, s2, s3
	s_add_i32 s1, s0, 1
	s_sub_i32 s3, s2, s9
	s_cmp_ge_u32 s2, s9
	s_cselect_b32 s0, s1, s0
	s_cselect_b32 s2, s3, s2
	s_add_i32 s1, s0, 1
	s_cmp_ge_u32 s2, s9
	s_cselect_b32 s20, s1, s0
.LBB58_3:
	s_add_i32 s0, s6, 1
	s_mul_hi_i32 s3, s15, s0
	s_mov_b32 s2, 0
	s_cmp_lg_u64 s[2:3], 0
	s_mul_i32 s2, s15, s0
	s_cbranch_scc0 .LBB58_22
; %bb.4:
	v_cvt_f32_u32_e32 v1, s9
	v_cvt_f32_ubyte0_e32 v2, 0
	s_sub_u32 s10, 0, s9
	s_subb_u32 s11, 0, 0
	v_madmk_f32 v1, v2, 0x4f800000, v1
	v_rcp_f32_e32 v1, v1
	v_mul_f32_e32 v1, 0x5f7ffffc, v1
	v_mul_f32_e32 v2, 0x2f800000, v1
	v_trunc_f32_e32 v2, v2
	v_madmk_f32 v1, v2, 0xcf800000, v1
	v_cvt_u32_f32_e32 v2, v2
	v_cvt_u32_f32_e32 v1, v1
	s_waitcnt lgkmcnt(0)
	v_readfirstlane_b32 s19, v2
	v_readfirstlane_b32 s21, v1
	s_mul_i32 s22, s10, s19
	s_mul_hi_u32 s24, s10, s21
	s_mul_i32 s23, s11, s21
	s_add_i32 s22, s24, s22
	s_add_i32 s22, s22, s23
	s_mul_i32 s25, s10, s21
	s_mul_hi_u32 s23, s21, s22
	s_mul_i32 s24, s21, s22
	s_mul_hi_u32 s21, s21, s25
	s_add_u32 s21, s21, s24
	s_addc_u32 s23, 0, s23
	s_mul_hi_u32 s26, s19, s25
	s_mul_i32 s25, s19, s25
	s_add_u32 s21, s21, s25
	s_mul_hi_u32 s24, s19, s22
	s_addc_u32 s21, s23, s26
	s_addc_u32 s23, s24, 0
	s_mul_i32 s22, s19, s22
	s_add_u32 s21, s21, s22
	s_addc_u32 s22, 0, s23
	v_add_co_u32_e32 v1, vcc, s21, v1
	s_cmp_lg_u64 vcc, 0
	s_addc_u32 s19, s19, s22
	v_readfirstlane_b32 s22, v1
	s_mul_i32 s21, s10, s19
	s_mul_hi_u32 s23, s10, s22
	s_add_i32 s21, s23, s21
	s_mul_i32 s11, s11, s22
	s_add_i32 s21, s21, s11
	s_mul_i32 s10, s10, s22
	s_mul_hi_u32 s23, s19, s10
	s_mul_i32 s24, s19, s10
	s_mul_i32 s26, s22, s21
	s_mul_hi_u32 s10, s22, s10
	s_mul_hi_u32 s25, s22, s21
	s_add_u32 s10, s10, s26
	s_addc_u32 s22, 0, s25
	s_add_u32 s10, s10, s24
	s_mul_hi_u32 s11, s19, s21
	s_addc_u32 s10, s22, s23
	s_addc_u32 s11, s11, 0
	s_mul_i32 s21, s19, s21
	s_add_u32 s10, s10, s21
	s_addc_u32 s11, 0, s11
	v_add_co_u32_e32 v1, vcc, s10, v1
	s_cmp_lg_u64 vcc, 0
	s_addc_u32 s19, s19, s11
	s_ashr_i32 s10, s3, 31
	s_add_u32 s22, s2, s10
	s_mov_b32 s11, s10
	s_addc_u32 s23, s3, s10
	s_xor_b64 s[22:23], s[22:23], s[10:11]
	v_readfirstlane_b32 s21, v1
	s_mul_i32 s11, s22, s19
	s_mul_hi_u32 s24, s22, s21
	s_mul_hi_u32 s3, s22, s19
	s_add_u32 s11, s24, s11
	s_addc_u32 s3, 0, s3
	s_mul_hi_u32 s25, s23, s21
	s_mul_i32 s21, s23, s21
	s_add_u32 s11, s11, s21
	s_mul_hi_u32 s24, s23, s19
	s_addc_u32 s3, s3, s25
	s_addc_u32 s11, s24, 0
	s_mul_i32 s19, s23, s19
	s_add_u32 s3, s3, s19
	s_addc_u32 s11, 0, s11
	s_mul_i32 s11, s9, s11
	s_mul_hi_u32 s24, s9, s3
	s_add_i32 s24, s24, s11
	s_mul_i32 s11, s9, s3
	v_mov_b32_e32 v1, s11
	s_add_u32 s19, s3, 1
	s_add_u32 s21, s3, 2
	v_sub_co_u32_e32 v1, vcc, s22, v1
	s_cmp_lg_u64 vcc, 0
	s_subb_u32 s11, s23, s24
	v_subrev_co_u32_e32 v2, vcc, s9, v1
	s_cmp_lg_u64 vcc, 0
	s_subb_u32 s22, s11, 0
	v_cmp_le_u32_e32 vcc, s9, v2
	s_cmp_eq_u32 s22, 0
	v_cndmask_b32_e64 v2, 0, -1, vcc
	s_cselect_b64 vcc, -1, 0
	v_cndmask_b32_e32 v2, -1, v2, vcc
	v_mov_b32_e32 v3, s19
	v_mov_b32_e32 v4, s21
	v_cmp_ne_u32_e32 vcc, 0, v2
	v_cndmask_b32_e32 v2, v3, v4, vcc
	v_cmp_le_u32_e32 vcc, s9, v1
	s_cmp_eq_u32 s11, 0
	v_cndmask_b32_e64 v1, 0, -1, vcc
	s_cselect_b64 vcc, -1, 0
	v_cndmask_b32_e32 v1, -1, v1, vcc
	v_mov_b32_e32 v3, s3
	v_cmp_ne_u32_e32 vcc, 0, v1
	v_cndmask_b32_e32 v1, v3, v2, vcc
	v_xor_b32_e32 v1, s10, v1
	v_subrev_co_u32_e32 v2, vcc, s10, v1
	s_cbranch_execnz .LBB58_6
.LBB58_5:
	v_cvt_f32_u32_e32 v1, s9
	s_sub_i32 s0, 0, s9
	s_mov_b32 s1, 0
	v_rcp_iflag_f32_e32 v1, v1
	v_mul_f32_e32 v1, 0x4f7ffffe, v1
	v_cvt_u32_f32_e32 v1, v1
	v_readfirstlane_b32 s3, v1
	s_mul_i32 s0, s0, s3
	s_mul_hi_u32 s0, s3, s0
	s_add_i32 s3, s3, s0
	s_mul_hi_u32 s0, s2, s3
	s_mul_i32 s10, s0, s9
	s_sub_i32 s2, s2, s10
	s_add_i32 s3, s0, 1
	s_sub_i32 s10, s2, s9
	s_cmp_ge_u32 s2, s9
	s_cselect_b32 s0, s3, s0
	s_cselect_b32 s2, s10, s2
	s_add_i32 s3, s0, 1
	s_cmp_ge_u32 s2, s9
	s_cselect_b32 s0, s3, s0
	v_pk_mov_b32 v[2:3], s[0:1], s[0:1] op_sel:[0,1]
.LBB58_6:
	s_waitcnt lgkmcnt(0)
	s_mul_hi_u32 s0, s20, s16
	s_add_i32 s0, s0, s20
	v_mul_hi_u32 v1, v2, s16
	s_lshr_b32 s19, s0, s17
	v_add_u32_e32 v1, v1, v2
	s_mul_i32 s0, s19, s18
	v_lshrrev_b32_e32 v1, s17, v1
	s_cmp_eq_u32 s0, s20
	v_cmp_eq_u32_e64 s[0:1], s19, v1
	v_mul_lo_u32 v1, v1, s18
	v_cmp_eq_u32_e32 vcc, s20, v2
	s_cselect_b64 s[10:11], -1, 0
	v_cmp_ne_u32_e64 s[2:3], v1, v2
	s_and_b64 s[0:1], s[0:1], s[2:3]
	s_or_b64 s[2:3], vcc, s[10:11]
	s_or_b64 s[0:1], s[2:3], s[0:1]
	s_and_b64 vcc, exec, s[0:1]
	s_cbranch_vccnz .LBB58_24
; %bb.7:
	s_load_dwordx8 s[24:31], s[4:5], 0x20
	s_load_dword s0, s[4:5], 0x40
	s_mov_b32 s10, 0
	s_waitcnt lgkmcnt(0)
	s_mul_hi_u32 s1, s20, s24
	s_add_i32 s1, s1, s20
	s_lshr_b32 s11, s1, s25
	s_mul_i32 s1, s11, s26
	s_sub_i32 s1, s20, s1
	s_mul_hi_u32 s2, s1, s27
	s_add_i32 s2, s1, s2
	s_lshr_b32 s25, s2, s28
	s_mul_i32 s2, s25, s29
	s_sub_i32 s1, s1, s2
	;; [unrolled: 5-line block ×3, first 2 shown]
	s_mul_hi_u32 s1, s0, s16
	s_add_i32 s0, s0, s1
	s_lshr_b32 s26, s0, s17
	s_lshl_b32 s0, s26, 5
	s_add_i32 s0, s0, s7
	s_cmp_lt_i32 s0, s12
	s_cselect_b64 s[0:1], -1, 0
	s_add_i32 s2, s24, s8
	s_cmp_lt_i32 s2, s14
	s_cselect_b64 s[2:3], -1, 0
	s_and_b64 s[0:1], s[0:1], s[2:3]
	s_andn2_b64 vcc, exec, s[0:1]
	s_cbranch_vccnz .LBB58_24
; %bb.8:
	s_load_dwordx4 s[0:3], s[4:5], 0x0
	s_lshl_b32 s4, s9, 7
	s_mov_b32 s5, s10
	s_add_i32 s21, s7, s8
	s_lshl_b64 s[4:5], s[4:5], 2
	s_waitcnt lgkmcnt(0)
	s_add_u32 s22, s2, s4
	s_mul_i32 s4, s11, s12
	s_addc_u32 s23, s3, s5
	s_add_i32 s4, s4, s7
	s_mul_i32 s4, s4, s13
	s_mul_i32 s25, s25, s14
	s_add_i32 s4, s4, s8
	s_add_i32 s4, s4, s25
	s_mul_i32 s5, s13, s26
	s_add_i32 s4, s4, s24
	s_lshl_b32 s5, s5, 11
	s_lshl_b32 s4, s4, 6
	s_add_i32 s5, s5, s4
	v_or_b32_e32 v2, s5, v0
	v_ashrrev_i32_e32 v3, 31, v2
	v_lshlrev_b64 v[2:3], 2, v[2:3]
	v_mov_b32_e32 v1, s1
	v_add_co_u32_e32 v2, vcc, s0, v2
	v_addc_co_u32_e32 v3, vcc, v1, v3, vcc
	global_load_dword v5, v[2:3], off
	v_lshl_or_b32 v4, s21, 6, v0
	v_cvt_f32_u32_e32 v0, s9
	v_cvt_f32_ubyte0_e32 v1, 0
	s_lshl_b32 s0, s6, 5
	s_add_i32 s0, s0, s21
	v_mac_f32_e32 v0, 0x4f800000, v1
	v_rcp_f32_e32 v0, v0
	v_cvt_f32_u32_e32 v1, s9
	s_ashr_i32 s1, s0, 31
	s_lshl_b64 s[0:1], s[0:1], 3
	v_mul_f32_e32 v0, 0x5f7ffffc, v0
	v_rcp_iflag_f32_e32 v1, v1
	s_add_u32 s0, s2, s0
	v_mul_f32_e32 v9, 0x2f800000, v0
	s_addc_u32 s1, s3, s1
	v_trunc_f32_e32 v10, v9
	s_load_dwordx2 s[0:1], s[0:1], 0x0
	v_mac_f32_e32 v0, 0xcf800000, v10
	v_cvt_u32_f32_e32 v9, v0
	v_mul_f32_e32 v0, 0x4f7ffffe, v1
	v_cvt_u32_f32_e32 v10, v10
	v_cvt_u32_f32_e32 v11, v0
	s_add_i32 s8, s6, -1
	s_waitcnt lgkmcnt(0)
	v_mov_b32_e32 v6, s1
	v_mov_b32_e32 v7, s0
	;; [unrolled: 1-line block ×3, first 2 shown]
	s_mov_b32 s6, 0x3fb8aa3b
	s_mov_b32 s7, 0xc2ce8ed0
	;; [unrolled: 1-line block ×4, first 2 shown]
	v_mov_b32_e32 v12, 0x7f800000
	s_mul_hi_i32 s11, s8, s15
	s_cmp_lg_u64 s[10:11], 0
	s_mul_i32 s4, s8, s15
	s_cbranch_scc0 .LBB58_15
.LBB58_9:
	s_sub_u32 s0, 0, s9
	v_readfirstlane_b32 s5, v9
	v_readfirstlane_b32 s24, v10
	s_subb_u32 s1, 0, 0
	s_mul_hi_u32 s20, s0, s5
	s_mul_i32 s25, s0, s24
	s_mul_i32 s14, s1, s5
	s_add_i32 s20, s20, s25
	s_add_i32 s20, s20, s14
	s_mul_i32 s26, s0, s5
	s_mul_hi_u32 s14, s5, s20
	s_mul_i32 s25, s5, s20
	s_mul_hi_u32 s5, s5, s26
	s_add_u32 s5, s5, s25
	s_addc_u32 s14, 0, s14
	s_mul_hi_u32 s27, s24, s26
	s_mul_i32 s26, s24, s26
	s_add_u32 s5, s5, s26
	s_mul_hi_u32 s25, s24, s20
	s_addc_u32 s5, s14, s27
	s_addc_u32 s14, s25, 0
	s_mul_i32 s20, s24, s20
	s_add_u32 s5, s5, s20
	s_addc_u32 s14, 0, s14
	v_add_co_u32_e32 v0, vcc, s5, v9
	s_cmp_lg_u64 vcc, 0
	s_addc_u32 s5, s24, s14
	v_readfirstlane_b32 s20, v0
	s_mul_i32 s14, s0, s5
	s_mul_hi_u32 s24, s0, s20
	s_add_i32 s14, s24, s14
	s_mul_i32 s1, s1, s20
	s_add_i32 s14, s14, s1
	s_mul_i32 s0, s0, s20
	s_mul_hi_u32 s24, s5, s0
	s_mul_i32 s25, s5, s0
	s_mul_i32 s27, s20, s14
	s_mul_hi_u32 s0, s20, s0
	s_mul_hi_u32 s26, s20, s14
	s_add_u32 s0, s0, s27
	s_addc_u32 s20, 0, s26
	s_add_u32 s0, s0, s25
	s_mul_hi_u32 s1, s5, s14
	s_addc_u32 s0, s20, s24
	s_addc_u32 s1, s1, 0
	s_mul_i32 s14, s5, s14
	s_add_u32 s0, s0, s14
	s_addc_u32 s1, 0, s1
	v_add_co_u32_e32 v0, vcc, s0, v0
	s_cmp_lg_u64 vcc, 0
	s_addc_u32 s5, s5, s1
	s_ashr_i32 s0, s11, 31
	s_add_u32 s24, s4, s0
	s_mov_b32 s1, s0
	s_addc_u32 s25, s11, s0
	s_xor_b64 s[24:25], s[24:25], s[0:1]
	v_readfirstlane_b32 s14, v0
	s_mul_i32 s11, s24, s5
	s_mul_hi_u32 s20, s24, s14
	s_mul_hi_u32 s1, s24, s5
	s_add_u32 s11, s20, s11
	s_addc_u32 s1, 0, s1
	s_mul_hi_u32 s26, s25, s14
	s_mul_i32 s14, s25, s14
	s_add_u32 s11, s11, s14
	s_mul_hi_u32 s20, s25, s5
	s_addc_u32 s1, s1, s26
	s_addc_u32 s11, s20, 0
	s_mul_i32 s5, s25, s5
	s_add_u32 s1, s1, s5
	s_addc_u32 s5, 0, s11
	s_mul_i32 s5, s9, s5
	s_mul_hi_u32 s20, s9, s1
	s_add_i32 s20, s20, s5
	s_mul_i32 s5, s9, s1
	v_mov_b32_e32 v0, s5
	s_add_u32 s11, s1, 1
	s_add_u32 s14, s1, 2
	v_sub_co_u32_e32 v0, vcc, s24, v0
	s_cmp_lg_u64 vcc, 0
	s_subb_u32 s5, s25, s20
	v_subrev_co_u32_e32 v1, vcc, s9, v0
	s_cmp_lg_u64 vcc, 0
	s_subb_u32 s20, s5, 0
	v_cmp_le_u32_e32 vcc, s9, v1
	s_cmp_eq_u32 s20, 0
	v_cndmask_b32_e64 v1, 0, -1, vcc
	s_cselect_b64 vcc, -1, 0
	v_cndmask_b32_e32 v1, -1, v1, vcc
	v_mov_b32_e32 v13, s11
	v_mov_b32_e32 v14, s14
	v_cmp_ne_u32_e32 vcc, 0, v1
	v_cndmask_b32_e32 v1, v13, v14, vcc
	v_cmp_le_u32_e32 vcc, s9, v0
	s_cmp_eq_u32 s5, 0
	v_cndmask_b32_e64 v0, 0, -1, vcc
	s_cselect_b64 vcc, -1, 0
	v_cndmask_b32_e32 v0, -1, v0, vcc
	v_mov_b32_e32 v13, s1
	v_cmp_ne_u32_e32 vcc, 0, v0
	v_cndmask_b32_e32 v0, v13, v1, vcc
	v_xor_b32_e32 v0, s0, v0
	v_subrev_co_u32_e32 v0, vcc, s0, v0
	s_cbranch_execnz .LBB58_11
.LBB58_10:
	s_sub_i32 s0, 0, s9
	v_mul_lo_u32 v0, s0, v11
	v_mul_hi_u32 v0, v11, v0
	v_add_u32_e32 v0, v11, v0
	v_mul_hi_u32 v0, s4, v0
	v_mul_lo_u32 v13, v0, s9
	v_sub_u32_e32 v13, s4, v13
	v_add_u32_e32 v1, 1, v0
	v_subrev_u32_e32 v14, s9, v13
	v_cmp_le_u32_e32 vcc, s9, v13
	v_cndmask_b32_e32 v13, v13, v14, vcc
	v_cndmask_b32_e32 v0, v0, v1, vcc
	v_add_u32_e32 v1, 1, v0
	v_cmp_le_u32_e32 vcc, s9, v13
	v_cndmask_b32_e32 v0, v0, v1, vcc
.LBB58_11:
	v_cmp_ne_u32_e32 vcc, v8, v0
	s_cbranch_vccz .LBB58_14
; %bb.12:
	s_add_i32 s0, s8, s9
	s_lshl_b32 s0, s0, 5
	v_mul_hi_u32 v1, v0, s16
	s_add_i32 s0, s0, s21
	s_mov_b32 s1, s10
	v_add_u32_e32 v1, v1, v0
	s_lshl_b64 s[0:1], s[0:1], 3
	v_lshrrev_b32_e32 v1, s17, v1
	s_add_u32 s4, s2, s0
	v_mul_lo_u32 v13, v1, s18
	s_addc_u32 s5, s3, s1
	v_cmp_eq_u32_e32 vcc, v13, v0
	v_cmp_gt_u32_e64 s[0:1], s19, v1
	s_or_b64 s[0:1], s[0:1], vcc
	s_and_b64 vcc, exec, s[0:1]
	s_cbranch_vccnz .LBB58_16
; %bb.13:
	s_add_i32 s11, s8, -1
	s_mov_b64 s[0:1], 0
	s_branch .LBB58_17
.LBB58_14:
                                        ; implicit-def: $sgpr0_sgpr1
                                        ; implicit-def: $vgpr14
                                        ; implicit-def: $vgpr1
                                        ; implicit-def: $vgpr13
                                        ; implicit-def: $sgpr11
                                        ; implicit-def: $vgpr0
	s_branch .LBB58_18
.LBB58_15:
                                        ; implicit-def: $vgpr0_vgpr1
	s_branch .LBB58_10
.LBB58_16:
	s_mov_b64 s[0:1], -1
	s_mov_b32 s11, s8
	v_mov_b32_e32 v0, v8
.LBB58_17:
	v_lshl_add_u32 v14, s8, 11, v4
	v_ashrrev_i32_e32 v15, 31, v14
	v_lshlrev_b64 v[14:15], 2, v[14:15]
	v_mov_b32_e32 v1, s23
	v_add_co_u32_e32 v14, vcc, s22, v14
	v_addc_co_u32_e32 v15, vcc, v1, v15, vcc
	global_load_dword v14, v[14:15], off
	s_load_dwordx2 s[4:5], s[4:5], 0x0
	v_max_f32_e32 v1, v7, v7
	s_waitcnt lgkmcnt(0)
	v_max_f32_e64 v13, s4, s4
	v_max_f32_e32 v1, v1, v13
	v_sub_f32_e32 v13, v7, v1
	v_sub_f32_e32 v15, s4, v1
	v_mul_f32_e32 v16, 0x3fb8aa3b, v13
	v_mul_f32_e32 v17, 0x3fb8aa3b, v15
	v_fma_f32 v18, v13, s6, -v16
	v_rndne_f32_e32 v19, v16
	v_fma_f32 v20, v15, s6, -v17
	v_rndne_f32_e32 v21, v17
	v_fmac_f32_e32 v18, 0x32a5705f, v13
	v_sub_f32_e32 v16, v16, v19
	v_fmac_f32_e32 v20, 0x32a5705f, v15
	v_sub_f32_e32 v17, v17, v21
	v_add_f32_e32 v16, v16, v18
	v_cvt_i32_f32_e32 v19, v19
	v_add_f32_e32 v17, v17, v20
	v_exp_f32_e32 v16, v16
	v_cvt_i32_f32_e32 v21, v21
	v_exp_f32_e32 v17, v17
	v_cmp_ngt_f32_e32 vcc, s7, v13
	v_ldexp_f32 v16, v16, v19
	v_cndmask_b32_e32 v16, 0, v16, vcc
	v_ldexp_f32 v17, v17, v21
	v_cmp_ngt_f32_e32 vcc, s7, v15
	v_cndmask_b32_e32 v17, 0, v17, vcc
	v_cmp_nlt_f32_e32 vcc, s12, v13
	v_cndmask_b32_e32 v16, v12, v16, vcc
	v_cmp_nlt_f32_e32 vcc, s12, v15
	v_cndmask_b32_e32 v17, v12, v17, vcc
	v_cmp_le_f32_e32 vcc, s13, v13
	v_cndmask_b32_e32 v16, 0, v16, vcc
	v_cmp_le_f32_e32 vcc, s13, v15
	v_cndmask_b32_e32 v15, 0, v17, vcc
	v_mul_f32_e32 v13, s5, v15
	v_fmac_f32_e32 v13, v6, v16
	s_waitcnt vmcnt(0)
	v_mul_f32_e32 v14, v14, v15
	v_fmac_f32_e32 v14, v5, v16
	s_cbranch_execnz .LBB58_19
.LBB58_18:
	s_add_i32 s11, s8, -1
	s_mov_b64 s[0:1], 0
	v_mov_b32_e32 v0, v8
	v_mov_b32_e32 v13, v6
	v_mov_b32_e32 v1, v7
	s_waitcnt vmcnt(0)
	v_mov_b32_e32 v14, v5
.LBB58_19:
	s_andn2_b64 vcc, exec, s[0:1]
	s_cbranch_vccz .LBB58_23
; %bb.20:
	v_mov_b32_e32 v8, v0
	s_mov_b32 s8, s11
	v_mov_b32_e32 v6, v13
	v_mov_b32_e32 v7, v1
	s_waitcnt vmcnt(0)
	v_mov_b32_e32 v5, v14
	s_mul_hi_i32 s11, s8, s15
	s_cmp_lg_u64 s[10:11], 0
	s_mul_i32 s4, s8, s15
	s_cbranch_scc1 .LBB58_9
	s_branch .LBB58_15
.LBB58_21:
                                        ; implicit-def: $sgpr20_sgpr21
	s_load_dwordx4 s[16:19], s[4:5], 0x44
	s_branch .LBB58_2
.LBB58_22:
                                        ; implicit-def: $vgpr2_vgpr3
	s_branch .LBB58_5
.LBB58_23:
	v_div_scale_f32 v0, s[0:1], v13, v13, v14
	v_rcp_f32_e32 v1, v0
	v_div_scale_f32 v4, vcc, v14, v13, v14
	s_waitcnt vmcnt(0)
	v_fma_f32 v5, -v0, v1, 1.0
	v_fmac_f32_e32 v1, v5, v1
	v_mul_f32_e32 v5, v4, v1
	v_fma_f32 v6, -v0, v5, v4
	v_fmac_f32_e32 v5, v6, v1
	v_fma_f32 v0, -v0, v5, v4
	v_div_fmas_f32 v0, v0, v1, v5
	v_div_fixup_f32 v0, v0, v13, v14
	global_store_dword v[2:3], v0, off
.LBB58_24:
	s_endpgm
	.section	.rodata,"a",@progbits
	.p2align	6, 0x0
	.amdhsa_kernel _ZL33flash_attn_stream_k_fixup_generalILi64ELi32ELi1EEvPfPK15HIP_vector_typeIfLj2EEiiiiS1_IjLj3EES5_S5_S5_
		.amdhsa_group_segment_fixed_size 0
		.amdhsa_private_segment_fixed_size 0
		.amdhsa_kernarg_size 336
		.amdhsa_user_sgpr_count 6
		.amdhsa_user_sgpr_private_segment_buffer 1
		.amdhsa_user_sgpr_dispatch_ptr 0
		.amdhsa_user_sgpr_queue_ptr 0
		.amdhsa_user_sgpr_kernarg_segment_ptr 1
		.amdhsa_user_sgpr_dispatch_id 0
		.amdhsa_user_sgpr_flat_scratch_init 0
		.amdhsa_user_sgpr_kernarg_preload_length 0
		.amdhsa_user_sgpr_kernarg_preload_offset 0
		.amdhsa_user_sgpr_private_segment_size 0
		.amdhsa_uses_dynamic_stack 0
		.amdhsa_system_sgpr_private_segment_wavefront_offset 0
		.amdhsa_system_sgpr_workgroup_id_x 1
		.amdhsa_system_sgpr_workgroup_id_y 1
		.amdhsa_system_sgpr_workgroup_id_z 1
		.amdhsa_system_sgpr_workgroup_info 0
		.amdhsa_system_vgpr_workitem_id 0
		.amdhsa_next_free_vgpr 22
		.amdhsa_next_free_sgpr 32
		.amdhsa_accum_offset 24
		.amdhsa_reserve_vcc 1
		.amdhsa_reserve_flat_scratch 0
		.amdhsa_float_round_mode_32 0
		.amdhsa_float_round_mode_16_64 0
		.amdhsa_float_denorm_mode_32 3
		.amdhsa_float_denorm_mode_16_64 3
		.amdhsa_dx10_clamp 1
		.amdhsa_ieee_mode 1
		.amdhsa_fp16_overflow 0
		.amdhsa_tg_split 0
		.amdhsa_exception_fp_ieee_invalid_op 0
		.amdhsa_exception_fp_denorm_src 0
		.amdhsa_exception_fp_ieee_div_zero 0
		.amdhsa_exception_fp_ieee_overflow 0
		.amdhsa_exception_fp_ieee_underflow 0
		.amdhsa_exception_fp_ieee_inexact 0
		.amdhsa_exception_int_div_zero 0
	.end_amdhsa_kernel
	.section	.text._ZL33flash_attn_stream_k_fixup_generalILi64ELi32ELi1EEvPfPK15HIP_vector_typeIfLj2EEiiiiS1_IjLj3EES5_S5_S5_,"axG",@progbits,_ZL33flash_attn_stream_k_fixup_generalILi64ELi32ELi1EEvPfPK15HIP_vector_typeIfLj2EEiiiiS1_IjLj3EES5_S5_S5_,comdat
.Lfunc_end58:
	.size	_ZL33flash_attn_stream_k_fixup_generalILi64ELi32ELi1EEvPfPK15HIP_vector_typeIfLj2EEiiiiS1_IjLj3EES5_S5_S5_, .Lfunc_end58-_ZL33flash_attn_stream_k_fixup_generalILi64ELi32ELi1EEvPfPK15HIP_vector_typeIfLj2EEiiiiS1_IjLj3EES5_S5_S5_
                                        ; -- End function
	.section	.AMDGPU.csdata,"",@progbits
; Kernel info:
; codeLenInByte = 2816
; NumSgprs: 36
; NumVgprs: 22
; NumAgprs: 0
; TotalNumVgprs: 22
; ScratchSize: 0
; MemoryBound: 0
; FloatMode: 240
; IeeeMode: 1
; LDSByteSize: 0 bytes/workgroup (compile time only)
; SGPRBlocks: 4
; VGPRBlocks: 2
; NumSGPRsForWavesPerEU: 36
; NumVGPRsForWavesPerEU: 22
; AccumOffset: 24
; Occupancy: 8
; WaveLimiterHint : 0
; COMPUTE_PGM_RSRC2:SCRATCH_EN: 0
; COMPUTE_PGM_RSRC2:USER_SGPR: 6
; COMPUTE_PGM_RSRC2:TRAP_HANDLER: 0
; COMPUTE_PGM_RSRC2:TGID_X_EN: 1
; COMPUTE_PGM_RSRC2:TGID_Y_EN: 1
; COMPUTE_PGM_RSRC2:TGID_Z_EN: 1
; COMPUTE_PGM_RSRC2:TIDIG_COMP_CNT: 0
; COMPUTE_PGM_RSRC3_GFX90A:ACCUM_OFFSET: 5
; COMPUTE_PGM_RSRC3_GFX90A:TG_SPLIT: 0
	.section	.text._ZL15flash_attn_tileILi64ELi64ELi16ELi1ELb0EEvPKcS1_S1_S1_S1_PKiPfP15HIP_vector_typeIfLj2EEffffjfiS5_IjLj3EEiiiiiiiiiiiliiliiiiil,"axG",@progbits,_ZL15flash_attn_tileILi64ELi64ELi16ELi1ELb0EEvPKcS1_S1_S1_S1_PKiPfP15HIP_vector_typeIfLj2EEffffjfiS5_IjLj3EEiiiiiiiiiiiliiliiiiil,comdat
	.globl	_ZL15flash_attn_tileILi64ELi64ELi16ELi1ELb0EEvPKcS1_S1_S1_S1_PKiPfP15HIP_vector_typeIfLj2EEffffjfiS5_IjLj3EEiiiiiiiiiiiliiliiiiil ; -- Begin function _ZL15flash_attn_tileILi64ELi64ELi16ELi1ELb0EEvPKcS1_S1_S1_S1_PKiPfP15HIP_vector_typeIfLj2EEffffjfiS5_IjLj3EEiiiiiiiiiiiliiliiiiil
	.p2align	8
	.type	_ZL15flash_attn_tileILi64ELi64ELi16ELi1ELb0EEvPKcS1_S1_S1_S1_PKiPfP15HIP_vector_typeIfLj2EEffffjfiS5_IjLj3EEiiiiiiiiiiiliiliiiiil,@function
_ZL15flash_attn_tileILi64ELi64ELi16ELi1ELb0EEvPKcS1_S1_S1_S1_PKiPfP15HIP_vector_typeIfLj2EEffffjfiS5_IjLj3EEiiiiiiiiiiiliiliiiiil: ; @_ZL15flash_attn_tileILi64ELi64ELi16ELi1ELb0EEvPKcS1_S1_S1_S1_PKiPfP15HIP_vector_typeIfLj2EEffffjfiS5_IjLj3EEiiiiiiiiiiiliiliiiiil
; %bb.0:
	s_load_dwordx4 s[36:39], s[6:7], 0x5c
	s_load_dwordx2 s[42:43], s[6:7], 0x80
	s_load_dwordx16 s[16:31], s[6:7], 0x0
	s_load_dwordx2 s[44:45], s[6:7], 0xb8
	s_mov_b64 s[40:41], 0
	s_waitcnt lgkmcnt(0)
	v_cvt_f32_u32_e32 v1, s39
	s_sub_i32 s0, 0, s39
	v_rcp_iflag_f32_e32 v1, v1
	v_mul_f32_e32 v1, 0x4f7ffffe, v1
	v_cvt_u32_f32_e32 v1, v1
	v_readfirstlane_b32 s1, v1
	s_mul_i32 s0, s0, s1
	s_mul_hi_u32 s0, s1, s0
	s_add_i32 s1, s1, s0
	s_mul_hi_u32 s0, s10, s1
	s_mul_i32 s1, s0, s39
	s_sub_i32 s1, s10, s1
	s_add_i32 s2, s0, 1
	s_sub_i32 s3, s1, s39
	s_cmp_ge_u32 s1, s39
	s_cselect_b32 s0, s2, s0
	s_cselect_b32 s1, s3, s1
	s_add_i32 s2, s0, 1
	s_cmp_ge_u32 s1, s39
	s_cselect_b32 s33, s2, s0
	s_abs_i32 s0, s43
	v_cvt_f32_u32_e32 v1, s0
	s_mul_i32 s3, s33, s39
	s_sub_i32 s11, 0, s0
	s_sub_i32 s34, s10, s3
	v_rcp_iflag_f32_e32 v1, v1
	s_abs_i32 s2, s39
	s_xor_b32 s1, s39, s43
	s_ashr_i32 s1, s1, 31
	v_mul_f32_e32 v1, 0x4f7ffffe, v1
	v_cvt_u32_f32_e32 v1, v1
	v_readfirstlane_b32 s3, v1
	s_mul_i32 s11, s11, s3
	s_mul_hi_u32 s10, s3, s11
	s_add_i32 s3, s3, s10
	s_mul_hi_u32 s3, s2, s3
	s_mul_i32 s10, s3, s0
	s_sub_i32 s2, s2, s10
	s_add_i32 s11, s3, 1
	s_sub_i32 s10, s2, s0
	s_cmp_ge_u32 s2, s0
	s_cselect_b32 s3, s11, s3
	s_cselect_b32 s2, s10, s2
	s_add_i32 s10, s3, 1
	s_cmp_ge_u32 s2, s0
	s_cselect_b32 s0, s10, s3
	s_xor_b32 s0, s0, s1
	s_sub_i32 s43, s0, s1
	s_abs_i32 s46, s43
	v_cvt_f32_u32_e32 v1, s46
	s_sub_i32 s0, 0, s46
	s_abs_i32 s47, s34
	v_rcp_iflag_f32_e32 v1, v1
	v_mul_f32_e32 v1, 0x4f7ffffe, v1
	v_cvt_u32_f32_e32 v1, v1
	v_readfirstlane_b32 s1, v1
	s_mul_i32 s0, s0, s1
	s_mul_hi_u32 s0, s1, s0
	s_add_i32 s0, s1, s0
	s_cmp_eq_u64 s[22:23], 0
	s_cbranch_scc1 .LBB59_2
; %bb.1:
	s_abs_i32 s1, s44
	v_cvt_f32_u32_e32 v1, s1
	s_sub_i32 s12, 0, s1
	s_abs_i32 s11, s33
	s_ashr_i32 s10, s33, 31
	v_rcp_iflag_f32_e32 v1, v1
	s_load_dwordx2 s[2:3], s[6:7], 0xc8
	v_mul_f32_e32 v1, 0x4f7ffffe, v1
	v_cvt_u32_f32_e32 v1, v1
	v_readfirstlane_b32 s13, v1
	s_mul_i32 s12, s12, s13
	s_mul_hi_u32 s12, s13, s12
	s_add_i32 s13, s13, s12
	s_mul_hi_u32 s12, s11, s13
	s_mul_i32 s12, s12, s1
	s_sub_i32 s11, s11, s12
	s_sub_i32 s12, s11, s1
	s_cmp_ge_u32 s11, s1
	s_cselect_b32 s11, s12, s11
	s_sub_i32 s12, s11, s1
	s_cmp_ge_u32 s11, s1
	s_cselect_b32 s1, s12, s11
	s_xor_b32 s1, s1, s10
	s_sub_i32 s1, s1, s10
	s_ashr_i32 s10, s1, 31
	s_waitcnt lgkmcnt(0)
	s_mul_i32 s3, s1, s3
	s_mul_hi_u32 s11, s1, s2
	s_add_i32 s3, s11, s3
	s_mul_i32 s10, s10, s2
	s_add_i32 s3, s3, s10
	s_mul_i32 s1, s1, s2
	s_add_u32 s40, s22, s1
	s_addc_u32 s41, s23, s3
.LBB59_2:
	s_load_dwordx4 s[12:15], s[6:7], 0x40
	s_mul_hi_u32 s22, s47, s0
	s_load_dword s0, s[6:7], 0x50
	v_mov_b32_e32 v41, 1.0
	s_waitcnt lgkmcnt(0)
	v_cmp_le_f32_e64 s[2:3], s13, 0
	s_and_b64 vcc, exec, s[2:3]
	s_cbranch_vccnz .LBB59_4
; %bb.3:
	s_sub_i32 s1, s34, s0
	s_lshl_b32 s1, s1, 1
	s_add_i32 s2, s34, 1
	s_or_b32 s3, s1, 1
	s_cmp_lt_u32 s34, s0
	s_cselect_b64 vcc, -1, 0
	s_and_b64 s[0:1], vcc, exec
	v_mov_b32_e32 v1, s15
	v_mov_b32_e32 v2, s14
	s_cselect_b32 s0, s2, s3
	v_cndmask_b32_e32 v18, v1, v2, vcc
	v_cvt_f32_i32_e32 v1, s0
	v_cmp_neq_f32_e32 vcc, 1.0, v18
	s_mov_b32 s0, 0x3f2aaaab
	s_movk_i32 s2, 0x204
	v_cndmask_b32_e32 v19, 1.0, v1, vcc
	v_cmp_eq_f32_e32 vcc, 0, v19
	v_cndmask_b32_e64 v20, |v18|, 1.0, vcc
	v_frexp_mant_f32_e32 v1, v20
	v_cmp_gt_f32_e64 s[0:1], s0, v1
	v_cndmask_b32_e64 v2, 1.0, 2.0, s[0:1]
	v_mul_f32_e32 v1, v1, v2
	v_add_f32_e32 v2, 1.0, v1
	v_rcp_f32_e32 v10, v2
	v_add_f32_e32 v3, -1.0, v2
	v_sub_f32_e32 v5, v1, v3
	v_add_f32_e32 v3, -1.0, v1
	v_mul_f32_e32 v1, v3, v10
	v_mul_f32_e32 v4, v2, v1
	v_fma_f32 v6, v1, v2, -v4
	v_fmac_f32_e32 v6, v1, v5
	v_add_f32_e32 v2, v4, v6
	v_sub_f32_e32 v5, v3, v2
	v_pk_add_f32 v[8:9], v[2:3], v[4:5] neg_lo:[0,1] neg_hi:[0,1]
	v_mov_b32_e32 v7, v2
	v_pk_add_f32 v[2:3], v[8:9], v[6:7] neg_lo:[0,1] neg_hi:[0,1]
	v_add_f32_e32 v2, v2, v3
	v_add_f32_e32 v2, v5, v2
	v_mul_f32_e32 v3, v10, v2
	v_add_f32_e32 v2, v1, v3
	v_sub_f32_e32 v1, v2, v1
	v_sub_f32_e32 v1, v3, v1
	v_mul_f32_e32 v3, v2, v2
	v_fma_f32 v5, v2, v2, -v3
	v_add_f32_e32 v4, v1, v1
	v_fmac_f32_e32 v5, v2, v4
	v_add_f32_e32 v4, v3, v5
	v_mov_b32_e32 v6, 0x3e91f4c4
	v_fmac_f32_e32 v6, 0x3e76c4e1, v4
	v_mov_b32_e32 v7, 0x3ecccdef
	v_fmac_f32_e32 v7, v4, v6
	v_sub_f32_e32 v3, v4, v3
	v_sub_f32_e32 v12, v5, v3
	v_mul_f32_e32 v3, v4, v7
	v_fma_f32 v5, v4, v7, -v3
	v_fmac_f32_e32 v5, v12, v7
	v_add_f32_e32 v6, v3, v5
	v_add_f32_e32 v7, 0x3f2aaaaa, v6
	v_sub_f32_e32 v3, v6, v3
	v_sub_f32_e32 v3, v5, v3
	v_add_f32_e32 v5, 0xbf2aaaaa, v7
	v_add_f32_e32 v3, 0x31739010, v3
	v_sub_f32_e32 v5, v6, v5
	v_pk_mul_f32 v[8:9], v[2:3], v[4:5]
	v_fma_f32 v6, v4, v2, -v8
	v_pk_add_f32 v[10:11], v[2:3], v[4:5]
	v_fmac_f32_e32 v6, v4, v1
	v_mov_b32_e32 v9, v11
	v_fmac_f32_e32 v6, v12, v2
	v_pk_add_f32 v[4:5], v[8:9], v[6:7]
	v_sub_f32_e32 v3, v4, v8
	v_sub_f32_e32 v3, v6, v3
	v_sub_f32_e32 v6, v7, v5
	v_add_f32_e32 v9, v11, v6
	v_mov_b32_e32 v6, v5
	v_pk_mul_f32 v[6:7], v[4:5], v[6:7]
	v_cvt_f64_f32_e32 v[10:11], v20
	v_frexp_exp_i32_f64_e32 v7, v[10:11]
	v_subbrev_co_u32_e64 v7, s[0:1], 0, v7, s[0:1]
	v_cvt_f32_i32_e32 v7, v7
	v_fma_f32 v8, v4, v5, -v6
	v_fmac_f32_e32 v8, v4, v9
	s_mov_b32 s0, 0x3f317218
	v_mul_f32_e32 v4, 0x3f317218, v7
	v_fmac_f32_e32 v8, v3, v5
	v_fma_f32 v10, v7, s0, -v4
	v_fmac_f32_e32 v10, 0xb102e308, v7
	v_ldexp_f32 v11, v2, 1
	v_add_f32_e32 v5, v6, v8
	v_pk_add_f32 v[2:3], v[4:5], v[10:11]
	v_mov_b32_e32 v12, v5
	v_mov_b32_e32 v13, v3
	;; [unrolled: 1-line block ×3, first 2 shown]
	v_pk_add_f32 v[6:7], v[12:13], v[6:7] neg_lo:[0,1] neg_hi:[0,1]
	v_mov_b32_e32 v9, v5
	v_ldexp_f32 v1, v1, 1
	v_pk_add_f32 v[6:7], v[8:9], v[6:7] neg_lo:[0,1] neg_hi:[0,1]
	v_add_f32_e32 v1, v1, v6
	v_add_f32_e32 v5, v1, v7
	v_pk_add_f32 v[6:7], v[2:3], v[4:5] neg_lo:[0,1] neg_hi:[0,1]
	v_pk_add_f32 v[8:9], v[2:3], v[4:5]
	v_mov_b32_e32 v12, v6
	v_mov_b32_e32 v13, v9
	;; [unrolled: 1-line block ×3, first 2 shown]
	v_pk_add_f32 v[12:13], v[10:11], v[12:13]
	v_mov_b32_e32 v4, v13
	v_pk_add_f32 v[14:15], v[4:5], v[2:3] neg_lo:[0,1] neg_hi:[0,1]
	v_mov_b32_e32 v1, v14
	v_mov_b32_e32 v12, v9
	;; [unrolled: 1-line block ×4, first 2 shown]
	v_pk_add_f32 v[6:7], v[10:11], v[6:7] neg_lo:[0,1] neg_hi:[0,1]
	v_pk_add_f32 v[16:17], v[8:9], v[0:1] neg_lo:[0,1] neg_hi:[0,1]
	;; [unrolled: 1-line block ×3, first 2 shown]
	v_mov_b32_e32 v10, v5
	v_pk_add_f32 v[2:3], v[10:11], v[2:3] neg_lo:[0,1] neg_hi:[0,1]
	v_mov_b32_e32 v16, v6
	v_pk_add_f32 v[8:9], v[16:17], v[2:3]
	v_mov_b32_e32 v10, v9
	v_pk_add_f32 v[10:11], v[8:9], v[10:11]
	v_pk_add_f32 v[4:5], v[4:5], v[10:11]
	v_mov_b32_e32 v7, v13
	v_mov_b32_e32 v9, v4
	v_pk_add_f32 v[12:13], v[8:9], v[6:7] neg_lo:[0,1] neg_hi:[0,1]
	v_mov_b32_e32 v3, v10
	v_sub_f32_e32 v1, v8, v12
	v_pk_add_f32 v[2:3], v[2:3], v[12:13] neg_lo:[0,1] neg_hi:[0,1]
	v_sub_f32_e32 v1, v6, v1
	v_add_f32_e32 v1, v2, v1
	v_add_f32_e32 v1, v1, v3
	;; [unrolled: 1-line block ×3, first 2 shown]
	v_sub_f32_e32 v3, v2, v4
	v_sub_f32_e32 v1, v1, v3
	v_mul_f32_e32 v3, v19, v2
	v_fma_f32 v2, v19, v2, -v3
	v_fmac_f32_e32 v2, v19, v1
	v_add_f32_e32 v1, v3, v2
	v_cmp_class_f32_e64 s[0:1], v3, s2
	v_sub_f32_e32 v4, v1, v3
	v_cndmask_b32_e64 v1, v1, v3, s[0:1]
	s_mov_b32 s10, 0x42b17218
	v_mov_b32_e32 v3, 0x37000000
	v_cmp_eq_f32_e64 s[0:1], s10, v1
	v_cndmask_b32_e64 v3, 0, v3, s[0:1]
	v_sub_f32_e32 v2, v2, v4
	v_sub_f32_e32 v4, v1, v3
	s_mov_b32 s0, 0x3fb8aa3b
	v_mul_f32_e32 v5, 0x3fb8aa3b, v4
	v_fma_f32 v6, v4, s0, -v5
	v_rndne_f32_e32 v7, v5
	v_fmac_f32_e32 v6, 0x32a5705f, v4
	v_sub_f32_e32 v5, v5, v7
	v_add_f32_e32 v5, v5, v6
	v_exp_f32_e32 v5, v5
	v_cvt_i32_f32_e32 v6, v7
	s_mov_b32 s3, 0x7f800000
	v_cmp_neq_f32_e64 s[0:1], |v1|, s3
	v_cndmask_b32_e64 v1, 0, v2, s[0:1]
	s_mov_b32 s0, 0xc2ce8ed0
	v_ldexp_f32 v2, v5, v6
	v_cmp_ngt_f32_e64 s[0:1], s0, v4
	v_add_f32_e32 v1, v3, v1
	v_cndmask_b32_e64 v2, 0, v2, s[0:1]
	v_mov_b32_e32 v3, 0x7f800000
	v_cmp_nlt_f32_e64 s[0:1], s10, v4
	v_cndmask_b32_e64 v2, v3, v2, s[0:1]
	v_fma_f32 v1, v2, v1, v2
	v_cmp_class_f32_e64 s[0:1], v2, s2
	v_trunc_f32_e32 v4, v19
	v_cndmask_b32_e64 v1, v1, v2, s[0:1]
	v_cndmask_b32_e64 v2, v18, 1.0, vcc
	v_cmp_eq_f32_e32 vcc, v4, v19
	v_mul_f32_e32 v4, 0.5, v19
	v_trunc_f32_e32 v6, v4
	v_cmp_neq_f32_e64 s[0:1], v6, v4
	s_and_b64 s[0:1], vcc, s[0:1]
	v_cndmask_b32_e64 v4, 1.0, v2, s[0:1]
	s_brev_b32 s13, -2
	v_mov_b32_e32 v5, 0x7fc00000
	v_bfi_b32 v1, s13, v1, v4
	v_cndmask_b32_e32 v4, v5, v1, vcc
	v_cmp_gt_f32_e32 vcc, 0, v2
	v_cndmask_b32_e32 v1, v1, v4, vcc
	v_cmp_eq_f32_e32 vcc, s3, v20
	v_cmp_eq_f32_e64 s[2:3], 0, v2
	v_cmp_gt_f32_e64 s[10:11], 0, v19
	s_xor_b64 s[10:11], s[10:11], s[2:3]
	v_cndmask_b32_e64 v3, v3, 0, s[10:11]
	v_cndmask_b32_e64 v4, 0, v2, s[0:1]
	v_bfi_b32 v3, s13, v3, v4
	s_or_b64 vcc, vcc, s[2:3]
	v_cndmask_b32_e32 v1, v1, v3, vcc
	v_cmp_o_f32_e32 vcc, v2, v2
	v_cndmask_b32_e32 v41, v5, v1, vcc
.LBB59_4:
	s_load_dwordx4 s[48:51], s[6:7], 0x70
	s_ashr_i32 s35, s34, 31
	s_ashr_i32 s0, s43, 31
	s_lshl_b32 s43, s8, 4
	v_bfe_u32 v38, v0, 10, 10
	s_waitcnt lgkmcnt(0)
	s_mul_i32 s1, s33, s50
	s_ashr_i32 s2, s1, 31
	s_add_u32 s1, s16, s1
	s_mul_i32 s3, s34, s49
	v_and_b32_e32 v34, 0x3ff, v0
	s_addc_u32 s2, s17, s2
	s_ashr_i32 s10, s3, 31
	v_lshlrev_b32_e32 v35, 1, v38
	s_add_u32 s1, s1, s3
	v_lshlrev_b32_e32 v1, 3, v34
	v_add_u32_e32 v36, s43, v35
	v_add_co_u32_e32 v8, vcc, s1, v1
	v_mul_hi_u32 v1, v36, s36
	s_addc_u32 s2, s2, s10
	v_add_u32_e32 v1, v36, v1
	v_mov_b32_e32 v2, s2
	v_lshrrev_b32_e32 v1, s37, v1
	s_ashr_i32 s10, s48, 31
	v_addc_co_u32_e32 v9, vcc, 0, v2, vcc
	v_mul_lo_u32 v1, v1, s38
	v_mov_b32_e32 v2, s48
	v_sub_u32_e32 v1, v36, v1
	v_alignbit_b32 v6, s10, v2, 2
	v_mad_u64_u32 v[2:3], s[2:3], v6, v1, 0
	v_mov_b32_e32 v4, v3
	s_lshr_b32 s1, s10, 2
	v_or_b32_e32 v32, 1, v35
	v_mad_u64_u32 v[4:5], s[2:3], s1, v1, v[4:5]
	v_add_u32_e32 v33, s43, v32
	v_mov_b32_e32 v3, v4
	v_mul_hi_u32 v4, v33, s36
	v_add_u32_e32 v4, v33, v4
	v_lshrrev_b32_e32 v4, s37, v4
	v_mul_lo_u32 v4, v4, s38
	v_sub_u32_e32 v7, v33, v4
	v_mad_u64_u32 v[4:5], s[2:3], v6, v7, 0
	v_mov_b32_e32 v6, v5
	v_lshlrev_b64 v[2:3], 2, v[2:3]
	v_mad_u64_u32 v[6:7], s[2:3], s1, v7, v[6:7]
	v_add_co_u32_e32 v2, vcc, v8, v2
	v_mov_b32_e32 v5, v6
	v_addc_co_u32_e32 v3, vcc, v9, v3, vcc
	v_lshlrev_b64 v[4:5], 2, v[4:5]
	v_add_co_u32_e32 v4, vcc, v8, v4
	v_addc_co_u32_e32 v5, vcc, v9, v5, vcc
	global_load_dwordx2 v[6:7], v[2:3], off
	global_load_dwordx2 v[8:9], v[4:5], off
	v_lshlrev_b32_e32 v2, 6, v38
	v_add_lshl_u32 v2, v2, v34, 2
	v_lshlrev_b32_e32 v3, 5, v32
	s_cmp_eq_u64 s[26:27], 0
	v_add_lshl_u32 v3, v3, v34, 2
	s_waitcnt vmcnt(1)
	v_fma_mixlo_f16 v4, v6, s12, 0
	s_waitcnt vmcnt(0)
	v_fma_mixlo_f16 v5, v8, s12, 0
	v_fma_mixhi_f16 v4, v7, s12, 0
	v_fma_mixhi_f16 v5, v9, s12, 0
	ds_write_b32 v2, v4 offset:22528
	ds_write_b32 v3, v5 offset:22528
	s_waitcnt lgkmcnt(0)
	s_barrier
	s_cbranch_scc1 .LBB59_6
; %bb.5:
	s_load_dword s1, s[6:7], 0xd0
	s_mov_b32 s3, 0
	s_waitcnt lgkmcnt(0)
	s_mul_i32 s1, s1, s33
	s_add_i32 s2, s1, s8
	s_lshl_b64 s[2:3], s[2:3], 2
	s_add_u32 s2, s26, s2
	s_addc_u32 s3, s27, s3
	s_load_dword s42, s[2:3], 0x0
.LBB59_6:
	s_nop 0
	s_load_dwordx2 s[2:3], s[6:7], 0x8c
	s_load_dwordx4 s[12:15], s[6:7], 0x98
	s_load_dwordx2 s[16:17], s[6:7], 0xa8
	s_ashr_i32 s1, s33, 31
	s_ashr_i32 s45, s45, 1
	s_waitcnt lgkmcnt(0)
	s_ashr_i32 s10, s2, 2
	s_mul_i32 s2, s33, s13
	s_mul_hi_u32 s11, s33, s12
	s_add_i32 s2, s11, s2
	s_mul_i32 s11, s1, s12
	s_ashr_i32 s8, s14, 2
	s_add_i32 s2, s2, s11
	s_mul_i32 s11, s33, s12
	s_add_u32 s11, s18, s11
	s_mul_i32 s12, s22, s46
	s_addc_u32 s2, s19, s2
	s_sub_i32 s12, s47, s12
	s_xor_b32 s0, s35, s0
	s_add_i32 s13, s22, 1
	s_sub_i32 s14, s12, s46
	s_cmp_ge_u32 s12, s46
	s_cselect_b32 s13, s13, s22
	s_cselect_b32 s12, s14, s12
	s_add_i32 s14, s13, 1
	s_cmp_ge_u32 s12, s46
	s_cselect_b32 s12, s14, s13
	s_xor_b32 s12, s12, s0
	s_sub_i32 s0, s12, s0
	s_mul_i32 s3, s0, s3
	s_ashr_i32 s12, s3, 31
	s_add_u32 s11, s11, s3
	s_addc_u32 s12, s2, s12
	s_mul_i32 s2, s33, s17
	s_mul_hi_u32 s3, s33, s16
	s_add_i32 s2, s3, s2
	s_mul_i32 s1, s1, s16
	s_add_i32 s2, s2, s1
	s_mul_i32 s1, s33, s16
	s_add_u32 s1, s20, s1
	s_mul_i32 s0, s0, s15
	s_addc_u32 s2, s21, s2
	s_ashr_i32 s3, s0, 31
	s_add_u32 s26, s1, s0
	s_addc_u32 s27, s2, s3
	s_lshl_b32 s44, s9, 7
	s_add_i32 s13, s42, 0xffffff80
	s_mov_b32 s0, 0xfeffffff
	s_cmp_ge_i32 s44, s13
	v_mov_b32_e32 v15, 0
	v_mov_b32_e32 v40, 0
	v_mul_lo_u32 v44, v1, s45
	v_lshrrev_b32_e32 v1, 3, v34
	v_lshlrev_b32_e32 v37, 2, v34
	v_or_b32_e32 v42, 1, v36
	v_mbcnt_lo_u32_b32 v43, -1, 0
	s_cbranch_scc1 .LBB59_26
; %bb.7:
	v_and_b32_e32 v4, 28, v37
	v_lshl_add_u32 v5, v38, 2, v1
	v_lshlrev_b32_e32 v12, 2, v4
	s_movk_i32 s0, 0x90
	v_mad_u32_u24 v45, v5, s0, v12
	v_mul_lo_u32 v2, s10, v5
	s_lshl_b32 s0, s10, 5
	v_add_u32_e32 v6, s0, v2
	v_add_u32_e32 v8, s0, v6
	s_cmp_lg_u64 s[40:41], 0
	v_add_u32_e32 v10, s0, v8
	v_mul_lo_u32 v14, s8, v5
	s_cselect_b64 s[0:1], -1, 0
	s_lshl_b32 s2, s8, 5
	v_add_u32_e32 v16, s2, v14
	v_mov_b32_e32 v13, 0x5800
	v_add_u32_e32 v18, s2, v16
	v_lshl_add_u32 v50, v38, 8, v13
	v_mul_hi_u32 v13, s36, v42
	v_add_u32_e32 v20, s2, v18
	s_add_u32 s2, s6, 0xd0
	v_add_u32_e32 v13, v42, v13
	s_addc_u32 s3, s7, 0
	v_lshrrev_b32_e32 v13, s37, v13
	s_add_u32 s14, s40, 64
	v_mul_lo_u32 v13, v13, s38
	s_addc_u32 s15, s41, 0
	v_sub_u32_e32 v13, v42, v13
	s_add_u32 s16, s40, 0x80
	v_mul_lo_u32 v51, v13, s45
	v_mov_b32_e32 v13, 0x4800
	s_addc_u32 s17, s41, 0
	v_mov_b32_e32 v39, 0
	v_ashrrev_i32_e32 v3, 31, v2
	v_ashrrev_i32_e32 v7, 31, v6
	;; [unrolled: 1-line block ×4, first 2 shown]
	v_lshl_add_u32 v52, v38, 9, v13
	v_lshl_or_b32 v53, v5, 7, v12
	v_ashrrev_i32_e32 v15, 31, v14
	v_ashrrev_i32_e32 v17, 31, v16
	;; [unrolled: 1-line block ×4, first 2 shown]
	s_add_u32 s18, s40, 0xc0
	v_mov_b32_e32 v12, 0xfeffffff
	v_cndmask_b32_e64 v13, 0, 1, s[0:1]
	v_add_u32_e32 v46, 0x1200, v45
	v_add_u32_e32 v47, 0x2400, v45
	;; [unrolled: 1-line block ×3, first 2 shown]
	v_mul_u32_u24_e32 v49, 0x90, v34
	v_add_u32_e32 v54, 0x1000, v53
	v_add_u32_e32 v55, 0x2000, v53
	;; [unrolled: 1-line block ×3, first 2 shown]
	s_addc_u32 s19, s41, 0
	v_lshlrev_b64 v[2:3], 2, v[2:3]
	v_lshlrev_b32_e32 v57, 2, v4
	v_lshlrev_b64 v[4:5], 2, v[6:7]
	v_lshlrev_b64 v[6:7], 2, v[8:9]
	;; [unrolled: 1-line block ×3, first 2 shown]
	v_mbcnt_hi_u32_b32 v58, -1, v43
	s_mov_b32 s20, 0x3fb8aa3b
	s_mov_b32 s21, 0xc2ce8ed0
	;; [unrolled: 1-line block ×3, first 2 shown]
	v_add_u32_e32 v59, v52, v37
	v_lshlrev_b64 v[10:11], 2, v[14:15]
	v_lshlrev_b64 v[16:17], 2, v[16:17]
	;; [unrolled: 1-line block ×4, first 2 shown]
	v_cmp_ne_u32_e64 s[0:1], 1, v13
	v_mov_b32_e32 v60, 0x7f800000
	v_mov_b32_e32 v40, 0
	;; [unrolled: 1-line block ×5, first 2 shown]
	s_branch .LBB59_10
.LBB59_8:                               ;   in Loop: Header=BB59_10 Depth=1
	v_lshlrev_b64 v[30:31], 1, v[30:31]
	v_mov_b32_e32 v65, s19
	v_add_co_u32_e32 v30, vcc, s18, v30
	v_addc_co_u32_e32 v31, vcc, v65, v31, vcc
	flat_load_ushort v30, v[30:31]
	s_waitcnt vmcnt(0) lgkmcnt(0)
	v_cvt_f32_f16_e32 v30, v30
	v_mul_f32_e32 v30, v41, v30
.LBB59_9:                               ;   in Loop: Header=BB59_10 Depth=1
	v_pk_add_f32 v[72:73], v[22:23], v[26:27]
	v_add_f32_e32 v22, 0x40051340, v72
	v_add_f32_e32 v23, 0x40051340, v73
	;; [unrolled: 1-line block ×4, first 2 shown]
	v_max3_f32 v22, v13, v22, v23
	v_add_f32_e32 v23, 0x40051340, v29
	v_add_f32_e32 v26, 0x40051340, v25
	v_max3_f32 v22, v22, v23, v26
	ds_bpermute_b32 v23, v64, v22
	s_mul_hi_i32 s47, s44, s8
	s_mul_i32 s46, s44, s8
	s_lshl_b64 s[46:47], s[46:47], 2
	s_add_u32 s23, s26, s46
	s_waitcnt lgkmcnt(0)
	v_max_f32_e32 v23, v23, v23
	v_max_f32_e32 v26, v22, v23
	ds_bpermute_b32 v27, v69, v26
	v_mov_b32_e32 v22, v12
	v_mov_b32_e32 v23, v13
	s_addc_u32 s46, s27, s47
	s_waitcnt lgkmcnt(0)
	v_max_f32_e32 v12, v27, v27
	v_max_f32_e32 v13, v26, v12
	ds_bpermute_b32 v26, v68, v13
	v_max_f32_e32 v12, v71, v71
	v_max_f32_e32 v27, v70, v70
	;; [unrolled: 1-line block ×3, first 2 shown]
	v_sub_f32_e32 v27, v63, v12
	s_waitcnt lgkmcnt(0)
	v_max_f32_e32 v26, v26, v26
	v_max_f32_e32 v13, v13, v26
	ds_bpermute_b32 v26, v67, v13
	v_mul_f32_e32 v30, 0x3fb8aa3b, v27
	v_fma_f32 v31, v27, s20, -v30
	v_rndne_f32_e32 v61, v30
	v_fmac_f32_e32 v31, 0x32a5705f, v27
	s_waitcnt lgkmcnt(0)
	v_max_f32_e32 v26, v26, v26
	v_max_f32_e32 v13, v13, v26
	ds_bpermute_b32 v26, v66, v13
	v_sub_f32_e32 v30, v30, v61
	v_add_f32_e32 v30, v30, v31
	v_exp_f32_e32 v30, v30
	v_cvt_i32_f32_e32 v31, v61
	s_waitcnt lgkmcnt(0)
	v_max_f32_e32 v26, v26, v26
	v_max_f32_e32 v13, v13, v26
	v_cmp_ngt_f32_e32 vcc, s21, v27
	v_ldexp_f32 v26, v30, v31
	v_sub_f32_e32 v30, v62, v12
	v_mul_f32_e32 v31, 0x3fb8aa3b, v30
	v_fma_f32 v61, v30, s20, -v31
	v_rndne_f32_e32 v62, v31
	v_fmac_f32_e32 v61, 0x32a5705f, v30
	v_sub_f32_e32 v31, v31, v62
	v_add_f32_e32 v31, v31, v61
	v_exp_f32_e32 v31, v31
	v_cvt_i32_f32_e32 v61, v62
	v_pk_add_f32 v[28:29], v[28:29], v[12:13] neg_lo:[0,1] neg_hi:[0,1]
	v_cndmask_b32_e32 v26, 0, v26, vcc
	v_cmp_nlt_f32_e32 vcc, s22, v27
	v_ldexp_f32 v27, v31, v61
	v_mul_f32_e32 v31, 0x3fb8aa3b, v29
	v_fma_f32 v61, v29, s20, -v31
	v_rndne_f32_e32 v62, v31
	v_fmac_f32_e32 v61, 0x32a5705f, v29
	v_sub_f32_e32 v31, v31, v62
	v_add_f32_e32 v31, v31, v61
	v_exp_f32_e32 v31, v31
	v_cvt_i32_f32_e32 v61, v62
	v_cndmask_b32_e32 v26, v60, v26, vcc
	v_cmp_ngt_f32_e32 vcc, s21, v30
	v_cndmask_b32_e32 v27, 0, v27, vcc
	v_cmp_nlt_f32_e32 vcc, s22, v30
	v_mul_f32_e32 v30, 0x3fb8aa3b, v28
	v_cndmask_b32_e32 v74, v60, v27, vcc
	v_ldexp_f32 v27, v31, v61
	v_fma_f32 v31, v28, s20, -v30
	v_rndne_f32_e32 v61, v30
	v_fmac_f32_e32 v31, 0x32a5705f, v28
	v_sub_f32_e32 v30, v30, v61
	v_add_f32_e32 v30, v30, v31
	v_exp_f32_e32 v30, v30
	v_cvt_i32_f32_e32 v31, v61
	v_cmp_ngt_f32_e32 vcc, s21, v29
	v_cndmask_b32_e32 v27, 0, v27, vcc
	v_cmp_nlt_f32_e32 vcc, s22, v29
	v_cndmask_b32_e32 v77, v60, v27, vcc
	v_ldexp_f32 v27, v30, v31
	v_mov_b32_e32 v30, v13
	v_pk_add_f32 v[78:79], v[72:73], v[30:31] op_sel_hi:[1,0] neg_lo:[0,1] neg_hi:[0,1]
	v_mul_f32_e32 v29, 0x3fb8aa3b, v79
	v_fma_f32 v30, v79, s20, -v29
	v_rndne_f32_e32 v31, v29
	v_fmac_f32_e32 v30, 0x32a5705f, v79
	v_sub_f32_e32 v29, v29, v31
	v_add_f32_e32 v29, v29, v30
	v_exp_f32_e32 v29, v29
	v_cvt_i32_f32_e32 v30, v31
	v_cmp_ngt_f32_e32 vcc, s21, v28
	v_cndmask_b32_e32 v27, 0, v27, vcc
	v_cmp_nlt_f32_e32 vcc, s22, v28
	v_mul_f32_e32 v28, 0x3fb8aa3b, v78
	v_cndmask_b32_e32 v76, v60, v27, vcc
	v_ldexp_f32 v27, v29, v30
	v_fma_f32 v29, v78, s20, -v28
	v_rndne_f32_e32 v30, v28
	v_fmac_f32_e32 v29, 0x32a5705f, v78
	v_sub_f32_e32 v28, v28, v30
	v_cmp_ngt_f32_e32 vcc, s21, v79
	v_add_f32_e32 v28, v28, v29
	v_cndmask_b32_e32 v27, 0, v27, vcc
	v_exp_f32_e32 v61, v28
	v_mov_b32_e32 v28, s46
	v_add_co_u32_e32 v29, vcc, s23, v10
	v_addc_co_u32_e32 v28, vcc, v28, v11, vcc
	v_add_co_u32_e32 v66, vcc, v29, v57
	v_addc_co_u32_e32 v67, vcc, 0, v28, vcc
	v_mov_b32_e32 v28, s46
	v_add_co_u32_e32 v29, vcc, s23, v16
	v_addc_co_u32_e32 v28, vcc, v28, v17, vcc
	v_add_co_u32_e32 v68, vcc, v29, v57
	v_addc_co_u32_e32 v69, vcc, 0, v28, vcc
	s_barrier
	v_cvt_i32_f32_e32 v82, v30
	global_load_dwordx4 v[28:31], v[66:67], off
	global_load_dwordx4 v[62:65], v[68:69], off
	v_mov_b32_e32 v66, s46
	v_add_co_u32_e32 v67, vcc, s23, v18
	v_addc_co_u32_e32 v68, vcc, v66, v19, vcc
	v_add_co_u32_e32 v66, vcc, v67, v57
	v_addc_co_u32_e32 v67, vcc, 0, v68, vcc
	v_mov_b32_e32 v68, s46
	v_add_co_u32_e32 v69, vcc, s23, v20
	v_addc_co_u32_e32 v68, vcc, v68, v21, vcc
	v_add_co_u32_e32 v70, vcc, v69, v57
	v_addc_co_u32_e32 v71, vcc, 0, v68, vcc
	global_load_dwordx4 v[66:69], v[66:67], off
	s_nop 0
	global_load_dwordx4 v[70:73], v[70:71], off
	v_pk_add_f32 v[24:25], v[24:25], v[12:13] neg_lo:[0,1] neg_hi:[0,1]
	v_cmp_nlt_f32_e32 vcc, s22, v79
	v_mul_f32_e32 v79, 0x3fb8aa3b, v25
	v_cndmask_b32_e32 v75, v60, v27, vcc
	v_ldexp_f32 v27, v61, v82
	v_fma_f32 v82, v25, s20, -v79
	v_rndne_f32_e32 v83, v79
	v_fmac_f32_e32 v82, 0x32a5705f, v25
	v_sub_f32_e32 v79, v79, v83
	v_cmp_ngt_f32_e32 vcc, s21, v78
	v_add_f32_e32 v79, v79, v82
	v_cndmask_b32_e32 v27, 0, v27, vcc
	v_cmp_nlt_f32_e32 vcc, s22, v78
	v_cvt_f16_f32_e32 v61, v77
	v_cvt_f16_f32_e32 v78, v76
	v_exp_f32_e32 v79, v79
	v_cvt_i32_f32_e32 v82, v83
	v_cndmask_b32_e32 v27, v60, v27, vcc
	v_pack_b32_f16 v61, v78, v61
	v_cmp_ngt_f32_e32 vcc, s21, v25
	v_ldexp_f32 v78, v79, v82
	v_mul_f32_e32 v79, 0x3fb8aa3b, v24
	v_fma_f32 v82, v24, s20, -v79
	v_rndne_f32_e32 v85, v79
	v_fmac_f32_e32 v82, 0x32a5705f, v24
	v_sub_f32_e32 v79, v79, v85
	v_add_f32_e32 v79, v79, v82
	v_exp_f32_e32 v79, v79
	v_cvt_i32_f32_e32 v82, v85
	v_cndmask_b32_e32 v78, 0, v78, vcc
	v_cmp_nlt_f32_e32 vcc, s22, v25
	v_pk_add_f32 v[22:23], v[22:23], v[12:13] neg_lo:[0,1] neg_hi:[0,1]
	v_cndmask_b32_e32 v25, v60, v78, vcc
	v_ldexp_f32 v78, v79, v82
	v_mul_f32_e32 v79, 0x3fb8aa3b, v23
	v_fma_f32 v82, v23, s20, -v79
	v_rndne_f32_e32 v85, v79
	v_cvt_f16_f32_e32 v80, v26
	v_cvt_f16_f32_e32 v81, v74
	;; [unrolled: 1-line block ×3, first 2 shown]
	v_fmac_f32_e32 v82, 0x32a5705f, v23
	v_sub_f32_e32 v79, v79, v85
	v_pk_add_f32 v[26:27], v[26:27], v[74:75]
	v_mul_f32_e32 v74, 0x3fb8aa3b, v22
	v_cvt_f16_f32_e32 v84, v75
	v_add_f32_e32 v79, v79, v82
	v_pk_add_f32 v[26:27], v[76:77], v[26:27]
	v_fma_f32 v75, v22, s20, -v74
	v_rndne_f32_e32 v76, v74
	v_exp_f32_e32 v79, v79
	v_cvt_i32_f32_e32 v82, v85
	v_fmac_f32_e32 v75, 0x32a5705f, v22
	v_sub_f32_e32 v74, v74, v76
	v_cmp_ngt_f32_e32 vcc, s21, v24
	v_add_f32_e32 v74, v74, v75
	v_cndmask_b32_e32 v78, 0, v78, vcc
	v_cmp_nlt_f32_e32 vcc, s22, v24
	v_exp_f32_e32 v74, v74
	v_cvt_i32_f32_e32 v76, v76
	v_cndmask_b32_e32 v24, v60, v78, vcc
	v_cvt_f16_f32_e32 v78, v24
	v_pk_add_f32 v[26:27], v[24:25], v[26:27]
	v_ldexp_f32 v24, v79, v82
	v_cmp_ngt_f32_e32 vcc, s21, v23
	v_cndmask_b32_e32 v24, 0, v24, vcc
	v_cmp_nlt_f32_e32 vcc, s22, v23
	v_cndmask_b32_e32 v75, v60, v24, vcc
	v_ldexp_f32 v23, v74, v76
	v_cmp_ngt_f32_e32 vcc, s21, v22
	v_cndmask_b32_e32 v23, 0, v23, vcc
	v_cmp_nlt_f32_e32 vcc, s22, v22
	v_cvt_f16_f32_e32 v22, v25
	v_cndmask_b32_e32 v74, v60, v23, vcc
	v_pack_b32_f16 v23, v80, v83
	v_pack_b32_f16 v24, v81, v84
	;; [unrolled: 1-line block ×3, first 2 shown]
	ds_write2_b32 v59, v23, v24 offset1:32
	ds_write2_b32 v59, v61, v22 offset0:64 offset1:96
	s_waitcnt vmcnt(3)
	ds_write_b128 v53, v[28:31]
	s_waitcnt vmcnt(2)
	ds_write_b128 v54, v[62:65]
	;; [unrolled: 2-line block ×4, first 2 shown]
	s_waitcnt lgkmcnt(0)
	s_barrier
	ds_read2_b32 v[30:31], v37 offset1:32
	ds_read_b128 v[22:25], v52
	v_cvt_f16_f32_e32 v61, v74
	v_cvt_f16_f32_e32 v64, v75
	v_pk_fma_f32 v[14:15], v[14:15], v[74:75], v[26:27]
	ds_read_b128 v[26:29], v52 offset:16
	s_waitcnt lgkmcnt(1)
	v_pk_mul_f16 v62, v30, v22 op_sel_hi:[1,0]
	v_pk_fma_f16 v40, v61, v40, v62 op_sel_hi:[0,1,1]
	ds_read2_b32 v[62:63], v37 offset0:64 offset1:96
	v_pk_mul_f16 v22, v30, v22 op_sel:[0,1]
	v_pk_fma_f16 v22, v39, v64, v22 op_sel_hi:[1,0,1]
	v_pk_fma_f16 v30, v31, v23, v40 op_sel_hi:[1,0,1]
	v_pk_fma_f16 v31, v31, v23, v22 op_sel:[0,1,0]
	ds_read2_b32 v[22:23], v37 offset0:128 offset1:160
	s_waitcnt lgkmcnt(1)
	v_pk_fma_f16 v30, v62, v24, v30 op_sel_hi:[1,0,1]
	v_pk_fma_f16 v24, v62, v24, v31 op_sel:[0,1,0]
	v_pk_fma_f16 v39, v63, v25, v30 op_sel_hi:[1,0,1]
	ds_read2_b32 v[30:31], v37 offset0:192 offset1:224
	v_pk_fma_f16 v24, v63, v25, v24 op_sel:[0,1,0]
	s_waitcnt lgkmcnt(1)
	v_pk_fma_f16 v25, v22, v26, v39 op_sel_hi:[1,0,1]
	v_pk_fma_f16 v22, v22, v26, v24 op_sel:[0,1,0]
	v_pk_fma_f16 v24, v23, v27, v25 op_sel_hi:[1,0,1]
	v_pk_fma_f16 v22, v23, v27, v22 op_sel:[0,1,0]
	v_add_u32_e32 v39, 0x400, v37
	s_waitcnt lgkmcnt(0)
	v_pk_fma_f16 v26, v30, v28, v24 op_sel_hi:[1,0,1]
	v_pk_fma_f16 v27, v30, v28, v22 op_sel:[0,1,0]
	ds_read2_b32 v[62:63], v39 offset1:32
	ds_read_b128 v[22:25], v52 offset:32
	v_pk_fma_f16 v40, v31, v29, v26 op_sel_hi:[1,0,1]
	v_pk_fma_f16 v61, v31, v29, v27 op_sel:[0,1,0]
	ds_read2_b32 v[30:31], v39 offset0:64 offset1:96
	ds_read_b128 v[26:29], v52 offset:48
	s_waitcnt lgkmcnt(2)
	v_pk_fma_f16 v40, v62, v22, v40 op_sel_hi:[1,0,1]
	v_pk_fma_f16 v22, v62, v22, v61 op_sel:[0,1,0]
	v_pk_fma_f16 v40, v63, v23, v40 op_sel_hi:[1,0,1]
	v_pk_fma_f16 v61, v63, v23, v22 op_sel:[0,1,0]
	ds_read2_b32 v[22:23], v39 offset0:128 offset1:160
	s_waitcnt lgkmcnt(2)
	v_pk_fma_f16 v40, v30, v24, v40 op_sel_hi:[1,0,1]
	v_pk_fma_f16 v24, v30, v24, v61 op_sel:[0,1,0]
	v_pk_fma_f16 v40, v31, v25, v40 op_sel_hi:[1,0,1]
	v_pk_fma_f16 v24, v31, v25, v24 op_sel:[0,1,0]
	ds_read2_b32 v[30:31], v39 offset0:192 offset1:224
	s_waitcnt lgkmcnt(1)
	v_pk_fma_f16 v25, v22, v26, v40 op_sel_hi:[1,0,1]
	v_pk_fma_f16 v22, v22, v26, v24 op_sel:[0,1,0]
	v_pk_fma_f16 v24, v23, v27, v25 op_sel_hi:[1,0,1]
	v_pk_fma_f16 v22, v23, v27, v22 op_sel:[0,1,0]
	v_add_u32_e32 v39, 0x800, v37
	s_waitcnt lgkmcnt(0)
	v_pk_fma_f16 v26, v30, v28, v24 op_sel_hi:[1,0,1]
	v_pk_fma_f16 v27, v30, v28, v22 op_sel:[0,1,0]
	ds_read2_b32 v[62:63], v39 offset1:32
	ds_read_b128 v[22:25], v52 offset:64
	v_pk_fma_f16 v40, v31, v29, v26 op_sel_hi:[1,0,1]
	v_pk_fma_f16 v61, v31, v29, v27 op_sel:[0,1,0]
	ds_read2_b32 v[30:31], v39 offset0:64 offset1:96
	ds_read_b128 v[26:29], v52 offset:80
	s_waitcnt lgkmcnt(2)
	v_pk_fma_f16 v40, v62, v22, v40 op_sel_hi:[1,0,1]
	v_pk_fma_f16 v22, v62, v22, v61 op_sel:[0,1,0]
	v_pk_fma_f16 v40, v63, v23, v40 op_sel_hi:[1,0,1]
	v_pk_fma_f16 v61, v63, v23, v22 op_sel:[0,1,0]
	ds_read2_b32 v[22:23], v39 offset0:128 offset1:160
	s_waitcnt lgkmcnt(2)
	v_pk_fma_f16 v40, v30, v24, v40 op_sel_hi:[1,0,1]
	v_pk_fma_f16 v24, v30, v24, v61 op_sel:[0,1,0]
	v_pk_fma_f16 v40, v31, v25, v40 op_sel_hi:[1,0,1]
	v_pk_fma_f16 v24, v31, v25, v24 op_sel:[0,1,0]
	ds_read2_b32 v[30:31], v39 offset0:192 offset1:224
	;; [unrolled: 27-line block ×14, first 2 shown]
	s_waitcnt lgkmcnt(1)
	v_pk_fma_f16 v25, v22, v26, v40 op_sel_hi:[1,0,1]
	v_pk_fma_f16 v22, v22, v26, v24 op_sel:[0,1,0]
	v_pk_fma_f16 v24, v23, v27, v25 op_sel_hi:[1,0,1]
	v_add_u32_e32 v39, 0x3c00, v37
	v_pk_fma_f16 v26, v23, v27, v22 op_sel:[0,1,0]
	s_waitcnt lgkmcnt(0)
	v_pk_fma_f16 v27, v30, v28, v24 op_sel_hi:[1,0,1]
	ds_read2_b32 v[62:63], v39 offset1:32
	ds_read_b128 v[22:25], v52 offset:480
	v_pk_fma_f16 v26, v30, v28, v26 op_sel:[0,1,0]
	v_pk_fma_f16 v30, v31, v29, v27 op_sel_hi:[1,0,1]
	v_pk_fma_f16 v40, v31, v29, v26 op_sel:[0,1,0]
	ds_read_b128 v[26:29], v52 offset:496
	s_waitcnt lgkmcnt(1)
	v_pk_fma_f16 v61, v62, v22, v30 op_sel_hi:[1,0,1]
	ds_read2_b32 v[30:31], v39 offset0:64 offset1:96
	v_pk_fma_f16 v22, v62, v22, v40 op_sel:[0,1,0]
	v_pk_fma_f16 v40, v63, v23, v61 op_sel_hi:[1,0,1]
	v_pk_fma_f16 v61, v63, v23, v22 op_sel:[0,1,0]
	ds_read2_b32 v[22:23], v39 offset0:128 offset1:160
	s_waitcnt lgkmcnt(1)
	v_pk_fma_f16 v40, v30, v24, v40 op_sel_hi:[1,0,1]
	v_pk_fma_f16 v24, v30, v24, v61 op_sel:[0,1,0]
	v_pk_fma_f16 v30, v31, v25, v40 op_sel_hi:[1,0,1]
	v_pk_fma_f16 v24, v31, v25, v24 op_sel:[0,1,0]
	s_waitcnt lgkmcnt(0)
	v_pk_fma_f16 v25, v22, v26, v30 op_sel_hi:[1,0,1]
	v_pk_fma_f16 v22, v22, v26, v24 op_sel:[0,1,0]
	v_pk_fma_f16 v26, v23, v27, v25 op_sel_hi:[1,0,1]
	ds_read2_b32 v[24:25], v39 offset0:192 offset1:224
	s_waitcnt lgkmcnt(0)
	s_barrier
	s_load_dword s23, s[2:3], 0x4
	v_pk_fma_f16 v22, v23, v27, v22 op_sel:[0,1,0]
	v_pk_fma_f16 v23, v24, v28, v26 op_sel_hi:[1,0,1]
	v_pk_fma_f16 v22, v24, v28, v22 op_sel:[0,1,0]
	v_pk_fma_f16 v40, v25, v29, v23 op_sel_hi:[1,0,1]
	s_waitcnt lgkmcnt(0)
	s_lshl_b32 s23, s23, 7
	s_add_i32 s44, s23, s44
	s_cmp_lt_i32 s44, s13
	v_pk_fma_f16 v39, v25, v29, v22 op_sel:[0,1,0]
	s_cbranch_scc0 .LBB59_27
.LBB59_10:                              ; =>This Inner Loop Header: Depth=1
	s_mul_hi_i32 s47, s44, s10
	s_mul_i32 s46, s44, s10
	s_lshl_b64 s[46:47], s[46:47], 2
	s_add_u32 s23, s11, s46
	s_addc_u32 s46, s12, s47
	v_mov_b32_e32 v22, s46
	v_add_co_u32_e32 v23, vcc, s23, v2
	v_addc_co_u32_e32 v24, vcc, v22, v3, vcc
	v_add_co_u32_e32 v22, vcc, v23, v57
	v_addc_co_u32_e32 v23, vcc, 0, v24, vcc
	v_mov_b32_e32 v24, s46
	v_add_co_u32_e32 v25, vcc, s23, v4
	v_addc_co_u32_e32 v26, vcc, v24, v5, vcc
	v_add_co_u32_e32 v24, vcc, v25, v57
	v_addc_co_u32_e32 v25, vcc, 0, v26, vcc
	global_load_dwordx4 v[62:65], v[22:23], off
	global_load_dwordx4 v[66:69], v[24:25], off
	v_mov_b32_e32 v22, s46
	v_add_co_u32_e32 v23, vcc, s23, v6
	v_addc_co_u32_e32 v24, vcc, v22, v7, vcc
	v_add_co_u32_e32 v22, vcc, v23, v57
	v_addc_co_u32_e32 v23, vcc, 0, v24, vcc
	v_mov_b32_e32 v24, s46
	v_add_co_u32_e32 v25, vcc, s23, v8
	v_addc_co_u32_e32 v26, vcc, v24, v9, vcc
	v_add_co_u32_e32 v24, vcc, v25, v57
	v_addc_co_u32_e32 v25, vcc, 0, v26, vcc
	global_load_dwordx4 v[70:73], v[22:23], off
	global_load_dwordx4 v[74:77], v[24:25], off
	v_mov_b32_e32 v27, 0
	v_mov_b32_e32 v22, 0
	;; [unrolled: 1-line block ×8, first 2 shown]
	s_and_b64 vcc, exec, s[0:1]
	s_waitcnt vmcnt(3)
	ds_write_b128 v45, v[62:65]
	s_waitcnt vmcnt(2)
	ds_write_b128 v46, v[66:69]
	;; [unrolled: 2-line block ×4, first 2 shown]
	s_waitcnt lgkmcnt(0)
	s_barrier
	ds_read_b128 v[62:65], v50
	ds_read_b128 v[66:69], v49
	ds_read_b128 v[70:73], v49 offset:4608
	ds_read_b128 v[74:77], v49 offset:9216
	;; [unrolled: 1-line block ×4, first 2 shown]
	s_waitcnt lgkmcnt(4)
	;;#ASMSTART
	v_dot2_f32_f16 v27, v66, v62, v27
	;;#ASMEND
	;;#ASMSTART
	v_dot2_f32_f16 v27, v67, v63, v27
	;;#ASMEND
	;; [unrolled: 3-line block ×4, first 2 shown]
	s_waitcnt lgkmcnt(0)
	;;#ASMSTART
	v_dot2_f32_f16 v22, v66, v82, v22
	;;#ASMEND
	;;#ASMSTART
	v_dot2_f32_f16 v22, v67, v83, v22
	;;#ASMEND
	;; [unrolled: 3-line block ×28, first 2 shown]
	ds_read_b128 v[62:65], v50 offset:16
	ds_read_b128 v[66:69], v49 offset:16
	ds_read_b128 v[70:73], v49 offset:4624
	ds_read_b128 v[74:77], v49 offset:9232
	ds_read_b128 v[78:81], v49 offset:13840
	ds_read_b128 v[82:85], v50 offset:144
	s_waitcnt lgkmcnt(4)
	;;#ASMSTART
	v_dot2_f32_f16 v27, v66, v62, v27
	;;#ASMEND
	;;#ASMSTART
	v_dot2_f32_f16 v27, v67, v63, v27
	;;#ASMEND
	;; [unrolled: 3-line block ×4, first 2 shown]
	s_waitcnt lgkmcnt(0)
	;;#ASMSTART
	v_dot2_f32_f16 v22, v66, v82, v22
	;;#ASMEND
	;;#ASMSTART
	v_dot2_f32_f16 v22, v67, v83, v22
	;;#ASMEND
	;; [unrolled: 3-line block ×28, first 2 shown]
	ds_read_b128 v[62:65], v50 offset:32
	ds_read_b128 v[66:69], v49 offset:32
	;; [unrolled: 1-line block ×6, first 2 shown]
	s_waitcnt lgkmcnt(4)
	;;#ASMSTART
	v_dot2_f32_f16 v27, v66, v62, v27
	;;#ASMEND
	;;#ASMSTART
	v_dot2_f32_f16 v27, v67, v63, v27
	;;#ASMEND
	;; [unrolled: 3-line block ×4, first 2 shown]
	s_waitcnt lgkmcnt(0)
	;;#ASMSTART
	v_dot2_f32_f16 v22, v66, v82, v22
	;;#ASMEND
	;;#ASMSTART
	v_dot2_f32_f16 v22, v67, v83, v22
	;;#ASMEND
	;; [unrolled: 3-line block ×28, first 2 shown]
	ds_read_b128 v[62:65], v50 offset:48
	ds_read_b128 v[66:69], v49 offset:48
	;; [unrolled: 1-line block ×6, first 2 shown]
	s_waitcnt lgkmcnt(4)
	;;#ASMSTART
	v_dot2_f32_f16 v27, v66, v62, v27
	;;#ASMEND
	;;#ASMSTART
	v_dot2_f32_f16 v27, v67, v63, v27
	;;#ASMEND
	;; [unrolled: 3-line block ×4, first 2 shown]
	s_waitcnt lgkmcnt(0)
	;;#ASMSTART
	v_dot2_f32_f16 v22, v66, v82, v22
	;;#ASMEND
	;;#ASMSTART
	v_dot2_f32_f16 v22, v67, v83, v22
	;;#ASMEND
	;; [unrolled: 3-line block ×28, first 2 shown]
	ds_read_b128 v[62:65], v50 offset:64
	ds_read_b128 v[66:69], v49 offset:64
	;; [unrolled: 1-line block ×6, first 2 shown]
	s_waitcnt lgkmcnt(4)
	;;#ASMSTART
	v_dot2_f32_f16 v27, v66, v62, v27
	;;#ASMEND
	;;#ASMSTART
	v_dot2_f32_f16 v27, v67, v63, v27
	;;#ASMEND
	;; [unrolled: 3-line block ×4, first 2 shown]
	s_waitcnt lgkmcnt(0)
	;;#ASMSTART
	v_dot2_f32_f16 v22, v66, v82, v22
	;;#ASMEND
	;;#ASMSTART
	v_dot2_f32_f16 v22, v67, v83, v22
	;;#ASMEND
	;; [unrolled: 3-line block ×28, first 2 shown]
	ds_read_b128 v[62:65], v50 offset:80
	ds_read_b128 v[66:69], v49 offset:80
	;; [unrolled: 1-line block ×6, first 2 shown]
	s_waitcnt lgkmcnt(4)
	;;#ASMSTART
	v_dot2_f32_f16 v27, v66, v62, v27
	;;#ASMEND
	;;#ASMSTART
	v_dot2_f32_f16 v27, v67, v63, v27
	;;#ASMEND
	;; [unrolled: 3-line block ×4, first 2 shown]
	s_waitcnt lgkmcnt(0)
	;;#ASMSTART
	v_dot2_f32_f16 v22, v66, v82, v22
	;;#ASMEND
	;;#ASMSTART
	v_dot2_f32_f16 v22, v67, v83, v22
	;;#ASMEND
	;; [unrolled: 3-line block ×28, first 2 shown]
	ds_read_b128 v[62:65], v50 offset:96
	ds_read_b128 v[66:69], v49 offset:96
	;; [unrolled: 1-line block ×6, first 2 shown]
	s_waitcnt lgkmcnt(4)
	;;#ASMSTART
	v_dot2_f32_f16 v27, v66, v62, v27
	;;#ASMEND
	;;#ASMSTART
	v_dot2_f32_f16 v27, v67, v63, v27
	;;#ASMEND
	;; [unrolled: 3-line block ×4, first 2 shown]
	s_waitcnt lgkmcnt(0)
	;;#ASMSTART
	v_dot2_f32_f16 v22, v66, v82, v22
	;;#ASMEND
	;;#ASMSTART
	v_dot2_f32_f16 v22, v67, v83, v22
	;;#ASMEND
	;; [unrolled: 3-line block ×28, first 2 shown]
	ds_read_b128 v[62:65], v50 offset:112
	ds_read_b128 v[66:69], v49 offset:112
	;; [unrolled: 1-line block ×6, first 2 shown]
	s_waitcnt lgkmcnt(4)
	;;#ASMSTART
	v_dot2_f32_f16 v27, v66, v62, v27
	;;#ASMEND
	;;#ASMSTART
	v_dot2_f32_f16 v27, v67, v63, v27
	;;#ASMEND
	;; [unrolled: 3-line block ×4, first 2 shown]
	s_waitcnt lgkmcnt(0)
	;;#ASMSTART
	v_dot2_f32_f16 v22, v66, v82, v22
	;;#ASMEND
	;;#ASMSTART
	v_dot2_f32_f16 v22, v67, v83, v22
	;;#ASMEND
	;; [unrolled: 3-line block ×25, first 2 shown]
	v_add_u32_e32 v65, s44, v34
	;;#ASMSTART
	v_dot2_f32_f16 v61, v79, v83, v61
	;;#ASMEND
	v_add_u32_e32 v24, v65, v44
	;;#ASMSTART
	v_dot2_f32_f16 v61, v80, v84, v61
	;;#ASMEND
	v_ashrrev_i32_e32 v25, 31, v24
	v_mov_b32_e32 v62, 0
	;;#ASMSTART
	v_dot2_f32_f16 v61, v81, v85, v61
	;;#ASMEND
	s_cbranch_vccnz .LBB59_12
; %bb.11:                               ;   in Loop: Header=BB59_10 Depth=1
	v_lshlrev_b64 v[62:63], 1, v[24:25]
	v_mov_b32_e32 v26, s41
	v_add_co_u32_e32 v62, vcc, s40, v62
	v_addc_co_u32_e32 v63, vcc, v26, v63, vcc
	flat_load_ushort v26, v[62:63]
	s_waitcnt vmcnt(0) lgkmcnt(0)
	v_cvt_f32_f16_e32 v26, v26
	v_mul_f32_e32 v62, v41, v26
.LBB59_12:                              ;   in Loop: Header=BB59_10 Depth=1
	s_and_b64 vcc, exec, s[0:1]
	v_mov_b32_e32 v64, 0
	v_mov_b32_e32 v66, 0
	s_cbranch_vccnz .LBB59_14
; %bb.13:                               ;   in Loop: Header=BB59_10 Depth=1
	v_lshlrev_b64 v[66:67], 1, v[24:25]
	v_mov_b32_e32 v26, s15
	v_add_co_u32_e32 v66, vcc, s14, v66
	v_addc_co_u32_e32 v67, vcc, v26, v67, vcc
	flat_load_ushort v26, v[66:67]
	s_waitcnt vmcnt(0) lgkmcnt(0)
	v_cvt_f32_f16_e32 v26, v26
	v_mul_f32_e32 v66, v41, v26
.LBB59_14:                              ;   in Loop: Header=BB59_10 Depth=1
	s_and_b64 vcc, exec, s[0:1]
	s_cbranch_vccnz .LBB59_16
; %bb.15:                               ;   in Loop: Header=BB59_10 Depth=1
	v_lshlrev_b64 v[68:69], 1, v[24:25]
	v_mov_b32_e32 v26, s17
	v_add_co_u32_e32 v68, vcc, s16, v68
	v_addc_co_u32_e32 v69, vcc, v26, v69, vcc
	flat_load_ushort v26, v[68:69]
	s_waitcnt vmcnt(0) lgkmcnt(0)
	v_cvt_f32_f16_e32 v26, v26
	v_mul_f32_e32 v64, v41, v26
.LBB59_16:                              ;   in Loop: Header=BB59_10 Depth=1
	s_and_b64 vcc, exec, s[0:1]
	v_mov_b32_e32 v26, 0
	v_mov_b32_e32 v67, 0
	s_cbranch_vccnz .LBB59_18
; %bb.17:                               ;   in Loop: Header=BB59_10 Depth=1
	v_lshlrev_b64 v[24:25], 1, v[24:25]
	v_mov_b32_e32 v63, s19
	v_add_co_u32_e32 v24, vcc, s18, v24
	v_addc_co_u32_e32 v25, vcc, v63, v25, vcc
	flat_load_ushort v24, v[24:25]
	s_waitcnt vmcnt(0) lgkmcnt(0)
	v_cvt_f32_f16_e32 v24, v24
	v_mul_f32_e32 v67, v41, v24
.LBB59_18:                              ;   in Loop: Header=BB59_10 Depth=1
	v_add_f32_e32 v63, v27, v62
	v_add_f32_e32 v62, v28, v66
	;; [unrolled: 1-line block ×4, first 2 shown]
	v_max3_f32 v25, v12, v24, v25
	v_and_b32_e32 v24, 0x60, v58
	v_add_f32_e32 v28, v31, v64
	v_add_u32_e32 v31, 32, v24
	v_xor_b32_e32 v24, 16, v58
	v_cmp_lt_i32_e32 vcc, v24, v31
	v_cndmask_b32_e32 v24, v58, v24, vcc
	v_lshlrev_b32_e32 v64, 2, v24
	v_add_f32_e32 v24, v30, v67
	v_add_f32_e32 v27, 0x40051340, v28
	;; [unrolled: 1-line block ×3, first 2 shown]
	v_max3_f32 v25, v25, v27, v30
	ds_bpermute_b32 v27, v64, v25
	v_xor_b32_e32 v30, 8, v58
	v_cmp_lt_i32_e32 vcc, v30, v31
	v_cndmask_b32_e32 v30, v58, v30, vcc
	v_lshlrev_b32_e32 v69, 2, v30
	s_waitcnt lgkmcnt(0)
	v_max_f32_e32 v27, v27, v27
	v_max_f32_e32 v25, v25, v27
	ds_bpermute_b32 v27, v69, v25
	v_xor_b32_e32 v30, 4, v58
	v_cmp_lt_i32_e32 vcc, v30, v31
	v_cndmask_b32_e32 v30, v58, v30, vcc
	v_lshlrev_b32_e32 v68, 2, v30
	s_waitcnt lgkmcnt(0)
	v_max_f32_e32 v27, v27, v27
	v_max_f32_e32 v25, v25, v27
	;; [unrolled: 8-line block ×4, first 2 shown]
	ds_bpermute_b32 v71, v66, v70
	v_add_u32_e32 v30, v65, v51
	s_and_b64 vcc, exec, s[0:1]
	v_ashrrev_i32_e32 v31, 31, v30
	s_cbranch_vccnz .LBB59_20
; %bb.19:                               ;   in Loop: Header=BB59_10 Depth=1
	v_lshlrev_b64 v[26:27], 1, v[30:31]
	v_mov_b32_e32 v25, s41
	v_add_co_u32_e32 v26, vcc, s40, v26
	v_addc_co_u32_e32 v27, vcc, v25, v27, vcc
	flat_load_ushort v25, v[26:27]
	s_waitcnt vmcnt(0) lgkmcnt(0)
	v_cvt_f32_f16_e32 v25, v25
	v_mul_f32_e32 v26, v41, v25
.LBB59_20:                              ;   in Loop: Header=BB59_10 Depth=1
	s_and_b64 vcc, exec, s[0:1]
	v_mov_b32_e32 v25, 0
	v_mov_b32_e32 v27, 0
	s_cbranch_vccnz .LBB59_22
; %bb.21:                               ;   in Loop: Header=BB59_10 Depth=1
	v_lshlrev_b64 v[72:73], 1, v[30:31]
	v_mov_b32_e32 v27, s15
	v_add_co_u32_e32 v72, vcc, s14, v72
	v_addc_co_u32_e32 v73, vcc, v27, v73, vcc
	flat_load_ushort v27, v[72:73]
	s_waitcnt vmcnt(0) lgkmcnt(0)
	v_cvt_f32_f16_e32 v27, v27
	v_mul_f32_e32 v27, v41, v27
.LBB59_22:                              ;   in Loop: Header=BB59_10 Depth=1
	s_and_b64 vcc, exec, s[0:1]
	s_cbranch_vccnz .LBB59_24
; %bb.23:                               ;   in Loop: Header=BB59_10 Depth=1
	v_lshlrev_b64 v[72:73], 1, v[30:31]
	v_mov_b32_e32 v25, s17
	v_add_co_u32_e32 v72, vcc, s16, v72
	v_addc_co_u32_e32 v73, vcc, v25, v73, vcc
	flat_load_ushort v25, v[72:73]
	s_waitcnt vmcnt(0) lgkmcnt(0)
	v_cvt_f32_f16_e32 v25, v25
	v_mul_f32_e32 v25, v41, v25
.LBB59_24:                              ;   in Loop: Header=BB59_10 Depth=1
	s_and_b64 vcc, exec, s[0:1]
	s_cbranch_vccz .LBB59_8
; %bb.25:                               ;   in Loop: Header=BB59_10 Depth=1
	v_mov_b32_e32 v30, 0
	s_branch .LBB59_9
.LBB59_26:
	s_mov_b32 s1, s0
	v_pk_mov_b32 v[12:13], s[0:1], s[0:1] op_sel:[0,1]
	v_mov_b32_e32 v14, v15
	v_mov_b32_e32 v39, 0
.LBB59_27:
	v_lshlrev_b32_e32 v16, 1, v34
	s_cmp_gt_i32 s42, s44
	s_cbranch_scc1 .LBB59_29
; %bb.28:
	v_mbcnt_hi_u32_b32 v10, -1, v43
	v_and_b32_e32 v2, 0x60, v10
	v_add_u32_e32 v11, 32, v2
	v_xor_b32_e32 v23, 16, v10
	v_xor_b32_e32 v24, 8, v10
	;; [unrolled: 1-line block ×5, first 2 shown]
	s_cbranch_execz .LBB59_30
	s_branch .LBB59_71
.LBB59_29:
                                        ; implicit-def: $vgpr10
                                        ; implicit-def: $vgpr11
                                        ; implicit-def: $vgpr23
                                        ; implicit-def: $vgpr24
                                        ; implicit-def: $vgpr25
                                        ; implicit-def: $vgpr26
                                        ; implicit-def: $vgpr27
.LBB59_30:
	s_load_dwordx2 s[0:1], s[4:5], 0x4
	v_bfe_u32 v0, v0, 20, 10
	s_mul_hi_i32 s3, s44, s10
	s_mul_i32 s2, s44, s10
	v_lshl_add_u32 v19, v38, 2, v1
	s_waitcnt lgkmcnt(0)
	s_lshr_b32 s0, s0, 16
	s_mul_i32 s0, s0, s1
	v_mul_u32_u24_e32 v2, s1, v38
	v_mul_lo_u32 v3, s0, v34
	s_sub_i32 s42, s42, s44
	v_add3_u32 v0, v3, v2, v0
	s_lshl_b64 s[0:1], s[2:3], 2
	v_mul_lo_u32 v4, s10, v19
	v_lshlrev_b32_e32 v17, 4, v0
	s_add_u32 s11, s11, s0
	v_and_b32_e32 v0, 28, v37
	v_ashrrev_i32_e32 v5, 31, v4
	s_addc_u32 s12, s12, s1
	v_lshlrev_b32_e32 v18, 2, v0
	v_lshlrev_b64 v[0:1], 2, v[4:5]
	v_mov_b32_e32 v2, s12
	v_add_co_u32_e32 v0, vcc, s11, v0
	v_addc_co_u32_e32 v1, vcc, v2, v1, vcc
	s_mov_b64 s[0:1], src_shared_base
	v_add_co_u32_e32 v0, vcc, v0, v18
	v_add_u32_e32 v6, 0x6000, v17
	v_mov_b32_e32 v7, 0
	v_addc_co_u32_e32 v1, vcc, 0, v1, vcc
	v_mov_b32_e32 v11, s1
	v_cmp_gt_i32_e64 s[0:1], s42, v19
	v_add_u32_e32 v10, 0x6004, v17
	ds_write_b32 v17, v7 offset:24576
	ds_write2_b32 v10, v7, v7 offset1:1
	ds_write_b32 v17, v7 offset:24588
	v_cndmask_b32_e64 v1, v11, v1, s[0:1]
	v_cndmask_b32_e64 v0, v6, v0, s[0:1]
	flat_load_dwordx4 v[0:3], v[0:1]
	s_lshl_b32 s10, s10, 5
	v_add_u32_e32 v4, s10, v4
	v_ashrrev_i32_e32 v5, 31, v4
	v_lshlrev_b64 v[8:9], 2, v[4:5]
	v_mov_b32_e32 v21, s12
	v_add_co_u32_e32 v5, vcc, s11, v8
	v_addc_co_u32_e32 v8, vcc, v21, v9, vcc
	s_movk_i32 s2, 0x90
	v_add_u32_e32 v20, 32, v19
	v_add_co_u32_e32 v5, vcc, v5, v18
	v_mad_u32_u24 v25, v19, s2, v18
	v_addc_co_u32_e32 v8, vcc, 0, v8, vcc
	v_cmp_gt_i32_e64 s[2:3], s42, v20
	ds_write_b32 v17, v7 offset:24576
	ds_write2_b32 v10, v7, v7 offset1:1
	ds_write_b32 v17, v7 offset:24588
	v_cndmask_b32_e64 v9, v11, v8, s[2:3]
	v_cndmask_b32_e64 v8, v6, v5, s[2:3]
	v_add_u32_e32 v4, s10, v4
	v_ashrrev_i32_e32 v5, 31, v4
	v_mov_b32_e32 v22, s12
	v_add_u32_e32 v21, 64, v19
	v_cmp_gt_i32_e64 s[4:5], s42, v21
	v_lshlrev_b32_e32 v24, 8, v38
	v_mul_u32_u24_e32 v23, 0x90, v34
	v_add_u32_e32 v26, s44, v44
	s_cmp_lg_u64 s[40:41], 0
	s_waitcnt vmcnt(0) lgkmcnt(0)
	ds_write_b128 v25, v[0:3]
	flat_load_dwordx4 v[0:3], v[8:9]
	v_lshlrev_b64 v[8:9], 2, v[4:5]
	v_add_co_u32_e32 v5, vcc, s11, v8
	v_addc_co_u32_e32 v8, vcc, v22, v9, vcc
	v_add_co_u32_e32 v5, vcc, v5, v18
	v_addc_co_u32_e32 v8, vcc, 0, v8, vcc
	v_cndmask_b32_e64 v9, v11, v8, s[4:5]
	v_cndmask_b32_e64 v8, v6, v5, s[4:5]
	v_add_u32_e32 v4, s10, v4
	v_ashrrev_i32_e32 v5, 31, v4
	v_lshlrev_b64 v[4:5], 2, v[4:5]
	v_add_co_u32_e32 v4, vcc, s11, v4
	v_add_u32_e32 v22, 0x60, v19
	v_cmp_gt_i32_e64 s[20:21], s42, v22
	s_cselect_b64 s[10:11], -1, 0
	v_cndmask_b32_e64 v27, 0, 1, s[10:11]
	v_cmp_ne_u32_e64 s[10:11], 1, v27
	ds_write_b32 v17, v7 offset:24576
	ds_write2_b32 v10, v7, v7 offset1:1
	ds_write_b32 v17, v7 offset:24588
	s_waitcnt vmcnt(0) lgkmcnt(0)
	ds_write_b128 v25, v[0:3] offset:4608
	flat_load_dwordx4 v[0:3], v[8:9]
	v_mov_b32_e32 v8, s12
	v_addc_co_u32_e32 v5, vcc, v8, v5, vcc
	v_add_co_u32_e32 v4, vcc, v4, v18
	v_addc_co_u32_e32 v5, vcc, 0, v5, vcc
	v_cndmask_b32_e64 v5, v11, v5, s[20:21]
	v_cndmask_b32_e64 v4, v6, v4, s[20:21]
	v_mov_b32_e32 v6, 0
	v_cmp_gt_i32_e64 s[12:13], s42, v34
	ds_write_b32 v17, v7 offset:24576
	ds_write2_b32 v10, v7, v7 offset1:1
	ds_write_b32 v17, v7 offset:24588
	s_waitcnt vmcnt(0) lgkmcnt(0)
	ds_write_b128 v25, v[0:3] offset:9216
	flat_load_dwordx4 v[8:11], v[4:5]
	v_mov_b32_e32 v0, 0
	v_mov_b32_e32 v1, 0
	;; [unrolled: 1-line block ×6, first 2 shown]
	s_waitcnt vmcnt(0) lgkmcnt(0)
	ds_write_b128 v25, v[8:11] offset:13824
	s_waitcnt lgkmcnt(0)
	s_barrier
	ds_read_b128 v[8:11], v24 offset:22528
	ds_read_b128 v[28:31], v23
	ds_read_b128 v[44:47], v23 offset:4608
	ds_read_b128 v[48:51], v23 offset:9216
	;; [unrolled: 1-line block ×4, first 2 shown]
	s_waitcnt lgkmcnt(4)
	;;#ASMSTART
	v_dot2_f32_f16 v0, v28, v8, v0
	;;#ASMEND
	;;#ASMSTART
	v_dot2_f32_f16 v0, v29, v9, v0
	;;#ASMEND
	;;#ASMSTART
	v_dot2_f32_f16 v0, v30, v10, v0
	;;#ASMEND
	;;#ASMSTART
	v_dot2_f32_f16 v0, v31, v11, v0
	;;#ASMEND
	s_waitcnt lgkmcnt(0)
	;;#ASMSTART
	v_dot2_f32_f16 v1, v28, v56, v1
	;;#ASMEND
	;;#ASMSTART
	v_dot2_f32_f16 v1, v29, v57, v1
	;;#ASMEND
	;; [unrolled: 3-line block ×28, first 2 shown]
	ds_read_b128 v[8:11], v24 offset:22544
	ds_read_b128 v[28:31], v23 offset:16
	;; [unrolled: 1-line block ×6, first 2 shown]
	s_waitcnt lgkmcnt(4)
	;;#ASMSTART
	v_dot2_f32_f16 v0, v28, v8, v0
	;;#ASMEND
	;;#ASMSTART
	v_dot2_f32_f16 v0, v29, v9, v0
	;;#ASMEND
	;; [unrolled: 3-line block ×4, first 2 shown]
	s_waitcnt lgkmcnt(0)
	;;#ASMSTART
	v_dot2_f32_f16 v1, v28, v56, v1
	;;#ASMEND
	;;#ASMSTART
	v_dot2_f32_f16 v1, v29, v57, v1
	;;#ASMEND
	;; [unrolled: 3-line block ×28, first 2 shown]
	ds_read_b128 v[8:11], v24 offset:22560
	ds_read_b128 v[28:31], v23 offset:32
	;; [unrolled: 1-line block ×6, first 2 shown]
	s_waitcnt lgkmcnt(4)
	;;#ASMSTART
	v_dot2_f32_f16 v0, v28, v8, v0
	;;#ASMEND
	;;#ASMSTART
	v_dot2_f32_f16 v0, v29, v9, v0
	;;#ASMEND
	;; [unrolled: 3-line block ×4, first 2 shown]
	s_waitcnt lgkmcnt(0)
	;;#ASMSTART
	v_dot2_f32_f16 v1, v28, v56, v1
	;;#ASMEND
	;;#ASMSTART
	v_dot2_f32_f16 v1, v29, v57, v1
	;;#ASMEND
	;; [unrolled: 3-line block ×28, first 2 shown]
	ds_read_b128 v[8:11], v24 offset:22576
	ds_read_b128 v[28:31], v23 offset:48
	;; [unrolled: 1-line block ×6, first 2 shown]
	s_waitcnt lgkmcnt(4)
	;;#ASMSTART
	v_dot2_f32_f16 v0, v28, v8, v0
	;;#ASMEND
	;;#ASMSTART
	v_dot2_f32_f16 v0, v29, v9, v0
	;;#ASMEND
	;; [unrolled: 3-line block ×4, first 2 shown]
	s_waitcnt lgkmcnt(0)
	;;#ASMSTART
	v_dot2_f32_f16 v1, v28, v56, v1
	;;#ASMEND
	;;#ASMSTART
	v_dot2_f32_f16 v1, v29, v57, v1
	;;#ASMEND
	;;#ASMSTART
	v_dot2_f32_f16 v1, v30, v58, v1
	;;#ASMEND
	;;#ASMSTART
	v_dot2_f32_f16 v1, v31, v59, v1
	;;#ASMEND
	;;#ASMSTART
	v_dot2_f32_f16 v2, v44, v8, v2
	;;#ASMEND
	;;#ASMSTART
	v_dot2_f32_f16 v2, v45, v9, v2
	;;#ASMEND
	;;#ASMSTART
	v_dot2_f32_f16 v2, v46, v10, v2
	;;#ASMEND
	;;#ASMSTART
	v_dot2_f32_f16 v2, v47, v11, v2
	;;#ASMEND
	;;#ASMSTART
	v_dot2_f32_f16 v3, v44, v56, v3
	;;#ASMEND
	;;#ASMSTART
	v_dot2_f32_f16 v3, v45, v57, v3
	;;#ASMEND
	;;#ASMSTART
	v_dot2_f32_f16 v3, v46, v58, v3
	;;#ASMEND
	;;#ASMSTART
	v_dot2_f32_f16 v3, v47, v59, v3
	;;#ASMEND
	;;#ASMSTART
	v_dot2_f32_f16 v4, v48, v8, v4
	;;#ASMEND
	;;#ASMSTART
	v_dot2_f32_f16 v4, v49, v9, v4
	;;#ASMEND
	;;#ASMSTART
	v_dot2_f32_f16 v4, v50, v10, v4
	;;#ASMEND
	;;#ASMSTART
	v_dot2_f32_f16 v4, v51, v11, v4
	;;#ASMEND
	;;#ASMSTART
	v_dot2_f32_f16 v5, v48, v56, v5
	;;#ASMEND
	;;#ASMSTART
	v_dot2_f32_f16 v5, v49, v57, v5
	;;#ASMEND
	;;#ASMSTART
	v_dot2_f32_f16 v5, v50, v58, v5
	;;#ASMEND
	;;#ASMSTART
	v_dot2_f32_f16 v5, v51, v59, v5
	;;#ASMEND
	;;#ASMSTART
	v_dot2_f32_f16 v6, v52, v8, v6
	;;#ASMEND
	;;#ASMSTART
	v_dot2_f32_f16 v6, v53, v9, v6
	;;#ASMEND
	;;#ASMSTART
	v_dot2_f32_f16 v6, v54, v10, v6
	;;#ASMEND
	;;#ASMSTART
	v_dot2_f32_f16 v6, v55, v11, v6
	;;#ASMEND
	;;#ASMSTART
	v_dot2_f32_f16 v7, v52, v56, v7
	;;#ASMEND
	;;#ASMSTART
	v_dot2_f32_f16 v7, v53, v57, v7
	;;#ASMEND
	;;#ASMSTART
	v_dot2_f32_f16 v7, v54, v58, v7
	;;#ASMEND
	;;#ASMSTART
	v_dot2_f32_f16 v7, v55, v59, v7
	;;#ASMEND
	ds_read_b128 v[8:11], v24 offset:22592
	ds_read_b128 v[28:31], v23 offset:64
	;; [unrolled: 1-line block ×6, first 2 shown]
	s_waitcnt lgkmcnt(4)
	;;#ASMSTART
	v_dot2_f32_f16 v0, v28, v8, v0
	;;#ASMEND
	;;#ASMSTART
	v_dot2_f32_f16 v0, v29, v9, v0
	;;#ASMEND
	;; [unrolled: 3-line block ×4, first 2 shown]
	s_waitcnt lgkmcnt(0)
	;;#ASMSTART
	v_dot2_f32_f16 v1, v28, v56, v1
	;;#ASMEND
	;;#ASMSTART
	v_dot2_f32_f16 v1, v29, v57, v1
	;;#ASMEND
	;; [unrolled: 3-line block ×28, first 2 shown]
	ds_read_b128 v[8:11], v24 offset:22608
	ds_read_b128 v[28:31], v23 offset:80
	;; [unrolled: 1-line block ×6, first 2 shown]
	s_waitcnt lgkmcnt(4)
	;;#ASMSTART
	v_dot2_f32_f16 v0, v28, v8, v0
	;;#ASMEND
	;;#ASMSTART
	v_dot2_f32_f16 v0, v29, v9, v0
	;;#ASMEND
	;; [unrolled: 3-line block ×4, first 2 shown]
	s_waitcnt lgkmcnt(0)
	;;#ASMSTART
	v_dot2_f32_f16 v1, v28, v56, v1
	;;#ASMEND
	;;#ASMSTART
	v_dot2_f32_f16 v1, v29, v57, v1
	;;#ASMEND
	;; [unrolled: 3-line block ×28, first 2 shown]
	ds_read_b128 v[8:11], v24 offset:22624
	ds_read_b128 v[28:31], v23 offset:96
	;; [unrolled: 1-line block ×6, first 2 shown]
	s_waitcnt lgkmcnt(4)
	;;#ASMSTART
	v_dot2_f32_f16 v0, v28, v8, v0
	;;#ASMEND
	;;#ASMSTART
	v_dot2_f32_f16 v0, v29, v9, v0
	;;#ASMEND
	;; [unrolled: 3-line block ×4, first 2 shown]
	s_waitcnt lgkmcnt(0)
	;;#ASMSTART
	v_dot2_f32_f16 v1, v28, v56, v1
	;;#ASMEND
	;;#ASMSTART
	v_dot2_f32_f16 v1, v29, v57, v1
	;;#ASMEND
	;; [unrolled: 3-line block ×28, first 2 shown]
	ds_read_b128 v[8:11], v24 offset:22640
	ds_read_b128 v[28:31], v23 offset:112
	ds_read_b128 v[44:47], v23 offset:4720
	ds_read_b128 v[48:51], v23 offset:9328
	ds_read_b128 v[52:55], v23 offset:13936
	ds_read_b128 v[56:59], v24 offset:22768
	s_waitcnt lgkmcnt(4)
	;;#ASMSTART
	v_dot2_f32_f16 v0, v28, v8, v0
	;;#ASMEND
	;;#ASMSTART
	v_dot2_f32_f16 v0, v29, v9, v0
	;;#ASMEND
	;; [unrolled: 3-line block ×4, first 2 shown]
	s_waitcnt lgkmcnt(0)
	;;#ASMSTART
	v_dot2_f32_f16 v1, v28, v56, v1
	;;#ASMEND
	;;#ASMSTART
	v_dot2_f32_f16 v1, v29, v57, v1
	;;#ASMEND
	;; [unrolled: 3-line block ×27, first 2 shown]
	v_pk_mov_b32 v[8:9], v[12:13], v[12:13] op_sel:[0,1]
	;;#ASMSTART
	v_dot2_f32_f16 v7, v55, v59, v7
	;;#ASMEND
	s_and_saveexec_b64 s[14:15], s[12:13]
	s_cbranch_execz .LBB59_35
; %bb.31:
	s_and_b64 vcc, exec, s[10:11]
	s_cbranch_vccnz .LBB59_33
; %bb.32:
	v_add_u32_e32 v8, v26, v34
	v_ashrrev_i32_e32 v9, 31, v8
	v_lshlrev_b64 v[8:9], 1, v[8:9]
	v_mov_b32_e32 v10, s41
	v_add_co_u32_e32 v8, vcc, s40, v8
	v_addc_co_u32_e32 v9, vcc, v10, v9, vcc
	flat_load_ushort v8, v[8:9]
	s_waitcnt vmcnt(0) lgkmcnt(0)
	v_cvt_f32_f16_e32 v8, v8
	v_mul_f32_e32 v8, v41, v8
	s_branch .LBB59_34
.LBB59_33:
	v_mov_b32_e32 v8, 0
.LBB59_34:
	v_add_f32_e32 v0, v0, v8
	v_add_f32_e32 v8, 0x40051340, v0
	v_max_f32_e32 v9, v12, v12
	v_max_f32_e32 v8, v9, v8
	v_mov_b32_e32 v9, v13
.LBB59_35:
	s_or_b64 exec, exec, s[14:15]
	v_add_u32_e32 v28, 32, v34
	v_cmp_gt_i32_e64 s[14:15], s42, v28
	s_and_saveexec_b64 s[16:17], s[14:15]
	s_cbranch_execz .LBB59_40
; %bb.36:
	s_and_b64 vcc, exec, s[10:11]
	s_cbranch_vccnz .LBB59_38
; %bb.37:
	v_ashrrev_i32_e32 v11, 31, v26
	v_add_co_u32_e32 v10, vcc, v26, v34
	v_addc_co_u32_e32 v11, vcc, 0, v11, vcc
	v_lshlrev_b64 v[10:11], 1, v[10:11]
	v_mov_b32_e32 v23, s41
	v_add_co_u32_e32 v10, vcc, s40, v10
	v_addc_co_u32_e32 v11, vcc, v23, v11, vcc
	flat_load_ushort v10, v[10:11] offset:64
	s_waitcnt vmcnt(0) lgkmcnt(0)
	v_cvt_f32_f16_e32 v10, v10
	v_mul_f32_e32 v10, v41, v10
	s_branch .LBB59_39
.LBB59_38:
	v_mov_b32_e32 v10, 0
.LBB59_39:
	v_add_f32_e32 v2, v2, v10
	v_add_f32_e32 v10, 0x40051340, v2
	v_max_f32_e32 v8, v8, v8
	v_max_f32_e32 v8, v8, v10
.LBB59_40:
	s_or_b64 exec, exec, s[16:17]
	v_add_u32_e32 v29, 64, v34
	v_cmp_gt_i32_e64 s[16:17], s42, v29
	s_and_saveexec_b64 s[18:19], s[16:17]
	s_cbranch_execz .LBB59_45
; %bb.41:
	s_and_b64 vcc, exec, s[10:11]
	s_cbranch_vccnz .LBB59_43
; %bb.42:
	v_ashrrev_i32_e32 v11, 31, v26
	v_add_co_u32_e32 v10, vcc, v26, v34
	v_addc_co_u32_e32 v11, vcc, 0, v11, vcc
	v_lshlrev_b64 v[10:11], 1, v[10:11]
	v_mov_b32_e32 v23, s41
	v_add_co_u32_e32 v10, vcc, s40, v10
	v_addc_co_u32_e32 v11, vcc, v23, v11, vcc
	flat_load_ushort v10, v[10:11] offset:128
	s_waitcnt vmcnt(0) lgkmcnt(0)
	v_cvt_f32_f16_e32 v10, v10
	v_mul_f32_e32 v10, v41, v10
	s_branch .LBB59_44
.LBB59_43:
	v_mov_b32_e32 v10, 0
.LBB59_44:
	v_add_f32_e32 v4, v4, v10
	v_add_f32_e32 v10, 0x40051340, v4
	v_max_f32_e32 v8, v8, v8
	v_max_f32_e32 v8, v8, v10
.LBB59_45:
	;; [unrolled: 29-line block ×3, first 2 shown]
	s_or_b64 exec, exec, s[22:23]
	v_mbcnt_hi_u32_b32 v10, -1, v43
	v_and_b32_e32 v11, 0x60, v10
	v_add_u32_e32 v11, 32, v11
	v_xor_b32_e32 v23, 16, v10
	v_cmp_lt_i32_e32 vcc, v23, v11
	v_cndmask_b32_e32 v24, v10, v23, vcc
	v_lshlrev_b32_e32 v45, 2, v24
	ds_bpermute_b32 v25, v45, v8
	v_xor_b32_e32 v24, 8, v10
	v_cmp_lt_i32_e32 vcc, v24, v11
	v_cndmask_b32_e32 v26, v10, v24, vcc
	v_max_f32_e32 v8, v8, v8
	s_waitcnt lgkmcnt(0)
	v_max_f32_e32 v25, v25, v25
	v_lshlrev_b32_e32 v46, 2, v26
	v_max_f32_e32 v8, v8, v25
	ds_bpermute_b32 v26, v46, v8
	v_xor_b32_e32 v25, 4, v10
	v_cmp_lt_i32_e32 vcc, v25, v11
	v_cndmask_b32_e32 v27, v10, v25, vcc
	v_lshlrev_b32_e32 v31, 2, v27
	s_waitcnt lgkmcnt(0)
	v_max_f32_e32 v26, v26, v26
	v_max_f32_e32 v8, v8, v26
	ds_bpermute_b32 v27, v31, v8
	v_xor_b32_e32 v26, 2, v10
	v_cmp_lt_i32_e32 vcc, v26, v11
	v_cndmask_b32_e32 v43, v10, v26, vcc
	v_lshlrev_b32_e32 v43, 2, v43
	s_waitcnt lgkmcnt(0)
	v_max_f32_e32 v27, v27, v27
	;; [unrolled: 8-line block ×3, first 2 shown]
	v_max_f32_e32 v8, v8, v47
	ds_bpermute_b32 v47, v44, v8
	v_mul_hi_u32 v48, s36, v42
	s_waitcnt lgkmcnt(0)
	v_max_f32_e32 v47, v47, v47
	v_max_f32_e32 v8, v8, v47
	v_add_u32_e32 v47, v42, v48
	v_lshrrev_b32_e32 v47, s37, v47
	v_mul_lo_u32 v47, v47, s38
	v_sub_u32_e32 v42, v42, v47
	v_mul_lo_u32 v42, v42, s45
	v_add_u32_e32 v42, s44, v42
	s_and_saveexec_b64 s[22:23], s[12:13]
	s_cbranch_execnz .LBB59_54
; %bb.51:
	s_or_b64 exec, exec, s[22:23]
	s_and_saveexec_b64 s[12:13], s[14:15]
	s_cbranch_execnz .LBB59_58
.LBB59_52:
	s_or_b64 exec, exec, s[12:13]
	s_and_saveexec_b64 s[12:13], s[16:17]
	s_cbranch_execnz .LBB59_62
.LBB59_53:
	s_or_b64 exec, exec, s[12:13]
	s_and_saveexec_b64 s[12:13], s[18:19]
	s_cbranch_execnz .LBB59_66
	s_branch .LBB59_70
.LBB59_54:
	s_and_b64 vcc, exec, s[10:11]
	s_cbranch_vccnz .LBB59_56
; %bb.55:
	v_add_u32_e32 v48, v42, v34
	v_ashrrev_i32_e32 v49, 31, v48
	v_lshlrev_b64 v[48:49], 1, v[48:49]
	v_mov_b32_e32 v47, s41
	v_add_co_u32_e32 v48, vcc, s40, v48
	v_addc_co_u32_e32 v49, vcc, v47, v49, vcc
	flat_load_ushort v47, v[48:49]
	s_waitcnt vmcnt(0) lgkmcnt(0)
	v_cvt_f32_f16_e32 v47, v47
	v_mul_f32_e32 v47, v41, v47
	s_branch .LBB59_57
.LBB59_56:
	v_mov_b32_e32 v47, 0
.LBB59_57:
	v_add_f32_e32 v1, v1, v47
	v_add_f32_e32 v47, 0x40051340, v1
	v_max_f32_e32 v9, v9, v9
	v_max_f32_e32 v9, v9, v47
	s_or_b64 exec, exec, s[22:23]
	s_and_saveexec_b64 s[12:13], s[14:15]
	s_cbranch_execz .LBB59_52
.LBB59_58:
	s_and_b64 vcc, exec, s[10:11]
	s_cbranch_vccnz .LBB59_60
; %bb.59:
	v_ashrrev_i32_e32 v47, 31, v42
	v_add_co_u32_e32 v48, vcc, v42, v34
	v_addc_co_u32_e32 v49, vcc, 0, v47, vcc
	v_lshlrev_b64 v[48:49], 1, v[48:49]
	v_mov_b32_e32 v47, s41
	v_add_co_u32_e32 v48, vcc, s40, v48
	v_addc_co_u32_e32 v49, vcc, v47, v49, vcc
	flat_load_ushort v47, v[48:49] offset:64
	s_waitcnt vmcnt(0) lgkmcnt(0)
	v_cvt_f32_f16_e32 v47, v47
	v_mul_f32_e32 v47, v41, v47
	s_branch .LBB59_61
.LBB59_60:
	v_mov_b32_e32 v47, 0
.LBB59_61:
	v_add_f32_e32 v3, v3, v47
	v_add_f32_e32 v47, 0x40051340, v3
	v_max_f32_e32 v9, v9, v9
	v_max_f32_e32 v9, v9, v47
	s_or_b64 exec, exec, s[12:13]
	s_and_saveexec_b64 s[12:13], s[16:17]
	s_cbranch_execz .LBB59_53
.LBB59_62:
	s_and_b64 vcc, exec, s[10:11]
	s_cbranch_vccnz .LBB59_64
; %bb.63:
	v_ashrrev_i32_e32 v47, 31, v42
	v_add_co_u32_e32 v48, vcc, v42, v34
	v_addc_co_u32_e32 v49, vcc, 0, v47, vcc
	v_lshlrev_b64 v[48:49], 1, v[48:49]
	v_mov_b32_e32 v47, s41
	v_add_co_u32_e32 v48, vcc, s40, v48
	v_addc_co_u32_e32 v49, vcc, v47, v49, vcc
	flat_load_ushort v47, v[48:49] offset:128
	s_waitcnt vmcnt(0) lgkmcnt(0)
	v_cvt_f32_f16_e32 v47, v47
	v_mul_f32_e32 v47, v41, v47
	s_branch .LBB59_65
.LBB59_64:
	v_mov_b32_e32 v47, 0
.LBB59_65:
	v_add_f32_e32 v5, v5, v47
	v_add_f32_e32 v47, 0x40051340, v5
	v_max_f32_e32 v9, v9, v9
	v_max_f32_e32 v9, v9, v47
	s_or_b64 exec, exec, s[12:13]
	s_and_saveexec_b64 s[12:13], s[18:19]
	s_cbranch_execz .LBB59_70
.LBB59_66:
	s_and_b64 vcc, exec, s[10:11]
	s_cbranch_vccnz .LBB59_68
; %bb.67:
	v_ashrrev_i32_e32 v47, 31, v42
	v_add_co_u32_e32 v48, vcc, v42, v34
	v_addc_co_u32_e32 v49, vcc, 0, v47, vcc
	v_lshlrev_b64 v[48:49], 1, v[48:49]
	v_mov_b32_e32 v42, s41
	v_add_co_u32_e32 v48, vcc, s40, v48
	v_addc_co_u32_e32 v49, vcc, v42, v49, vcc
	flat_load_ushort v42, v[48:49] offset:192
	s_waitcnt vmcnt(0) lgkmcnt(0)
	v_cvt_f32_f16_e32 v42, v42
	v_mul_f32_e32 v41, v41, v42
	s_branch .LBB59_69
.LBB59_68:
	v_mov_b32_e32 v41, 0
.LBB59_69:
	v_add_f32_e32 v7, v7, v41
	v_add_f32_e32 v41, 0x40051340, v7
	v_max_f32_e32 v9, v9, v9
	v_max_f32_e32 v9, v9, v41
.LBB59_70:
	s_or_b64 exec, exec, s[12:13]
	ds_bpermute_b32 v41, v45, v9
	v_max_f32_e32 v9, v9, v9
	v_sub_f32_e32 v0, v0, v8
	s_mov_b32 s18, 0x3fb8aa3b
	s_mov_b32 s19, 0xc2ce8ed0
	s_waitcnt lgkmcnt(0)
	v_max_f32_e32 v41, v41, v41
	v_max_f32_e32 v9, v9, v41
	ds_bpermute_b32 v41, v46, v9
	s_mov_b32 s22, 0x42b17218
	v_cmp_ngt_f32_e32 vcc, s19, v0
	v_sub_f32_e32 v2, v2, v8
	v_cmp_ngt_f32_e64 s[10:11], s19, v2
	s_waitcnt lgkmcnt(0)
	v_max_f32_e32 v41, v41, v41
	v_max_f32_e32 v9, v9, v41
	ds_bpermute_b32 v31, v31, v9
	v_mul_f32_e32 v41, 0x3fb8aa3b, v0
	v_fma_f32 v45, v0, s18, -v41
	v_rndne_f32_e32 v46, v41
	v_fmac_f32_e32 v45, 0x32a5705f, v0
	s_waitcnt lgkmcnt(0)
	v_max_f32_e32 v31, v31, v31
	v_max_f32_e32 v9, v9, v31
	ds_bpermute_b32 v31, v43, v9
	v_sub_f32_e32 v41, v41, v46
	v_add_f32_e32 v41, v41, v45
	v_cvt_i32_f32_e32 v43, v46
	v_exp_f32_e32 v41, v41
	s_waitcnt lgkmcnt(0)
	v_max_f32_e32 v31, v31, v31
	v_max_f32_e32 v9, v9, v31
	ds_bpermute_b32 v31, v44, v9
	v_ldexp_f32 v41, v41, v43
	v_cndmask_b32_e32 v41, 0, v41, vcc
	v_cmp_nlt_f32_e32 vcc, s22, v0
	v_sub_f32_e32 v4, v4, v8
	s_waitcnt lgkmcnt(0)
	v_max_f32_e32 v31, v31, v31
	v_max_f32_e32 v9, v9, v31
	v_mov_b32_e32 v31, 0x7f800000
	v_cndmask_b32_e32 v0, v31, v41, vcc
	v_mul_f32_e32 v41, 0x3fb8aa3b, v2
	v_fma_f32 v43, v2, s18, -v41
	v_rndne_f32_e32 v44, v41
	v_fmac_f32_e32 v43, 0x32a5705f, v2
	v_sub_f32_e32 v41, v41, v44
	v_add_f32_e32 v41, v41, v43
	v_exp_f32_e32 v41, v41
	v_cvt_i32_f32_e32 v43, v44
	v_cmp_ngt_f32_e64 s[12:13], s19, v4
	v_sub_f32_e32 v1, v1, v9
	v_sub_f32_e32 v3, v3, v9
	v_ldexp_f32 v41, v41, v43
	v_cndmask_b32_e64 v41, 0, v41, s[10:11]
	v_cmp_nlt_f32_e64 s[10:11], s22, v2
	v_cndmask_b32_e64 v2, v31, v41, s[10:11]
	v_mul_f32_e32 v41, 0x3fb8aa3b, v4
	v_fma_f32 v43, v4, s18, -v41
	v_rndne_f32_e32 v45, v41
	v_fmac_f32_e32 v43, 0x32a5705f, v4
	v_sub_f32_e32 v41, v41, v45
	v_add_f32_e32 v41, v41, v43
	v_exp_f32_e32 v41, v41
	v_cvt_i32_f32_e32 v43, v45
	v_cmp_gt_u32_e64 s[10:11], s42, v28
	v_cndmask_b32_e64 v45, 0, v2, s[10:11]
	v_cmp_ngt_f32_e64 s[16:17], s19, v1
	v_ldexp_f32 v2, v41, v43
	v_cndmask_b32_e64 v2, 0, v2, s[12:13]
	v_cmp_nlt_f32_e64 s[12:13], s22, v4
	v_sub_f32_e32 v4, v6, v8
	v_mul_f32_e32 v6, 0x3fb8aa3b, v4
	v_fma_f32 v41, v4, s18, -v6
	v_rndne_f32_e32 v43, v6
	v_fmac_f32_e32 v41, 0x32a5705f, v4
	v_sub_f32_e32 v6, v6, v43
	v_add_f32_e32 v6, v6, v41
	v_exp_f32_e32 v6, v6
	v_cvt_i32_f32_e32 v41, v43
	v_cndmask_b32_e64 v2, v31, v2, s[12:13]
	v_cmp_gt_u32_e64 s[12:13], s42, v29
	v_cndmask_b32_e64 v43, 0, v2, s[12:13]
	v_ldexp_f32 v2, v6, v41
	v_cmp_ngt_f32_e64 s[14:15], s19, v4
	v_cndmask_b32_e64 v2, 0, v2, s[14:15]
	v_cmp_nlt_f32_e64 s[14:15], s22, v4
	v_mul_f32_e32 v4, 0x3fb8aa3b, v1
	v_fma_f32 v6, v1, s18, -v4
	v_rndne_f32_e32 v41, v4
	v_fmac_f32_e32 v6, 0x32a5705f, v1
	v_sub_f32_e32 v4, v4, v41
	v_add_f32_e32 v4, v4, v6
	v_exp_f32_e32 v4, v4
	v_cvt_i32_f32_e32 v6, v41
	v_cndmask_b32_e64 v2, v31, v2, s[14:15]
	v_cmp_gt_u32_e64 s[14:15], s42, v30
	v_cndmask_b32_e64 v41, 0, v2, s[14:15]
	v_ldexp_f32 v2, v4, v6
	v_mul_f32_e32 v4, 0x3fb8aa3b, v3
	v_fma_f32 v6, v3, s18, -v4
	v_rndne_f32_e32 v49, v4
	v_fmac_f32_e32 v6, 0x32a5705f, v3
	v_sub_f32_e32 v4, v4, v49
	v_add_f32_e32 v4, v4, v6
	v_exp_f32_e32 v4, v4
	v_cvt_i32_f32_e32 v6, v49
	v_cndmask_b32_e64 v2, 0, v2, s[16:17]
	v_cmp_nlt_f32_e64 s[16:17], s22, v1
	v_cndmask_b32_e64 v1, v31, v2, s[16:17]
	v_ldexp_f32 v2, v4, v6
	v_sub_f32_e32 v4, v5, v9
	v_mul_f32_e32 v5, 0x3fb8aa3b, v4
	v_fma_f32 v6, v4, s18, -v5
	v_rndne_f32_e32 v50, v5
	v_fmac_f32_e32 v6, 0x32a5705f, v4
	v_sub_f32_e32 v5, v5, v50
	v_add_f32_e32 v5, v5, v6
	v_cmp_gt_u32_e32 vcc, s42, v34
	v_exp_f32_e32 v5, v5
	v_cvt_i32_f32_e32 v6, v50
	v_cndmask_b32_e32 v44, 0, v0, vcc
	v_cndmask_b32_e32 v49, 0, v1, vcc
	v_cmp_ngt_f32_e32 vcc, s19, v3
	v_cndmask_b32_e32 v2, 0, v2, vcc
	v_cmp_nlt_f32_e32 vcc, s22, v3
	v_cndmask_b32_e32 v2, v31, v2, vcc
	v_cndmask_b32_e64 v3, 0, v2, s[10:11]
	v_ldexp_f32 v2, v5, v6
	v_sub_f32_e32 v5, v7, v9
	v_mul_f32_e32 v6, 0x3fb8aa3b, v5
	v_fma_f32 v7, v5, s18, -v6
	v_rndne_f32_e32 v51, v6
	v_fmac_f32_e32 v7, 0x32a5705f, v5
	v_sub_f32_e32 v6, v6, v51
	v_add_f32_e32 v6, v6, v7
	v_exp_f32_e32 v6, v6
	v_cvt_i32_f32_e32 v7, v51
	v_cmp_ngt_f32_e32 vcc, s19, v4
	v_cndmask_b32_e32 v2, 0, v2, vcc
	v_cmp_nlt_f32_e32 vcc, s22, v4
	v_cndmask_b32_e32 v2, v31, v2, vcc
	v_cndmask_b32_e64 v51, 0, v2, s[12:13]
	v_ldexp_f32 v2, v6, v7
	v_cmp_ngt_f32_e32 vcc, s19, v5
	v_cvt_f16_f32_e32 v0, v44
	v_cvt_f16_f32_e32 v1, v49
	v_cndmask_b32_e32 v2, 0, v2, vcc
	v_cmp_nlt_f32_e32 vcc, s22, v5
	v_cvt_f16_f32_e32 v46, v45
	v_cvt_f16_f32_e32 v50, v3
	v_cndmask_b32_e32 v2, v31, v2, vcc
	v_cvt_f16_f32_e32 v47, v43
	v_cvt_f16_f32_e32 v4, v51
	v_cndmask_b32_e64 v52, 0, v2, s[14:15]
	v_lshlrev_b32_e32 v2, 9, v38
	v_cvt_f16_f32_e32 v48, v41
	v_cvt_f16_f32_e32 v5, v52
	v_add_u32_e32 v6, 0x4800, v2
	v_add_u32_e32 v7, v6, v37
	v_pack_b32_f16 v0, v0, v1
	s_barrier
	ds_write_b32 v7, v0
	v_lshl_add_u32 v0, v28, 2, v6
	v_pack_b32_f16 v1, v46, v50
	ds_write_b32 v0, v1
	v_lshl_add_u32 v0, v29, 2, v6
	v_pack_b32_f16 v1, v47, v4
	;; [unrolled: 3-line block ×3, first 2 shown]
	s_mul_hi_i32 s11, s44, s8
	s_mul_i32 s10, s44, s8
	ds_write_b32 v0, v1
	s_lshl_b64 s[10:11], s[10:11], 2
	v_mul_lo_u32 v0, s8, v19
	s_add_u32 s12, s26, s10
	v_ashrrev_i32_e32 v1, 31, v0
	s_addc_u32 s13, s27, s11
	v_lshlrev_b64 v[4:5], 2, v[0:1]
	v_mov_b32_e32 v1, s13
	v_add_co_u32_e32 v4, vcc, s12, v4
	v_addc_co_u32_e32 v1, vcc, v1, v5, vcc
	s_mov_b64 s[10:11], src_shared_base
	v_add_co_u32_e32 v4, vcc, v4, v18
	v_add_u32_e32 v42, 0x7000, v17
	v_addc_co_u32_e32 v1, vcc, 0, v1, vcc
	v_mov_b32_e32 v38, 0
	v_mov_b32_e32 v46, s11
	v_add_u32_e32 v30, 0x7004, v17
	ds_write_b32 v17, v38 offset:28672
	ds_write2_b32 v30, v38, v38 offset1:1
	ds_write_b32 v17, v38 offset:28684
	v_cndmask_b32_e64 v5, v46, v1, s[0:1]
	v_cndmask_b32_e64 v4, v42, v4, s[0:1]
	flat_load_dwordx4 v[4:7], v[4:5]
	s_lshl_b32 s0, s8, 5
	v_add_u32_e32 v0, s0, v0
	v_ashrrev_i32_e32 v1, 31, v0
	v_lshlrev_b64 v[28:29], 2, v[0:1]
	v_mov_b32_e32 v1, s13
	v_add_co_u32_e32 v28, vcc, s12, v28
	v_addc_co_u32_e32 v1, vcc, v1, v29, vcc
	v_add_co_u32_e32 v28, vcc, v28, v18
	v_lshl_or_b32 v19, v19, 7, v18
	v_addc_co_u32_e32 v1, vcc, 0, v1, vcc
	s_waitcnt vmcnt(0) lgkmcnt(0)
	ds_write_b128 v19, v[4:7]
	ds_write_b32 v17, v38 offset:28672
	ds_write2_b32 v30, v38, v38 offset1:1
	ds_write_b32 v17, v38 offset:28684
	v_cndmask_b32_e64 v5, v46, v1, s[2:3]
	v_cndmask_b32_e64 v4, v42, v28, s[2:3]
	flat_load_dwordx4 v[4:7], v[4:5]
	v_add_u32_e32 v0, s0, v0
	v_ashrrev_i32_e32 v1, 31, v0
	v_lshlrev_b64 v[28:29], 2, v[0:1]
	v_lshl_or_b32 v19, v20, 7, v18
	v_mov_b32_e32 v1, s13
	v_add_co_u32_e32 v20, vcc, s12, v28
	v_addc_co_u32_e32 v1, vcc, v1, v29, vcc
	v_add_co_u32_e32 v20, vcc, v20, v18
	v_addc_co_u32_e32 v1, vcc, 0, v1, vcc
	s_waitcnt vmcnt(0) lgkmcnt(0)
	ds_write_b128 v19, v[4:7]
	ds_write_b32 v17, v38 offset:28672
	ds_write2_b32 v30, v38, v38 offset1:1
	ds_write_b32 v17, v38 offset:28684
	v_cndmask_b32_e64 v5, v46, v1, s[4:5]
	v_cndmask_b32_e64 v4, v42, v20, s[4:5]
	flat_load_dwordx4 v[4:7], v[4:5]
	v_add_u32_e32 v0, s0, v0
	v_ashrrev_i32_e32 v1, 31, v0
	v_lshlrev_b64 v[0:1], 2, v[0:1]
	v_mov_b32_e32 v20, s13
	v_add_co_u32_e32 v0, vcc, s12, v0
	v_addc_co_u32_e32 v1, vcc, v20, v1, vcc
	v_add_co_u32_e32 v0, vcc, v0, v18
	v_addc_co_u32_e32 v1, vcc, 0, v1, vcc
	v_lshl_or_b32 v19, v21, 7, v18
	v_cndmask_b32_e64 v1, v46, v1, s[20:21]
	v_cndmask_b32_e64 v0, v42, v0, s[20:21]
	ds_write_b32 v17, v38 offset:28672
	ds_write2_b32 v30, v38, v38 offset1:1
	ds_write_b32 v17, v38 offset:28684
	s_waitcnt vmcnt(0) lgkmcnt(0)
	ds_write_b128 v19, v[4:7]
	flat_load_dwordx4 v[4:7], v[0:1]
	v_sub_f32_e32 v0, v12, v8
	v_mul_f32_e32 v1, 0x3fb8aa3b, v0
	v_lshl_or_b32 v12, v22, 7, v18
	v_fma_f32 v18, v0, s18, -v1
	v_rndne_f32_e32 v19, v1
	v_fmac_f32_e32 v18, 0x32a5705f, v0
	v_sub_f32_e32 v1, v1, v19
	v_add_f32_e32 v1, v1, v18
	v_cvt_i32_f32_e32 v19, v19
	v_exp_f32_e32 v1, v1
	v_sub_f32_e32 v13, v13, v9
	v_mul_f32_e32 v18, 0x3fb8aa3b, v13
	v_rndne_f32_e32 v20, v18
	v_ldexp_f32 v1, v1, v19
	v_fma_f32 v19, v13, s18, -v18
	v_fmac_f32_e32 v19, 0x32a5705f, v13
	v_sub_f32_e32 v18, v18, v20
	v_add_f32_e32 v18, v18, v19
	v_cmp_ngt_f32_e32 vcc, s19, v0
	v_cvt_i32_f32_e32 v20, v20
	v_exp_f32_e32 v18, v18
	v_cndmask_b32_e32 v1, 0, v1, vcc
	v_cmp_nlt_f32_e32 vcc, s22, v0
	v_add_f32_e32 v0, v44, v45
	v_add_f32_e32 v0, v43, v0
	v_cndmask_b32_e32 v1, v31, v1, vcc
	v_add_f32_e32 v0, v41, v0
	v_cvt_f16_f32_e32 v119, v1
	v_fmac_f32_e32 v0, v14, v1
	v_ldexp_f32 v1, v18, v20
	v_cmp_ngt_f32_e32 vcc, s19, v13
	v_cndmask_b32_e32 v1, 0, v1, vcc
	v_cmp_nlt_f32_e32 vcc, s22, v13
	v_cndmask_b32_e32 v13, v31, v1, vcc
	v_add_f32_e32 v1, v49, v3
	v_cvt_f16_f32_e32 v41, v13
	v_add_f32_e32 v1, v51, v1
	v_add_u32_e32 v66, 0x1000, v37
	v_add_f32_e32 v1, v52, v1
	v_add_u32_e32 v17, 0x400, v37
	v_add_u32_e32 v22, 0x800, v37
	;; [unrolled: 1-line block ×4, first 2 shown]
	v_fmac_f32_e32 v1, v15, v13
	s_waitcnt vmcnt(0) lgkmcnt(0)
	ds_write_b128 v12, v[4:7]
	s_waitcnt lgkmcnt(0)
	s_barrier
	ds_read2_b32 v[74:75], v37 offset1:32
	ds_read2_b32 v[76:77], v37 offset0:64 offset1:96
	ds_read2_b32 v[78:79], v37 offset0:128 offset1:160
	ds_read_b128 v[4:7], v2 offset:18432
	ds_read_b128 v[12:15], v2 offset:18448
	ds_read2_b32 v[80:81], v37 offset0:192 offset1:224
	ds_read2_b32 v[82:83], v17 offset1:32
	ds_read2_b32 v[84:85], v17 offset0:64 offset1:96
	ds_read2_b32 v[86:87], v17 offset0:128 offset1:160
	ds_read_b128 v[18:21], v2 offset:18464
	ds_read_b128 v[28:31], v2 offset:18480
	ds_read2_b32 v[88:89], v17 offset0:192 offset1:224
	;; [unrolled: 6-line block ×5, first 2 shown]
	ds_read2_b32 v[114:115], v118 offset1:32
	ds_read2_b32 v[116:117], v118 offset0:64 offset1:96
	ds_read_b128 v[66:69], v2 offset:18592
	ds_read_b128 v[70:73], v2 offset:18608
	s_waitcnt lgkmcnt(14)
	v_pk_mul_f16 v3, v74, v4 op_sel_hi:[1,0]
	v_pk_mul_f16 v4, v74, v4 op_sel:[0,1]
	v_pk_fma_f16 v4, v39, v41, v4 op_sel_hi:[1,0,1]
	v_pk_fma_f16 v4, v75, v5, v4 op_sel:[0,1,0]
	v_pk_fma_f16 v3, v119, v40, v3 op_sel_hi:[0,1,1]
	v_pk_fma_f16 v4, v76, v6, v4 op_sel:[0,1,0]
	v_pk_fma_f16 v3, v75, v5, v3 op_sel_hi:[1,0,1]
	v_pk_fma_f16 v4, v77, v7, v4 op_sel:[0,1,0]
	v_pk_fma_f16 v3, v76, v6, v3 op_sel_hi:[1,0,1]
	v_pk_fma_f16 v4, v78, v12, v4 op_sel:[0,1,0]
	v_pk_fma_f16 v3, v77, v7, v3 op_sel_hi:[1,0,1]
	v_pk_fma_f16 v4, v79, v13, v4 op_sel:[0,1,0]
	v_pk_fma_f16 v3, v78, v12, v3 op_sel_hi:[1,0,1]
	v_pk_fma_f16 v4, v80, v14, v4 op_sel:[0,1,0]
	v_pk_fma_f16 v3, v79, v13, v3 op_sel_hi:[1,0,1]
	v_pk_fma_f16 v4, v81, v15, v4 op_sel:[0,1,0]
	v_pk_fma_f16 v3, v80, v14, v3 op_sel_hi:[1,0,1]
	v_pk_fma_f16 v4, v82, v18, v4 op_sel:[0,1,0]
	v_pk_fma_f16 v3, v81, v15, v3 op_sel_hi:[1,0,1]
	v_pk_fma_f16 v4, v83, v19, v4 op_sel:[0,1,0]
	v_pk_fma_f16 v3, v82, v18, v3 op_sel_hi:[1,0,1]
	v_pk_fma_f16 v4, v84, v20, v4 op_sel:[0,1,0]
	v_pk_fma_f16 v3, v83, v19, v3 op_sel_hi:[1,0,1]
	v_pk_fma_f16 v4, v85, v21, v4 op_sel:[0,1,0]
	v_pk_fma_f16 v3, v84, v20, v3 op_sel_hi:[1,0,1]
	v_pk_fma_f16 v4, v86, v28, v4 op_sel:[0,1,0]
	v_pk_fma_f16 v3, v85, v21, v3 op_sel_hi:[1,0,1]
	v_pk_fma_f16 v4, v87, v29, v4 op_sel:[0,1,0]
	v_pk_fma_f16 v3, v86, v28, v3 op_sel_hi:[1,0,1]
	v_pk_fma_f16 v4, v88, v30, v4 op_sel:[0,1,0]
	v_pk_fma_f16 v3, v87, v29, v3 op_sel_hi:[1,0,1]
	v_pk_fma_f16 v4, v89, v31, v4 op_sel:[0,1,0]
	v_pk_fma_f16 v3, v88, v30, v3 op_sel_hi:[1,0,1]
	v_pk_fma_f16 v4, v90, v42, v4 op_sel:[0,1,0]
	v_pk_fma_f16 v3, v89, v31, v3 op_sel_hi:[1,0,1]
	v_pk_fma_f16 v4, v91, v43, v4 op_sel:[0,1,0]
	v_pk_fma_f16 v3, v90, v42, v3 op_sel_hi:[1,0,1]
	v_pk_fma_f16 v4, v92, v44, v4 op_sel:[0,1,0]
	v_pk_fma_f16 v3, v91, v43, v3 op_sel_hi:[1,0,1]
	v_pk_fma_f16 v4, v93, v45, v4 op_sel:[0,1,0]
	v_pk_fma_f16 v3, v92, v44, v3 op_sel_hi:[1,0,1]
	v_pk_fma_f16 v4, v94, v46, v4 op_sel:[0,1,0]
	v_pk_fma_f16 v3, v93, v45, v3 op_sel_hi:[1,0,1]
	v_pk_fma_f16 v4, v95, v47, v4 op_sel:[0,1,0]
	v_pk_fma_f16 v3, v94, v46, v3 op_sel_hi:[1,0,1]
	v_pk_fma_f16 v4, v96, v48, v4 op_sel:[0,1,0]
	v_pk_fma_f16 v3, v95, v47, v3 op_sel_hi:[1,0,1]
	v_pk_fma_f16 v4, v97, v49, v4 op_sel:[0,1,0]
	v_pk_fma_f16 v3, v96, v48, v3 op_sel_hi:[1,0,1]
	s_waitcnt lgkmcnt(12)
	v_pk_fma_f16 v4, v98, v50, v4 op_sel:[0,1,0]
	v_pk_fma_f16 v3, v97, v49, v3 op_sel_hi:[1,0,1]
	v_pk_fma_f16 v4, v99, v51, v4 op_sel:[0,1,0]
	v_pk_fma_f16 v3, v98, v50, v3 op_sel_hi:[1,0,1]
	;; [unrolled: 2-line block ×4, first 2 shown]
	s_waitcnt lgkmcnt(11)
	v_pk_fma_f16 v4, v102, v54, v4 op_sel:[0,1,0]
	v_pk_fma_f16 v3, v101, v53, v3 op_sel_hi:[1,0,1]
	v_pk_fma_f16 v4, v103, v55, v4 op_sel:[0,1,0]
	v_pk_fma_f16 v3, v102, v54, v3 op_sel_hi:[1,0,1]
	s_waitcnt lgkmcnt(10)
	v_pk_fma_f16 v4, v104, v56, v4 op_sel:[0,1,0]
	v_pk_fma_f16 v3, v103, v55, v3 op_sel_hi:[1,0,1]
	v_pk_fma_f16 v4, v105, v57, v4 op_sel:[0,1,0]
	v_pk_fma_f16 v3, v104, v56, v3 op_sel_hi:[1,0,1]
	;; [unrolled: 5-line block ×3, first 2 shown]
	v_pk_fma_f16 v4, v108, v60, v4 op_sel:[0,1,0]
	v_pk_fma_f16 v3, v107, v59, v3 op_sel_hi:[1,0,1]
	v_pk_fma_f16 v4, v109, v61, v4 op_sel:[0,1,0]
	v_pk_fma_f16 v3, v108, v60, v3 op_sel_hi:[1,0,1]
	s_waitcnt lgkmcnt(5)
	v_pk_fma_f16 v4, v110, v62, v4 op_sel:[0,1,0]
	v_pk_fma_f16 v3, v109, v61, v3 op_sel_hi:[1,0,1]
	v_pk_fma_f16 v4, v111, v63, v4 op_sel:[0,1,0]
	v_pk_fma_f16 v3, v110, v62, v3 op_sel_hi:[1,0,1]
	s_waitcnt lgkmcnt(4)
	;; [unrolled: 5-line block ×3, first 2 shown]
	v_pk_fma_f16 v4, v114, v66, v4 op_sel:[0,1,0]
	v_pk_fma_f16 v3, v113, v65, v3 op_sel_hi:[1,0,1]
	v_pk_fma_f16 v6, v115, v67, v4 op_sel:[0,1,0]
	ds_read2_b32 v[4:5], v118 offset0:128 offset1:160
	v_pk_fma_f16 v3, v114, v66, v3 op_sel_hi:[1,0,1]
	v_pk_fma_f16 v3, v115, v67, v3 op_sel_hi:[1,0,1]
	ds_read2_b32 v[12:13], v118 offset0:192 offset1:224
	v_pk_fma_f16 v3, v116, v68, v3 op_sel_hi:[1,0,1]
	v_pk_fma_f16 v6, v116, v68, v6 op_sel:[0,1,0]
	v_pk_fma_f16 v3, v117, v69, v3 op_sel_hi:[1,0,1]
	v_pk_fma_f16 v6, v117, v69, v6 op_sel:[0,1,0]
	s_waitcnt lgkmcnt(1)
	v_pk_fma_f16 v3, v4, v70, v3 op_sel_hi:[1,0,1]
	v_pk_fma_f16 v4, v4, v70, v6 op_sel:[0,1,0]
	v_pk_fma_f16 v3, v5, v71, v3 op_sel_hi:[1,0,1]
	v_pk_fma_f16 v4, v5, v71, v4 op_sel:[0,1,0]
	v_add_u32_e32 v17, 0x1800, v37
	s_waitcnt lgkmcnt(0)
	v_pk_fma_f16 v3, v12, v72, v3 op_sel_hi:[1,0,1]
	v_pk_fma_f16 v12, v12, v72, v4 op_sel:[0,1,0]
	ds_read2_b32 v[18:19], v17 offset1:32
	ds_read_b128 v[4:7], v2 offset:18624
	v_pk_fma_f16 v3, v13, v73, v3 op_sel_hi:[1,0,1]
	v_pk_fma_f16 v22, v13, v73, v12 op_sel:[0,1,0]
	ds_read2_b32 v[20:21], v17 offset0:64 offset1:96
	ds_read_b128 v[12:15], v2 offset:18640
	s_waitcnt lgkmcnt(2)
	v_pk_fma_f16 v3, v18, v4, v3 op_sel_hi:[1,0,1]
	v_pk_fma_f16 v4, v18, v4, v22 op_sel:[0,1,0]
	v_pk_fma_f16 v3, v19, v5, v3 op_sel_hi:[1,0,1]
	v_pk_fma_f16 v18, v19, v5, v4 op_sel:[0,1,0]
	ds_read2_b32 v[4:5], v17 offset0:128 offset1:160
	s_waitcnt lgkmcnt(2)
	v_pk_fma_f16 v3, v20, v6, v3 op_sel_hi:[1,0,1]
	v_pk_fma_f16 v6, v20, v6, v18 op_sel:[0,1,0]
	ds_read2_b32 v[18:19], v17 offset0:192 offset1:224
	v_pk_fma_f16 v3, v21, v7, v3 op_sel_hi:[1,0,1]
	v_pk_fma_f16 v6, v21, v7, v6 op_sel:[0,1,0]
	s_waitcnt lgkmcnt(1)
	v_pk_fma_f16 v3, v4, v12, v3 op_sel_hi:[1,0,1]
	v_pk_fma_f16 v4, v4, v12, v6 op_sel:[0,1,0]
	v_pk_fma_f16 v4, v5, v13, v4 op_sel:[0,1,0]
	v_add_u32_e32 v17, 0x1c00, v37
	v_pk_fma_f16 v3, v5, v13, v3 op_sel_hi:[1,0,1]
	s_waitcnt lgkmcnt(0)
	v_pk_fma_f16 v12, v18, v14, v4 op_sel:[0,1,0]
	ds_read2_b32 v[20:21], v17 offset1:32
	ds_read_b128 v[4:7], v2 offset:18656
	v_pk_fma_f16 v3, v18, v14, v3 op_sel_hi:[1,0,1]
	v_pk_fma_f16 v3, v19, v15, v3 op_sel_hi:[1,0,1]
	v_pk_fma_f16 v22, v19, v15, v12 op_sel:[0,1,0]
	ds_read2_b32 v[18:19], v17 offset0:64 offset1:96
	ds_read_b128 v[12:15], v2 offset:18672
	s_waitcnt lgkmcnt(2)
	v_pk_fma_f16 v3, v20, v4, v3 op_sel_hi:[1,0,1]
	v_pk_fma_f16 v4, v20, v4, v22 op_sel:[0,1,0]
	v_pk_fma_f16 v3, v21, v5, v3 op_sel_hi:[1,0,1]
	v_pk_fma_f16 v20, v21, v5, v4 op_sel:[0,1,0]
	ds_read2_b32 v[4:5], v17 offset0:128 offset1:160
	s_waitcnt lgkmcnt(2)
	v_pk_fma_f16 v3, v18, v6, v3 op_sel_hi:[1,0,1]
	v_pk_fma_f16 v6, v18, v6, v20 op_sel:[0,1,0]
	v_pk_fma_f16 v3, v19, v7, v3 op_sel_hi:[1,0,1]
	v_pk_fma_f16 v6, v19, v7, v6 op_sel:[0,1,0]
	ds_read2_b32 v[18:19], v17 offset0:192 offset1:224
	s_waitcnt lgkmcnt(1)
	v_pk_fma_f16 v3, v4, v12, v3 op_sel_hi:[1,0,1]
	v_pk_fma_f16 v4, v4, v12, v6 op_sel:[0,1,0]
	v_pk_fma_f16 v4, v5, v13, v4 op_sel:[0,1,0]
	v_add_u32_e32 v17, 0x2000, v37
	v_pk_fma_f16 v3, v5, v13, v3 op_sel_hi:[1,0,1]
	s_waitcnt lgkmcnt(0)
	v_pk_fma_f16 v12, v18, v14, v4 op_sel:[0,1,0]
	ds_read2_b32 v[20:21], v17 offset1:32
	ds_read_b128 v[4:7], v2 offset:18688
	v_pk_fma_f16 v3, v18, v14, v3 op_sel_hi:[1,0,1]
	v_pk_fma_f16 v3, v19, v15, v3 op_sel_hi:[1,0,1]
	v_pk_fma_f16 v22, v19, v15, v12 op_sel:[0,1,0]
	ds_read2_b32 v[18:19], v17 offset0:64 offset1:96
	ds_read_b128 v[12:15], v2 offset:18704
	s_waitcnt lgkmcnt(2)
	v_pk_fma_f16 v3, v20, v4, v3 op_sel_hi:[1,0,1]
	v_pk_fma_f16 v4, v20, v4, v22 op_sel:[0,1,0]
	v_pk_fma_f16 v3, v21, v5, v3 op_sel_hi:[1,0,1]
	v_pk_fma_f16 v20, v21, v5, v4 op_sel:[0,1,0]
	ds_read2_b32 v[4:5], v17 offset0:128 offset1:160
	s_waitcnt lgkmcnt(2)
	v_pk_fma_f16 v3, v18, v6, v3 op_sel_hi:[1,0,1]
	v_pk_fma_f16 v6, v18, v6, v20 op_sel:[0,1,0]
	v_pk_fma_f16 v3, v19, v7, v3 op_sel_hi:[1,0,1]
	v_pk_fma_f16 v6, v19, v7, v6 op_sel:[0,1,0]
	ds_read2_b32 v[18:19], v17 offset0:192 offset1:224
	;; [unrolled: 27-line block ×8, first 2 shown]
	s_waitcnt lgkmcnt(1)
	v_pk_fma_f16 v3, v4, v12, v3 op_sel_hi:[1,0,1]
	v_pk_fma_f16 v4, v4, v12, v6 op_sel:[0,1,0]
	v_pk_fma_f16 v4, v5, v13, v4 op_sel:[0,1,0]
	v_add_u32_e32 v17, 0x3c00, v37
	v_pk_fma_f16 v3, v5, v13, v3 op_sel_hi:[1,0,1]
	s_waitcnt lgkmcnt(0)
	v_pk_fma_f16 v12, v18, v14, v4 op_sel:[0,1,0]
	ds_read2_b32 v[20:21], v17 offset1:32
	ds_read_b128 v[4:7], v2 offset:18912
	v_pk_fma_f16 v3, v18, v14, v3 op_sel_hi:[1,0,1]
	v_pk_fma_f16 v3, v19, v15, v3 op_sel_hi:[1,0,1]
	v_pk_fma_f16 v22, v19, v15, v12 op_sel:[0,1,0]
	ds_read2_b32 v[18:19], v17 offset0:64 offset1:96
	ds_read_b128 v[12:15], v2 offset:18928
	s_waitcnt lgkmcnt(2)
	v_pk_fma_f16 v2, v20, v4, v3 op_sel_hi:[1,0,1]
	v_pk_fma_f16 v3, v20, v4, v22 op_sel:[0,1,0]
	v_pk_fma_f16 v2, v21, v5, v2 op_sel_hi:[1,0,1]
	v_pk_fma_f16 v4, v21, v5, v3 op_sel:[0,1,0]
	s_waitcnt lgkmcnt(1)
	v_pk_fma_f16 v5, v18, v6, v2 op_sel_hi:[1,0,1]
	ds_read2_b32 v[2:3], v17 offset0:128 offset1:160
	v_pk_fma_f16 v4, v18, v6, v4 op_sel:[0,1,0]
	v_pk_fma_f16 v6, v19, v7, v5 op_sel_hi:[1,0,1]
	v_pk_fma_f16 v7, v19, v7, v4 op_sel:[0,1,0]
	ds_read2_b32 v[4:5], v17 offset0:192 offset1:224
	s_waitcnt lgkmcnt(1)
	v_pk_fma_f16 v6, v2, v12, v6 op_sel_hi:[1,0,1]
	v_pk_fma_f16 v2, v2, v12, v7 op_sel:[0,1,0]
	v_pk_fma_f16 v6, v3, v13, v6 op_sel_hi:[1,0,1]
	v_pk_fma_f16 v2, v3, v13, v2 op_sel:[0,1,0]
	s_waitcnt lgkmcnt(0)
	v_pk_fma_f16 v3, v4, v14, v6 op_sel_hi:[1,0,1]
	v_pk_fma_f16 v2, v4, v14, v2 op_sel:[0,1,0]
	v_pk_fma_f16 v40, v5, v15, v3 op_sel_hi:[1,0,1]
	v_pk_fma_f16 v39, v5, v15, v2 op_sel:[0,1,0]
	v_pk_mov_b32 v[12:13], v[8:9], v[8:9] op_sel:[0,1]
	v_pk_mov_b32 v[14:15], v[0:1], v[0:1] op_sel:[0,1]
	s_barrier
.LBB59_71:
	v_cmp_lt_i32_e32 vcc, v23, v11
	v_cndmask_b32_e32 v0, v10, v23, vcc
	v_lshlrev_b32_e32 v1, 2, v0
	ds_bpermute_b32 v0, v1, v14
	ds_bpermute_b32 v1, v1, v15
	v_cmp_lt_i32_e32 vcc, v24, v11
	v_cndmask_b32_e32 v2, v10, v24, vcc
	v_lshlrev_b32_e32 v3, 2, v2
	v_cmp_lt_i32_e32 vcc, v25, v11
	s_waitcnt lgkmcnt(0)
	v_pk_add_f32 v[0:1], v[14:15], v[0:1]
	ds_bpermute_b32 v2, v3, v0
	ds_bpermute_b32 v3, v3, v1
	v_cndmask_b32_e32 v4, v10, v25, vcc
	v_lshlrev_b32_e32 v4, 2, v4
	v_cmp_lt_i32_e32 vcc, v26, v11
	s_cmp_eq_u64 s[24:25], 0
	s_waitcnt lgkmcnt(0)
	v_pk_add_f32 v[0:1], v[0:1], v[2:3]
	ds_bpermute_b32 v2, v4, v0
	ds_bpermute_b32 v3, v4, v1
	v_cndmask_b32_e32 v4, v10, v26, vcc
	v_lshlrev_b32_e32 v4, 2, v4
	v_cmp_lt_i32_e32 vcc, v27, v11
	s_cselect_b64 s[0:1], -1, 0
	s_waitcnt lgkmcnt(0)
	v_pk_add_f32 v[0:1], v[0:1], v[2:3]
	ds_bpermute_b32 v2, v4, v0
	ds_bpermute_b32 v3, v4, v1
	v_cndmask_b32_e32 v4, v10, v27, vcc
	v_lshlrev_b32_e32 v4, 2, v4
	s_cmp_lg_u32 s9, 0
	s_cselect_b64 s[2:3], -1, 0
	s_waitcnt lgkmcnt(0)
	v_pk_add_f32 v[0:1], v[0:1], v[2:3]
	ds_bpermute_b32 v2, v4, v0
	ds_bpermute_b32 v3, v4, v1
	s_or_b64 s[0:1], s[2:3], s[0:1]
	s_and_b64 vcc, exec, s[0:1]
	s_waitcnt lgkmcnt(0)
	v_pk_add_f32 v[0:1], v[0:1], v[2:3]
	s_cbranch_vccnz .LBB59_73
; %bb.72:
	s_lshl_b64 s[0:1], s[34:35], 2
	s_add_u32 s0, s24, s0
	s_addc_u32 s1, s25, s1
	v_mov_b32_e32 v2, 0
	global_load_dword v2, v2, s[0:1]
	v_max_f32_e32 v3, v13, v13
	v_max_f32_e32 v4, v12, v12
	s_mov_b32 s0, 0x3fb8aa3b
	s_mov_b32 s1, 0xc2ce8ed0
	;; [unrolled: 1-line block ×3, first 2 shown]
	v_mov_b32_e32 v8, 0x7f800000
	s_waitcnt vmcnt(0)
	v_max_f32_e32 v6, v2, v2
	v_max_f32_e32 v5, v3, v6
	;; [unrolled: 1-line block ×3, first 2 shown]
	v_pk_add_f32 v[6:7], v[12:13], v[4:5] neg_lo:[0,1] neg_hi:[0,1]
	v_mul_f32_e32 v9, 0x3fb8aa3b, v7
	v_pk_add_f32 v[2:3], v[2:3], v[4:5] op_sel_hi:[0,1] neg_lo:[0,1] neg_hi:[0,1]
	v_mul_f32_e32 v10, 0x3fb8aa3b, v6
	v_fma_f32 v13, v7, s0, -v9
	v_rndne_f32_e32 v14, v9
	v_mul_f32_e32 v11, 0x3fb8aa3b, v3
	v_fma_f32 v15, v6, s0, -v10
	v_rndne_f32_e32 v17, v10
	v_fmac_f32_e32 v13, 0x32a5705f, v7
	v_sub_f32_e32 v9, v9, v14
	v_mul_f32_e32 v12, 0x3fb8aa3b, v2
	v_fma_f32 v18, v3, s0, -v11
	v_rndne_f32_e32 v19, v11
	v_fmac_f32_e32 v15, 0x32a5705f, v6
	v_sub_f32_e32 v10, v10, v17
	v_add_f32_e32 v9, v9, v13
	v_fma_f32 v20, v2, s0, -v12
	v_rndne_f32_e32 v21, v12
	v_cvt_i32_f32_e32 v14, v14
	v_fmac_f32_e32 v18, 0x32a5705f, v3
	v_sub_f32_e32 v11, v11, v19
	v_add_f32_e32 v10, v10, v15
	v_exp_f32_e32 v9, v9
	v_cvt_i32_f32_e32 v17, v17
	v_fmac_f32_e32 v20, 0x32a5705f, v2
	v_sub_f32_e32 v12, v12, v21
	v_add_f32_e32 v11, v11, v18
	v_exp_f32_e32 v10, v10
	v_cvt_i32_f32_e32 v19, v19
	v_add_f32_e32 v12, v12, v20
	v_exp_f32_e32 v11, v11
	v_cvt_i32_f32_e32 v21, v21
	v_exp_f32_e32 v12, v12
	v_ldexp_f32 v9, v9, v14
	v_cmp_ngt_f32_e32 vcc, s1, v7
	v_ldexp_f32 v10, v10, v17
	v_cndmask_b32_e32 v9, 0, v9, vcc
	v_cmp_ngt_f32_e32 vcc, s1, v6
	v_ldexp_f32 v11, v11, v19
	v_cndmask_b32_e32 v10, 0, v10, vcc
	;; [unrolled: 3-line block ×3, first 2 shown]
	v_cmp_ngt_f32_e32 vcc, s1, v2
	v_cndmask_b32_e32 v12, 0, v12, vcc
	v_cmp_nlt_f32_e32 vcc, s2, v7
	v_cndmask_b32_e32 v7, v8, v9, vcc
	v_cmp_nlt_f32_e32 vcc, s2, v6
	v_cndmask_b32_e32 v6, v8, v10, vcc
	v_cvt_f16_f32_e32 v9, v6
	v_cvt_f16_f32_e32 v10, v7
	v_cmp_nlt_f32_e32 vcc, s2, v3
	v_cndmask_b32_e32 v3, v8, v11, vcc
	v_cmp_nlt_f32_e32 vcc, s2, v2
	v_cndmask_b32_e32 v2, v8, v12, vcc
	v_pk_fma_f32 v[0:1], v[0:1], v[6:7], v[2:3]
	v_pk_mul_f16 v40, v40, v9 op_sel_hi:[1,0]
	v_pk_mul_f16 v39, v39, v10 op_sel_hi:[1,0]
	v_pk_mov_b32 v[12:13], v[4:5], v[4:5] op_sel:[0,1]
.LBB59_73:
	v_cmp_gt_i32_e32 vcc, s38, v36
	s_and_saveexec_b64 s[0:1], vcc
	s_cbranch_execz .LBB59_83
; %bb.74:
	s_load_dword s6, s[6:7], 0xd4
	v_mov_b32_e32 v2, 1.0
	s_waitcnt lgkmcnt(0)
	s_cmp_lg_u32 s6, 1
	s_cselect_b64 s[4:5], -1, 0
	s_cmp_eq_u32 s6, 1
	s_cselect_b64 s[2:3], -1, 0
	s_and_b64 vcc, exec, s[4:5]
	s_cbranch_vccnz .LBB59_76
; %bb.75:
	v_div_scale_f32 v2, s[0:1], v0, v0, 1.0
	v_rcp_f32_e32 v3, v2
	v_div_scale_f32 v4, vcc, 1.0, v0, 1.0
	v_fma_f32 v5, -v2, v3, 1.0
	v_fmac_f32_e32 v3, v5, v3
	v_mul_f32_e32 v5, v4, v3
	v_fma_f32 v6, -v2, v5, v4
	v_fmac_f32_e32 v5, v6, v3
	v_fma_f32 v2, -v2, v5, v4
	v_div_fmas_f32 v2, v2, v3, v5
	v_div_fixup_f32 v2, v2, v0, 1.0
.LBB59_76:
	s_mul_i32 s7, s33, s38
	s_add_i32 s7, s7, s43
	v_add_u32_e32 v3, s7, v35
	v_mul_lo_u32 v3, v3, s39
	v_add_u32_e32 v3, s34, v3
	v_mul_lo_u32 v3, s6, v3
	v_add_u32_e32 v4, s9, v3
	v_lshl_add_u32 v6, v4, 6, v16
	v_mov_b32_e32 v7, 0
	v_cvt_f32_f16_sdwa v9, v40 dst_sel:DWORD dst_unused:UNUSED_PAD src0_sel:WORD_1
	v_cvt_f32_f16_e32 v8, v40
	v_lshlrev_b64 v[6:7], 2, v[6:7]
	v_mov_b32_e32 v3, s29
	v_add_co_u32_e64 v6, s[0:1], s28, v6
	v_cmp_eq_u32_e32 vcc, 0, v34
	v_addc_co_u32_e64 v7, s[0:1], v3, v7, s[0:1]
	v_pk_mul_f32 v[2:3], v[2:3], v[8:9] op_sel_hi:[0,1]
	s_and_b64 s[0:1], vcc, s[4:5]
	global_store_dwordx2 v[6:7], v[2:3], off
	s_and_saveexec_b64 s[4:5], s[0:1]
	s_cbranch_execz .LBB59_78
; %bb.77:
	v_ashrrev_i32_e32 v5, 31, v4
	v_lshlrev_b64 v[2:3], 3, v[4:5]
	v_mov_b32_e32 v4, s31
	v_add_co_u32_e32 v2, vcc, s30, v2
	v_addc_co_u32_e32 v3, vcc, v4, v3, vcc
	v_mov_b32_e32 v4, v12
	v_mov_b32_e32 v5, v0
	global_store_dwordx2 v[2:3], v[4:5], off
.LBB59_78:
	s_or_b64 exec, exec, s[4:5]
	v_cmp_gt_i32_e32 vcc, s38, v33
	s_and_b64 exec, exec, vcc
	s_cbranch_execz .LBB59_83
; %bb.79:
	s_andn2_b64 vcc, exec, s[2:3]
	v_mov_b32_e32 v0, 1.0
	s_cbranch_vccnz .LBB59_81
; %bb.80:
	v_div_scale_f32 v0, s[2:3], v1, v1, 1.0
	v_rcp_f32_e32 v2, v0
	v_div_scale_f32 v3, vcc, 1.0, v1, 1.0
	v_fma_f32 v4, -v0, v2, 1.0
	v_fmac_f32_e32 v2, v4, v2
	v_mul_f32_e32 v4, v3, v2
	v_fma_f32 v5, -v0, v4, v3
	v_fmac_f32_e32 v4, v5, v2
	v_fma_f32 v0, -v0, v4, v3
	v_div_fmas_f32 v0, v0, v2, v4
	v_div_fixup_f32 v0, v0, v1, 1.0
.LBB59_81:
	v_add_u32_e32 v2, s7, v32
	v_mul_lo_u32 v2, v2, s39
	v_add_u32_e32 v2, s34, v2
	v_mul_lo_u32 v2, s6, v2
	v_add_u32_e32 v2, s9, v2
	v_cvt_f32_f16_sdwa v7, v39 dst_sel:DWORD dst_unused:UNUSED_PAD src0_sel:WORD_1
	v_cvt_f32_f16_e32 v6, v39
	v_lshl_add_u32 v4, v2, 6, v16
	v_mov_b32_e32 v5, 0
	v_lshlrev_b64 v[4:5], 2, v[4:5]
	v_mov_b32_e32 v3, s29
	v_add_co_u32_e32 v4, vcc, s28, v4
	v_addc_co_u32_e32 v5, vcc, v3, v5, vcc
	v_pk_mul_f32 v[6:7], v[0:1], v[6:7] op_sel_hi:[0,1]
	global_store_dwordx2 v[4:5], v[6:7], off
	s_and_b64 exec, exec, s[0:1]
	s_cbranch_execz .LBB59_83
; %bb.82:
	v_ashrrev_i32_e32 v3, 31, v2
	v_lshlrev_b64 v[2:3], 3, v[2:3]
	v_mov_b32_e32 v0, s31
	v_add_co_u32_e32 v2, vcc, s30, v2
	v_addc_co_u32_e32 v3, vcc, v0, v3, vcc
	v_mov_b32_e32 v0, v13
	global_store_dwordx2 v[2:3], v[0:1], off
.LBB59_83:
	s_endpgm
	.section	.rodata,"a",@progbits
	.p2align	6, 0x0
	.amdhsa_kernel _ZL15flash_attn_tileILi64ELi64ELi16ELi1ELb0EEvPKcS1_S1_S1_S1_PKiPfP15HIP_vector_typeIfLj2EEffffjfiS5_IjLj3EEiiiiiiiiiiiliiliiiiil
		.amdhsa_group_segment_fixed_size 32768
		.amdhsa_private_segment_fixed_size 0
		.amdhsa_kernarg_size 464
		.amdhsa_user_sgpr_count 8
		.amdhsa_user_sgpr_private_segment_buffer 1
		.amdhsa_user_sgpr_dispatch_ptr 1
		.amdhsa_user_sgpr_queue_ptr 0
		.amdhsa_user_sgpr_kernarg_segment_ptr 1
		.amdhsa_user_sgpr_dispatch_id 0
		.amdhsa_user_sgpr_flat_scratch_init 0
		.amdhsa_user_sgpr_kernarg_preload_length 0
		.amdhsa_user_sgpr_kernarg_preload_offset 0
		.amdhsa_user_sgpr_private_segment_size 0
		.amdhsa_uses_dynamic_stack 0
		.amdhsa_system_sgpr_private_segment_wavefront_offset 0
		.amdhsa_system_sgpr_workgroup_id_x 1
		.amdhsa_system_sgpr_workgroup_id_y 1
		.amdhsa_system_sgpr_workgroup_id_z 1
		.amdhsa_system_sgpr_workgroup_info 0
		.amdhsa_system_vgpr_workitem_id 2
		.amdhsa_next_free_vgpr 120
		.amdhsa_next_free_sgpr 52
		.amdhsa_accum_offset 120
		.amdhsa_reserve_vcc 1
		.amdhsa_reserve_flat_scratch 0
		.amdhsa_float_round_mode_32 0
		.amdhsa_float_round_mode_16_64 0
		.amdhsa_float_denorm_mode_32 3
		.amdhsa_float_denorm_mode_16_64 3
		.amdhsa_dx10_clamp 1
		.amdhsa_ieee_mode 1
		.amdhsa_fp16_overflow 0
		.amdhsa_tg_split 0
		.amdhsa_exception_fp_ieee_invalid_op 0
		.amdhsa_exception_fp_denorm_src 0
		.amdhsa_exception_fp_ieee_div_zero 0
		.amdhsa_exception_fp_ieee_overflow 0
		.amdhsa_exception_fp_ieee_underflow 0
		.amdhsa_exception_fp_ieee_inexact 0
		.amdhsa_exception_int_div_zero 0
	.end_amdhsa_kernel
	.section	.text._ZL15flash_attn_tileILi64ELi64ELi16ELi1ELb0EEvPKcS1_S1_S1_S1_PKiPfP15HIP_vector_typeIfLj2EEffffjfiS5_IjLj3EEiiiiiiiiiiiliiliiiiil,"axG",@progbits,_ZL15flash_attn_tileILi64ELi64ELi16ELi1ELb0EEvPKcS1_S1_S1_S1_PKiPfP15HIP_vector_typeIfLj2EEffffjfiS5_IjLj3EEiiiiiiiiiiiliiliiiiil,comdat
.Lfunc_end59:
	.size	_ZL15flash_attn_tileILi64ELi64ELi16ELi1ELb0EEvPKcS1_S1_S1_S1_PKiPfP15HIP_vector_typeIfLj2EEffffjfiS5_IjLj3EEiiiiiiiiiiiliiliiiiil, .Lfunc_end59-_ZL15flash_attn_tileILi64ELi64ELi16ELi1ELb0EEvPKcS1_S1_S1_S1_PKiPfP15HIP_vector_typeIfLj2EEffffjfiS5_IjLj3EEiiiiiiiiiiiliiliiiiil
                                        ; -- End function
	.section	.AMDGPU.csdata,"",@progbits
; Kernel info:
; codeLenInByte = 20916
; NumSgprs: 56
; NumVgprs: 120
; NumAgprs: 0
; TotalNumVgprs: 120
; ScratchSize: 0
; MemoryBound: 0
; FloatMode: 240
; IeeeMode: 1
; LDSByteSize: 32768 bytes/workgroup (compile time only)
; SGPRBlocks: 6
; VGPRBlocks: 14
; NumSGPRsForWavesPerEU: 56
; NumVGPRsForWavesPerEU: 120
; AccumOffset: 120
; Occupancy: 2
; WaveLimiterHint : 1
; COMPUTE_PGM_RSRC2:SCRATCH_EN: 0
; COMPUTE_PGM_RSRC2:USER_SGPR: 8
; COMPUTE_PGM_RSRC2:TRAP_HANDLER: 0
; COMPUTE_PGM_RSRC2:TGID_X_EN: 1
; COMPUTE_PGM_RSRC2:TGID_Y_EN: 1
; COMPUTE_PGM_RSRC2:TGID_Z_EN: 1
; COMPUTE_PGM_RSRC2:TIDIG_COMP_CNT: 2
; COMPUTE_PGM_RSRC3_GFX90A:ACCUM_OFFSET: 29
; COMPUTE_PGM_RSRC3_GFX90A:TG_SPLIT: 0
	.section	.text._ZL33flash_attn_stream_k_fixup_uniformILi64ELi16ELi1EEvPfPK15HIP_vector_typeIfLj2EEiiiiiiS1_IjLj3EES5_S5_,"axG",@progbits,_ZL33flash_attn_stream_k_fixup_uniformILi64ELi16ELi1EEvPfPK15HIP_vector_typeIfLj2EEiiiiiiS1_IjLj3EES5_S5_,comdat
	.globl	_ZL33flash_attn_stream_k_fixup_uniformILi64ELi16ELi1EEvPfPK15HIP_vector_typeIfLj2EEiiiiiiS1_IjLj3EES5_S5_ ; -- Begin function _ZL33flash_attn_stream_k_fixup_uniformILi64ELi16ELi1EEvPfPK15HIP_vector_typeIfLj2EEiiiiiiS1_IjLj3EES5_S5_
	.p2align	8
	.type	_ZL33flash_attn_stream_k_fixup_uniformILi64ELi16ELi1EEvPfPK15HIP_vector_typeIfLj2EEiiiiiiS1_IjLj3EES5_S5_,@function
_ZL33flash_attn_stream_k_fixup_uniformILi64ELi16ELi1EEvPfPK15HIP_vector_typeIfLj2EEiiiiiiS1_IjLj3EES5_S5_: ; @_ZL33flash_attn_stream_k_fixup_uniformILi64ELi16ELi1EEvPfPK15HIP_vector_typeIfLj2EEiiiiiiS1_IjLj3EES5_S5_
; %bb.0:
	s_load_dwordx8 s[12:19], s[4:5], 0x1c
	s_load_dwordx2 s[10:11], s[4:5], 0x10
	s_load_dwordx4 s[0:3], s[4:5], 0x3c
	s_waitcnt lgkmcnt(0)
	s_mul_hi_u32 s9, s15, s6
	s_add_i32 s9, s6, s9
	s_lshr_b32 s9, s9, s16
	s_mul_i32 s15, s9, s17
	s_sub_i32 s15, s6, s15
	s_mul_hi_u32 s16, s15, s18
	s_add_i32 s16, s15, s16
	s_lshr_b32 s16, s16, s19
	s_mul_i32 s0, s16, s0
	s_sub_i32 s0, s15, s0
	;; [unrolled: 5-line block ×3, first 2 shown]
	s_lshl_b32 s0, s17, 4
	s_add_i32 s0, s0, s7
	s_cmp_lt_i32 s0, s10
	s_cselect_b64 s[0:1], -1, 0
	s_add_i32 s2, s15, s8
	s_cmp_lt_i32 s2, s13
	s_cselect_b64 s[2:3], -1, 0
	s_and_b64 s[0:1], s[0:1], s[2:3]
	s_andn2_b64 vcc, exec, s[0:1]
	s_cbranch_vccnz .LBB60_6
; %bb.1:
	s_load_dwordx4 s[0:3], s[4:5], 0x0
	s_mul_i32 s4, s9, s10
	s_add_i32 s4, s4, s7
	s_mul_i32 s4, s4, s11
	s_mul_i32 s16, s16, s13
	s_add_i32 s4, s4, s8
	s_add_i32 s4, s4, s16
	s_mul_i32 s5, s11, s17
	s_add_i32 s4, s4, s15
	s_lshl_b32 s5, s5, 10
	s_lshl_b32 s4, s4, 6
	s_add_i32 s5, s5, s4
	v_or_b32_e32 v2, s5, v0
	v_ashrrev_i32_e32 v3, 31, v2
	v_lshlrev_b64 v[2:3], 2, v[2:3]
	s_waitcnt lgkmcnt(0)
	v_mov_b32_e32 v1, s1
	v_add_co_u32_e32 v2, vcc, s0, v2
	v_addc_co_u32_e32 v3, vcc, v1, v3, vcc
	global_load_dword v8, v[2:3], off
	s_add_i32 s4, s7, s8
	s_mul_i32 s7, s6, s14
	s_add_i32 s5, s7, s14
	s_lshl_b32 s0, s5, 4
	s_add_i32 s0, s4, s0
	s_add_i32 s0, s0, -16
	s_ashr_i32 s1, s0, 31
	s_lshl_b64 s[0:1], s[0:1], 3
	s_add_u32 s0, s2, s0
	s_addc_u32 s1, s3, s1
	s_load_dword s10, s[0:1], 0x4
	s_add_i32 s8, s5, -2
	s_cmp_lt_i32 s8, s7
	s_cbranch_scc1 .LBB60_4
; %bb.2:
	s_lshl_b32 s8, s12, 6
	s_ashr_i32 s9, s8, 31
	s_lshl_b64 s[8:9], s[8:9], 2
	s_add_u32 s8, s2, s8
	s_addc_u32 s11, s3, s9
	s_add_i32 s6, s6, 1
	s_add_i32 s9, s5, -1
	s_mul_i32 s5, s14, s6
	s_load_dword s0, s[0:1], 0x0
	s_lshl_b32 s1, s4, 6
	s_lshl_b32 s6, s5, 10
	s_add_i32 s1, s1, s6
	v_or_b32_e32 v0, s1, v0
	s_lshl_b32 s1, s5, 4
	s_add_i32 s1, s4, s1
	s_lshl_b32 s4, s12, 4
	s_add_i32 s1, s1, s4
	v_add_u32_e32 v0, 0xfffff800, v0
	s_sub_i32 s4, s1, 32
	s_waitcnt lgkmcnt(0)
	v_mov_b32_e32 v7, s10
	v_mov_b32_e32 v6, s0
	;; [unrolled: 1-line block ×3, first 2 shown]
	s_mov_b32 s6, 0x3fb8aa3b
	s_mov_b32 s10, 0xc2ce8ed0
	;; [unrolled: 1-line block ×3, first 2 shown]
	v_mov_b32_e32 v5, 0x7f800000
	s_mov_b32 s12, 0xc1a00000
.LBB60_3:                               ; =>This Inner Loop Header: Depth=1
	v_ashrrev_i32_e32 v1, 31, v0
	v_lshlrev_b64 v[10:11], 2, v[0:1]
	v_add_co_u32_e32 v10, vcc, s8, v10
	v_addc_co_u32_e32 v11, vcc, v4, v11, vcc
	global_load_dword v1, v[10:11], off
	s_ashr_i32 s5, s4, 31
	s_lshl_b64 s[0:1], s[4:5], 3
	s_add_u32 s0, s2, s0
	s_addc_u32 s1, s3, s1
	s_load_dwordx2 s[14:15], s[0:1], 0x0
	s_waitcnt vmcnt(1)
	v_mov_b32_e32 v9, v8
	v_max_f32_e32 v8, v6, v6
	v_mov_b32_e32 v10, v7
	s_add_i32 s9, s9, -1
	s_waitcnt lgkmcnt(0)
	v_max_f32_e64 v7, s14, s14
	v_max_f32_e32 v7, v8, v7
	v_sub_f32_e32 v11, s14, v7
	v_sub_f32_e32 v8, v6, v7
	v_mul_f32_e32 v12, 0x3fb8aa3b, v11
	v_mov_b32_e32 v6, v7
	v_mul_f32_e32 v7, 0x3fb8aa3b, v8
	v_fma_f32 v15, v11, s6, -v12
	v_rndne_f32_e32 v16, v12
	v_fma_f32 v13, v8, s6, -v7
	v_rndne_f32_e32 v14, v7
	v_fmac_f32_e32 v15, 0x32a5705f, v11
	v_sub_f32_e32 v12, v12, v16
	v_fmac_f32_e32 v13, 0x32a5705f, v8
	v_sub_f32_e32 v7, v7, v14
	v_add_f32_e32 v12, v12, v15
	v_cvt_i32_f32_e32 v16, v16
	v_add_f32_e32 v7, v7, v13
	v_exp_f32_e32 v12, v12
	v_cvt_i32_f32_e32 v14, v14
	v_exp_f32_e32 v7, v7
	v_cmp_ngt_f32_e32 vcc, s10, v11
	v_ldexp_f32 v12, v12, v16
	v_cmp_ngt_f32_e64 s[0:1], s10, v8
	v_ldexp_f32 v7, v7, v14
	v_cndmask_b32_e32 v12, 0, v12, vcc
	v_cmp_nlt_f32_e32 vcc, s11, v11
	v_cndmask_b32_e64 v7, 0, v7, s[0:1]
	v_cmp_nlt_f32_e64 s[0:1], s11, v8
	v_cndmask_b32_e32 v12, v5, v12, vcc
	v_cmp_le_f32_e32 vcc, s12, v11
	v_cndmask_b32_e64 v7, v5, v7, s[0:1]
	v_cmp_le_f32_e64 s[0:1], s12, v8
	v_cndmask_b32_e32 v8, 0, v12, vcc
	s_add_i32 s4, s4, -16
	v_cndmask_b32_e64 v11, 0, v7, s[0:1]
	v_mul_f32_e32 v7, s15, v8
	v_add_u32_e32 v0, 0xfffffc00, v0
	s_cmp_le_i32 s9, s7
	v_fmac_f32_e32 v7, v10, v11
	s_waitcnt vmcnt(0)
	v_mul_f32_e32 v8, v1, v8
	v_fmac_f32_e32 v8, v9, v11
	s_cbranch_scc0 .LBB60_3
	s_branch .LBB60_5
.LBB60_4:
	s_waitcnt lgkmcnt(0)
	v_mov_b32_e32 v7, s10
.LBB60_5:
	s_waitcnt vmcnt(0)
	v_div_scale_f32 v0, s[0:1], v7, v7, v8
	v_rcp_f32_e32 v1, v0
	v_div_scale_f32 v4, vcc, v8, v7, v8
	v_fma_f32 v5, -v0, v1, 1.0
	v_fmac_f32_e32 v1, v5, v1
	v_mul_f32_e32 v5, v4, v1
	v_fma_f32 v6, -v0, v5, v4
	v_fmac_f32_e32 v5, v6, v1
	v_fma_f32 v0, -v0, v5, v4
	v_div_fmas_f32 v0, v0, v1, v5
	v_div_fixup_f32 v0, v0, v7, v8
	global_store_dword v[2:3], v0, off
.LBB60_6:
	s_endpgm
	.section	.rodata,"a",@progbits
	.p2align	6, 0x0
	.amdhsa_kernel _ZL33flash_attn_stream_k_fixup_uniformILi64ELi16ELi1EEvPfPK15HIP_vector_typeIfLj2EEiiiiiiS1_IjLj3EES5_S5_
		.amdhsa_group_segment_fixed_size 0
		.amdhsa_private_segment_fixed_size 0
		.amdhsa_kernarg_size 76
		.amdhsa_user_sgpr_count 6
		.amdhsa_user_sgpr_private_segment_buffer 1
		.amdhsa_user_sgpr_dispatch_ptr 0
		.amdhsa_user_sgpr_queue_ptr 0
		.amdhsa_user_sgpr_kernarg_segment_ptr 1
		.amdhsa_user_sgpr_dispatch_id 0
		.amdhsa_user_sgpr_flat_scratch_init 0
		.amdhsa_user_sgpr_kernarg_preload_length 0
		.amdhsa_user_sgpr_kernarg_preload_offset 0
		.amdhsa_user_sgpr_private_segment_size 0
		.amdhsa_uses_dynamic_stack 0
		.amdhsa_system_sgpr_private_segment_wavefront_offset 0
		.amdhsa_system_sgpr_workgroup_id_x 1
		.amdhsa_system_sgpr_workgroup_id_y 1
		.amdhsa_system_sgpr_workgroup_id_z 1
		.amdhsa_system_sgpr_workgroup_info 0
		.amdhsa_system_vgpr_workitem_id 0
		.amdhsa_next_free_vgpr 17
		.amdhsa_next_free_sgpr 20
		.amdhsa_accum_offset 20
		.amdhsa_reserve_vcc 1
		.amdhsa_reserve_flat_scratch 0
		.amdhsa_float_round_mode_32 0
		.amdhsa_float_round_mode_16_64 0
		.amdhsa_float_denorm_mode_32 3
		.amdhsa_float_denorm_mode_16_64 3
		.amdhsa_dx10_clamp 1
		.amdhsa_ieee_mode 1
		.amdhsa_fp16_overflow 0
		.amdhsa_tg_split 0
		.amdhsa_exception_fp_ieee_invalid_op 0
		.amdhsa_exception_fp_denorm_src 0
		.amdhsa_exception_fp_ieee_div_zero 0
		.amdhsa_exception_fp_ieee_overflow 0
		.amdhsa_exception_fp_ieee_underflow 0
		.amdhsa_exception_fp_ieee_inexact 0
		.amdhsa_exception_int_div_zero 0
	.end_amdhsa_kernel
	.section	.text._ZL33flash_attn_stream_k_fixup_uniformILi64ELi16ELi1EEvPfPK15HIP_vector_typeIfLj2EEiiiiiiS1_IjLj3EES5_S5_,"axG",@progbits,_ZL33flash_attn_stream_k_fixup_uniformILi64ELi16ELi1EEvPfPK15HIP_vector_typeIfLj2EEiiiiiiS1_IjLj3EES5_S5_,comdat
.Lfunc_end60:
	.size	_ZL33flash_attn_stream_k_fixup_uniformILi64ELi16ELi1EEvPfPK15HIP_vector_typeIfLj2EEiiiiiiS1_IjLj3EES5_S5_, .Lfunc_end60-_ZL33flash_attn_stream_k_fixup_uniformILi64ELi16ELi1EEvPfPK15HIP_vector_typeIfLj2EEiiiiiiS1_IjLj3EES5_S5_
                                        ; -- End function
	.section	.AMDGPU.csdata,"",@progbits
; Kernel info:
; codeLenInByte = 836
; NumSgprs: 24
; NumVgprs: 17
; NumAgprs: 0
; TotalNumVgprs: 17
; ScratchSize: 0
; MemoryBound: 0
; FloatMode: 240
; IeeeMode: 1
; LDSByteSize: 0 bytes/workgroup (compile time only)
; SGPRBlocks: 2
; VGPRBlocks: 2
; NumSGPRsForWavesPerEU: 24
; NumVGPRsForWavesPerEU: 17
; AccumOffset: 20
; Occupancy: 8
; WaveLimiterHint : 0
; COMPUTE_PGM_RSRC2:SCRATCH_EN: 0
; COMPUTE_PGM_RSRC2:USER_SGPR: 6
; COMPUTE_PGM_RSRC2:TRAP_HANDLER: 0
; COMPUTE_PGM_RSRC2:TGID_X_EN: 1
; COMPUTE_PGM_RSRC2:TGID_Y_EN: 1
; COMPUTE_PGM_RSRC2:TGID_Z_EN: 1
; COMPUTE_PGM_RSRC2:TIDIG_COMP_CNT: 0
; COMPUTE_PGM_RSRC3_GFX90A:ACCUM_OFFSET: 4
; COMPUTE_PGM_RSRC3_GFX90A:TG_SPLIT: 0
	.section	.text._ZL33flash_attn_stream_k_fixup_generalILi64ELi16ELi1EEvPfPK15HIP_vector_typeIfLj2EEiiiiS1_IjLj3EES5_S5_S5_,"axG",@progbits,_ZL33flash_attn_stream_k_fixup_generalILi64ELi16ELi1EEvPfPK15HIP_vector_typeIfLj2EEiiiiS1_IjLj3EES5_S5_S5_,comdat
	.globl	_ZL33flash_attn_stream_k_fixup_generalILi64ELi16ELi1EEvPfPK15HIP_vector_typeIfLj2EEiiiiS1_IjLj3EES5_S5_S5_ ; -- Begin function _ZL33flash_attn_stream_k_fixup_generalILi64ELi16ELi1EEvPfPK15HIP_vector_typeIfLj2EEiiiiS1_IjLj3EES5_S5_S5_
	.p2align	8
	.type	_ZL33flash_attn_stream_k_fixup_generalILi64ELi16ELi1EEvPfPK15HIP_vector_typeIfLj2EEiiiiS1_IjLj3EES5_S5_S5_,@function
_ZL33flash_attn_stream_k_fixup_generalILi64ELi16ELi1EEvPfPK15HIP_vector_typeIfLj2EEiiiiS1_IjLj3EES5_S5_S5_: ; @_ZL33flash_attn_stream_k_fixup_generalILi64ELi16ELi1EEvPfPK15HIP_vector_typeIfLj2EEiiiiS1_IjLj3EES5_S5_S5_
; %bb.0:
	s_load_dwordx4 s[12:15], s[4:5], 0x10
	s_load_dword s9, s[4:5], 0x50
	s_mov_b32 s2, 0
	s_waitcnt lgkmcnt(0)
	s_mul_hi_i32 s3, s15, s6
	s_cmp_lg_u64 s[2:3], 0
	s_mul_i32 s2, s15, s6
	s_cbranch_scc0 .LBB61_21
; %bb.1:
	v_cvt_f32_u32_e32 v1, s9
	v_cvt_f32_ubyte0_e32 v2, 0
	s_sub_u32 s10, 0, s9
	s_subb_u32 s11, 0, 0
	v_madmk_f32 v1, v2, 0x4f800000, v1
	v_rcp_f32_e32 v1, v1
	v_mul_f32_e32 v1, 0x5f7ffffc, v1
	v_mul_f32_e32 v2, 0x2f800000, v1
	v_trunc_f32_e32 v2, v2
	v_madmk_f32 v1, v2, 0xcf800000, v1
	v_cvt_u32_f32_e32 v2, v2
	v_cvt_u32_f32_e32 v1, v1
	v_readfirstlane_b32 s16, v2
	v_readfirstlane_b32 s17, v1
	s_mul_i32 s18, s10, s16
	s_mul_hi_u32 s20, s10, s17
	s_mul_i32 s19, s11, s17
	s_add_i32 s18, s20, s18
	s_add_i32 s18, s18, s19
	s_mul_i32 s21, s10, s17
	s_mul_hi_u32 s19, s17, s18
	s_mul_i32 s20, s17, s18
	s_mul_hi_u32 s17, s17, s21
	s_add_u32 s17, s17, s20
	s_addc_u32 s19, 0, s19
	s_mul_hi_u32 s22, s16, s21
	s_mul_i32 s21, s16, s21
	s_add_u32 s17, s17, s21
	s_mul_hi_u32 s20, s16, s18
	s_addc_u32 s17, s19, s22
	s_addc_u32 s19, s20, 0
	s_mul_i32 s18, s16, s18
	s_add_u32 s17, s17, s18
	s_addc_u32 s18, 0, s19
	v_add_co_u32_e32 v1, vcc, s17, v1
	s_cmp_lg_u64 vcc, 0
	s_addc_u32 s16, s16, s18
	v_readfirstlane_b32 s18, v1
	s_mul_i32 s17, s10, s16
	s_mul_hi_u32 s19, s10, s18
	s_add_i32 s17, s19, s17
	s_mul_i32 s11, s11, s18
	s_add_i32 s17, s17, s11
	s_mul_i32 s10, s10, s18
	s_mul_hi_u32 s19, s16, s10
	s_mul_i32 s20, s16, s10
	s_mul_i32 s22, s18, s17
	s_mul_hi_u32 s10, s18, s10
	s_mul_hi_u32 s21, s18, s17
	s_add_u32 s10, s10, s22
	s_addc_u32 s18, 0, s21
	s_add_u32 s10, s10, s20
	s_mul_hi_u32 s11, s16, s17
	s_addc_u32 s10, s18, s19
	s_addc_u32 s11, s11, 0
	s_mul_i32 s17, s16, s17
	s_add_u32 s10, s10, s17
	s_addc_u32 s11, 0, s11
	v_add_co_u32_e32 v1, vcc, s10, v1
	s_cmp_lg_u64 vcc, 0
	s_addc_u32 s18, s16, s11
	s_ashr_i32 s10, s3, 31
	s_add_u32 s16, s2, s10
	s_mov_b32 s11, s10
	s_addc_u32 s17, s3, s10
	s_xor_b64 s[16:17], s[16:17], s[10:11]
	v_readfirstlane_b32 s20, v1
	s_mul_i32 s19, s16, s18
	s_mul_hi_u32 s21, s16, s20
	s_mul_hi_u32 s3, s16, s18
	s_add_u32 s19, s21, s19
	s_addc_u32 s3, 0, s3
	s_mul_hi_u32 s22, s17, s20
	s_mul_i32 s20, s17, s20
	s_add_u32 s19, s19, s20
	s_mul_hi_u32 s21, s17, s18
	s_addc_u32 s3, s3, s22
	s_addc_u32 s19, s21, 0
	s_mul_i32 s18, s17, s18
	s_add_u32 s3, s3, s18
	s_addc_u32 s18, 0, s19
	s_add_u32 s19, s3, 1
	s_addc_u32 s20, s18, 0
	s_add_u32 s21, s3, 2
	s_mul_i32 s23, s9, s18
	s_mul_hi_u32 s24, s9, s3
	s_addc_u32 s22, s18, 0
	s_add_i32 s24, s24, s23
	s_mul_i32 s23, s9, s3
	v_mov_b32_e32 v1, s23
	v_sub_co_u32_e32 v1, vcc, s16, v1
	s_cmp_lg_u64 vcc, 0
	s_subb_u32 s16, s17, s24
	v_subrev_co_u32_e32 v2, vcc, s9, v1
	s_cmp_lg_u64 vcc, 0
	s_subb_u32 s17, s16, 0
	v_readfirstlane_b32 s23, v2
	s_cmp_ge_u32 s23, s9
	s_cselect_b32 s23, -1, 0
	s_cmp_eq_u32 s17, 0
	s_cselect_b32 s17, s23, -1
	s_cmp_lg_u32 s17, 0
	s_cselect_b32 s17, s22, s20
	v_readfirstlane_b32 s20, v1
	s_cselect_b32 s19, s21, s19
	s_cmp_ge_u32 s20, s9
	s_cselect_b32 s20, -1, 0
	s_cmp_eq_u32 s16, 0
	s_cselect_b32 s16, s20, -1
	s_cmp_lg_u32 s16, 0
	s_cselect_b32 s17, s17, s18
	s_cselect_b32 s16, s19, s3
	s_xor_b64 s[16:17], s[16:17], s[10:11]
	s_sub_u32 s20, s16, s10
	s_load_dwordx4 s[16:19], s[4:5], 0x44
	s_cbranch_execnz .LBB61_3
.LBB61_2:
	v_cvt_f32_u32_e32 v1, s9
	s_sub_i32 s0, 0, s9
	v_rcp_iflag_f32_e32 v1, v1
	v_mul_f32_e32 v1, 0x4f7ffffe, v1
	v_cvt_u32_f32_e32 v1, v1
	v_readfirstlane_b32 s1, v1
	s_mul_i32 s0, s0, s1
	s_mul_hi_u32 s0, s1, s0
	s_add_i32 s1, s1, s0
	s_mul_hi_u32 s0, s2, s1
	s_mul_i32 s3, s0, s9
	s_sub_i32 s2, s2, s3
	s_add_i32 s1, s0, 1
	s_sub_i32 s3, s2, s9
	s_cmp_ge_u32 s2, s9
	s_cselect_b32 s0, s1, s0
	s_cselect_b32 s2, s3, s2
	s_add_i32 s1, s0, 1
	s_cmp_ge_u32 s2, s9
	s_cselect_b32 s20, s1, s0
.LBB61_3:
	s_add_i32 s0, s6, 1
	s_mul_hi_i32 s3, s15, s0
	s_mov_b32 s2, 0
	s_cmp_lg_u64 s[2:3], 0
	s_mul_i32 s2, s15, s0
	s_cbranch_scc0 .LBB61_22
; %bb.4:
	v_cvt_f32_u32_e32 v1, s9
	v_cvt_f32_ubyte0_e32 v2, 0
	s_sub_u32 s10, 0, s9
	s_subb_u32 s11, 0, 0
	v_madmk_f32 v1, v2, 0x4f800000, v1
	v_rcp_f32_e32 v1, v1
	v_mul_f32_e32 v1, 0x5f7ffffc, v1
	v_mul_f32_e32 v2, 0x2f800000, v1
	v_trunc_f32_e32 v2, v2
	v_madmk_f32 v1, v2, 0xcf800000, v1
	v_cvt_u32_f32_e32 v2, v2
	v_cvt_u32_f32_e32 v1, v1
	s_waitcnt lgkmcnt(0)
	v_readfirstlane_b32 s19, v2
	v_readfirstlane_b32 s21, v1
	s_mul_i32 s22, s10, s19
	s_mul_hi_u32 s24, s10, s21
	s_mul_i32 s23, s11, s21
	s_add_i32 s22, s24, s22
	s_add_i32 s22, s22, s23
	s_mul_i32 s25, s10, s21
	s_mul_hi_u32 s23, s21, s22
	s_mul_i32 s24, s21, s22
	s_mul_hi_u32 s21, s21, s25
	s_add_u32 s21, s21, s24
	s_addc_u32 s23, 0, s23
	s_mul_hi_u32 s26, s19, s25
	s_mul_i32 s25, s19, s25
	s_add_u32 s21, s21, s25
	s_mul_hi_u32 s24, s19, s22
	s_addc_u32 s21, s23, s26
	s_addc_u32 s23, s24, 0
	s_mul_i32 s22, s19, s22
	s_add_u32 s21, s21, s22
	s_addc_u32 s22, 0, s23
	v_add_co_u32_e32 v1, vcc, s21, v1
	s_cmp_lg_u64 vcc, 0
	s_addc_u32 s19, s19, s22
	v_readfirstlane_b32 s22, v1
	s_mul_i32 s21, s10, s19
	s_mul_hi_u32 s23, s10, s22
	s_add_i32 s21, s23, s21
	s_mul_i32 s11, s11, s22
	s_add_i32 s21, s21, s11
	s_mul_i32 s10, s10, s22
	s_mul_hi_u32 s23, s19, s10
	s_mul_i32 s24, s19, s10
	s_mul_i32 s26, s22, s21
	s_mul_hi_u32 s10, s22, s10
	s_mul_hi_u32 s25, s22, s21
	s_add_u32 s10, s10, s26
	s_addc_u32 s22, 0, s25
	s_add_u32 s10, s10, s24
	s_mul_hi_u32 s11, s19, s21
	s_addc_u32 s10, s22, s23
	s_addc_u32 s11, s11, 0
	s_mul_i32 s21, s19, s21
	s_add_u32 s10, s10, s21
	s_addc_u32 s11, 0, s11
	v_add_co_u32_e32 v1, vcc, s10, v1
	s_cmp_lg_u64 vcc, 0
	s_addc_u32 s19, s19, s11
	s_ashr_i32 s10, s3, 31
	s_add_u32 s22, s2, s10
	s_mov_b32 s11, s10
	s_addc_u32 s23, s3, s10
	s_xor_b64 s[22:23], s[22:23], s[10:11]
	v_readfirstlane_b32 s21, v1
	s_mul_i32 s11, s22, s19
	s_mul_hi_u32 s24, s22, s21
	s_mul_hi_u32 s3, s22, s19
	s_add_u32 s11, s24, s11
	s_addc_u32 s3, 0, s3
	s_mul_hi_u32 s25, s23, s21
	s_mul_i32 s21, s23, s21
	s_add_u32 s11, s11, s21
	s_mul_hi_u32 s24, s23, s19
	s_addc_u32 s3, s3, s25
	s_addc_u32 s11, s24, 0
	s_mul_i32 s19, s23, s19
	s_add_u32 s3, s3, s19
	s_addc_u32 s11, 0, s11
	s_mul_i32 s11, s9, s11
	s_mul_hi_u32 s24, s9, s3
	s_add_i32 s24, s24, s11
	s_mul_i32 s11, s9, s3
	v_mov_b32_e32 v1, s11
	s_add_u32 s19, s3, 1
	s_add_u32 s21, s3, 2
	v_sub_co_u32_e32 v1, vcc, s22, v1
	s_cmp_lg_u64 vcc, 0
	s_subb_u32 s11, s23, s24
	v_subrev_co_u32_e32 v2, vcc, s9, v1
	s_cmp_lg_u64 vcc, 0
	s_subb_u32 s22, s11, 0
	v_cmp_le_u32_e32 vcc, s9, v2
	s_cmp_eq_u32 s22, 0
	v_cndmask_b32_e64 v2, 0, -1, vcc
	s_cselect_b64 vcc, -1, 0
	v_cndmask_b32_e32 v2, -1, v2, vcc
	v_mov_b32_e32 v3, s19
	v_mov_b32_e32 v4, s21
	v_cmp_ne_u32_e32 vcc, 0, v2
	v_cndmask_b32_e32 v2, v3, v4, vcc
	v_cmp_le_u32_e32 vcc, s9, v1
	s_cmp_eq_u32 s11, 0
	v_cndmask_b32_e64 v1, 0, -1, vcc
	s_cselect_b64 vcc, -1, 0
	v_cndmask_b32_e32 v1, -1, v1, vcc
	v_mov_b32_e32 v3, s3
	v_cmp_ne_u32_e32 vcc, 0, v1
	v_cndmask_b32_e32 v1, v3, v2, vcc
	v_xor_b32_e32 v1, s10, v1
	v_subrev_co_u32_e32 v2, vcc, s10, v1
	s_cbranch_execnz .LBB61_6
.LBB61_5:
	v_cvt_f32_u32_e32 v1, s9
	s_sub_i32 s0, 0, s9
	s_mov_b32 s1, 0
	v_rcp_iflag_f32_e32 v1, v1
	v_mul_f32_e32 v1, 0x4f7ffffe, v1
	v_cvt_u32_f32_e32 v1, v1
	v_readfirstlane_b32 s3, v1
	s_mul_i32 s0, s0, s3
	s_mul_hi_u32 s0, s3, s0
	s_add_i32 s3, s3, s0
	s_mul_hi_u32 s0, s2, s3
	s_mul_i32 s10, s0, s9
	s_sub_i32 s2, s2, s10
	s_add_i32 s3, s0, 1
	s_sub_i32 s10, s2, s9
	s_cmp_ge_u32 s2, s9
	s_cselect_b32 s0, s3, s0
	s_cselect_b32 s2, s10, s2
	s_add_i32 s3, s0, 1
	s_cmp_ge_u32 s2, s9
	s_cselect_b32 s0, s3, s0
	v_pk_mov_b32 v[2:3], s[0:1], s[0:1] op_sel:[0,1]
.LBB61_6:
	s_waitcnt lgkmcnt(0)
	s_mul_hi_u32 s0, s20, s16
	s_add_i32 s0, s0, s20
	v_mul_hi_u32 v1, v2, s16
	s_lshr_b32 s19, s0, s17
	v_add_u32_e32 v1, v1, v2
	s_mul_i32 s0, s19, s18
	v_lshrrev_b32_e32 v1, s17, v1
	s_cmp_eq_u32 s0, s20
	v_cmp_eq_u32_e64 s[0:1], s19, v1
	v_mul_lo_u32 v1, v1, s18
	v_cmp_eq_u32_e32 vcc, s20, v2
	s_cselect_b64 s[10:11], -1, 0
	v_cmp_ne_u32_e64 s[2:3], v1, v2
	s_and_b64 s[0:1], s[0:1], s[2:3]
	s_or_b64 s[2:3], vcc, s[10:11]
	s_or_b64 s[0:1], s[2:3], s[0:1]
	s_and_b64 vcc, exec, s[0:1]
	s_cbranch_vccnz .LBB61_24
; %bb.7:
	s_load_dwordx8 s[24:31], s[4:5], 0x20
	s_load_dword s0, s[4:5], 0x40
	s_mov_b32 s10, 0
	s_waitcnt lgkmcnt(0)
	s_mul_hi_u32 s1, s20, s24
	s_add_i32 s1, s1, s20
	s_lshr_b32 s11, s1, s25
	s_mul_i32 s1, s11, s26
	s_sub_i32 s1, s20, s1
	s_mul_hi_u32 s2, s1, s27
	s_add_i32 s2, s1, s2
	s_lshr_b32 s25, s2, s28
	s_mul_i32 s2, s25, s29
	s_sub_i32 s1, s1, s2
	;; [unrolled: 5-line block ×3, first 2 shown]
	s_mul_hi_u32 s1, s0, s16
	s_add_i32 s0, s0, s1
	s_lshr_b32 s26, s0, s17
	s_lshl_b32 s0, s26, 4
	s_add_i32 s0, s0, s7
	s_cmp_lt_i32 s0, s12
	s_cselect_b64 s[0:1], -1, 0
	s_add_i32 s2, s24, s8
	s_cmp_lt_i32 s2, s14
	s_cselect_b64 s[2:3], -1, 0
	s_and_b64 s[0:1], s[0:1], s[2:3]
	s_andn2_b64 vcc, exec, s[0:1]
	s_cbranch_vccnz .LBB61_24
; %bb.8:
	s_load_dwordx4 s[0:3], s[4:5], 0x0
	s_lshl_b32 s4, s9, 6
	s_mov_b32 s5, s10
	s_add_i32 s21, s7, s8
	s_lshl_b64 s[4:5], s[4:5], 2
	s_waitcnt lgkmcnt(0)
	s_add_u32 s22, s2, s4
	s_mul_i32 s4, s11, s12
	s_addc_u32 s23, s3, s5
	s_add_i32 s4, s4, s7
	s_mul_i32 s4, s4, s13
	s_mul_i32 s25, s25, s14
	s_add_i32 s4, s4, s8
	s_add_i32 s4, s4, s25
	s_mul_i32 s5, s13, s26
	s_add_i32 s4, s4, s24
	s_lshl_b32 s5, s5, 10
	s_lshl_b32 s4, s4, 6
	s_add_i32 s5, s5, s4
	v_or_b32_e32 v2, s5, v0
	v_ashrrev_i32_e32 v3, 31, v2
	v_lshlrev_b64 v[2:3], 2, v[2:3]
	v_mov_b32_e32 v1, s1
	v_add_co_u32_e32 v2, vcc, s0, v2
	v_addc_co_u32_e32 v3, vcc, v1, v3, vcc
	global_load_dword v5, v[2:3], off
	v_lshl_or_b32 v4, s21, 6, v0
	v_cvt_f32_u32_e32 v0, s9
	v_cvt_f32_ubyte0_e32 v1, 0
	s_lshl_b32 s0, s6, 4
	s_add_i32 s0, s0, s21
	v_mac_f32_e32 v0, 0x4f800000, v1
	v_rcp_f32_e32 v0, v0
	v_cvt_f32_u32_e32 v1, s9
	s_ashr_i32 s1, s0, 31
	s_lshl_b64 s[0:1], s[0:1], 3
	v_mul_f32_e32 v0, 0x5f7ffffc, v0
	v_rcp_iflag_f32_e32 v1, v1
	s_add_u32 s0, s2, s0
	v_mul_f32_e32 v9, 0x2f800000, v0
	s_addc_u32 s1, s3, s1
	v_trunc_f32_e32 v10, v9
	s_load_dwordx2 s[0:1], s[0:1], 0x0
	v_mac_f32_e32 v0, 0xcf800000, v10
	v_cvt_u32_f32_e32 v9, v0
	v_mul_f32_e32 v0, 0x4f7ffffe, v1
	v_cvt_u32_f32_e32 v10, v10
	v_cvt_u32_f32_e32 v11, v0
	s_add_i32 s8, s6, -1
	s_waitcnt lgkmcnt(0)
	v_mov_b32_e32 v6, s1
	v_mov_b32_e32 v7, s0
	v_mov_b32_e32 v8, s20
	s_mov_b32 s6, 0x3fb8aa3b
	s_mov_b32 s7, 0xc2ce8ed0
	;; [unrolled: 1-line block ×4, first 2 shown]
	v_mov_b32_e32 v12, 0x7f800000
	s_mul_hi_i32 s11, s8, s15
	s_cmp_lg_u64 s[10:11], 0
	s_mul_i32 s4, s8, s15
	s_cbranch_scc0 .LBB61_15
.LBB61_9:
	s_sub_u32 s0, 0, s9
	v_readfirstlane_b32 s5, v9
	v_readfirstlane_b32 s24, v10
	s_subb_u32 s1, 0, 0
	s_mul_hi_u32 s20, s0, s5
	s_mul_i32 s25, s0, s24
	s_mul_i32 s14, s1, s5
	s_add_i32 s20, s20, s25
	s_add_i32 s20, s20, s14
	s_mul_i32 s26, s0, s5
	s_mul_hi_u32 s14, s5, s20
	s_mul_i32 s25, s5, s20
	s_mul_hi_u32 s5, s5, s26
	s_add_u32 s5, s5, s25
	s_addc_u32 s14, 0, s14
	s_mul_hi_u32 s27, s24, s26
	s_mul_i32 s26, s24, s26
	s_add_u32 s5, s5, s26
	s_mul_hi_u32 s25, s24, s20
	s_addc_u32 s5, s14, s27
	s_addc_u32 s14, s25, 0
	s_mul_i32 s20, s24, s20
	s_add_u32 s5, s5, s20
	s_addc_u32 s14, 0, s14
	v_add_co_u32_e32 v0, vcc, s5, v9
	s_cmp_lg_u64 vcc, 0
	s_addc_u32 s5, s24, s14
	v_readfirstlane_b32 s20, v0
	s_mul_i32 s14, s0, s5
	s_mul_hi_u32 s24, s0, s20
	s_add_i32 s14, s24, s14
	s_mul_i32 s1, s1, s20
	s_add_i32 s14, s14, s1
	s_mul_i32 s0, s0, s20
	s_mul_hi_u32 s24, s5, s0
	s_mul_i32 s25, s5, s0
	s_mul_i32 s27, s20, s14
	s_mul_hi_u32 s0, s20, s0
	s_mul_hi_u32 s26, s20, s14
	s_add_u32 s0, s0, s27
	s_addc_u32 s20, 0, s26
	s_add_u32 s0, s0, s25
	s_mul_hi_u32 s1, s5, s14
	s_addc_u32 s0, s20, s24
	s_addc_u32 s1, s1, 0
	s_mul_i32 s14, s5, s14
	s_add_u32 s0, s0, s14
	s_addc_u32 s1, 0, s1
	v_add_co_u32_e32 v0, vcc, s0, v0
	s_cmp_lg_u64 vcc, 0
	s_addc_u32 s5, s5, s1
	s_ashr_i32 s0, s11, 31
	s_add_u32 s24, s4, s0
	s_mov_b32 s1, s0
	s_addc_u32 s25, s11, s0
	s_xor_b64 s[24:25], s[24:25], s[0:1]
	v_readfirstlane_b32 s14, v0
	s_mul_i32 s11, s24, s5
	s_mul_hi_u32 s20, s24, s14
	s_mul_hi_u32 s1, s24, s5
	s_add_u32 s11, s20, s11
	s_addc_u32 s1, 0, s1
	s_mul_hi_u32 s26, s25, s14
	s_mul_i32 s14, s25, s14
	s_add_u32 s11, s11, s14
	s_mul_hi_u32 s20, s25, s5
	s_addc_u32 s1, s1, s26
	s_addc_u32 s11, s20, 0
	s_mul_i32 s5, s25, s5
	s_add_u32 s1, s1, s5
	s_addc_u32 s5, 0, s11
	s_mul_i32 s5, s9, s5
	s_mul_hi_u32 s20, s9, s1
	s_add_i32 s20, s20, s5
	s_mul_i32 s5, s9, s1
	v_mov_b32_e32 v0, s5
	s_add_u32 s11, s1, 1
	s_add_u32 s14, s1, 2
	v_sub_co_u32_e32 v0, vcc, s24, v0
	s_cmp_lg_u64 vcc, 0
	s_subb_u32 s5, s25, s20
	v_subrev_co_u32_e32 v1, vcc, s9, v0
	s_cmp_lg_u64 vcc, 0
	s_subb_u32 s20, s5, 0
	v_cmp_le_u32_e32 vcc, s9, v1
	s_cmp_eq_u32 s20, 0
	v_cndmask_b32_e64 v1, 0, -1, vcc
	s_cselect_b64 vcc, -1, 0
	v_cndmask_b32_e32 v1, -1, v1, vcc
	v_mov_b32_e32 v13, s11
	v_mov_b32_e32 v14, s14
	v_cmp_ne_u32_e32 vcc, 0, v1
	v_cndmask_b32_e32 v1, v13, v14, vcc
	v_cmp_le_u32_e32 vcc, s9, v0
	s_cmp_eq_u32 s5, 0
	v_cndmask_b32_e64 v0, 0, -1, vcc
	s_cselect_b64 vcc, -1, 0
	v_cndmask_b32_e32 v0, -1, v0, vcc
	v_mov_b32_e32 v13, s1
	v_cmp_ne_u32_e32 vcc, 0, v0
	v_cndmask_b32_e32 v0, v13, v1, vcc
	v_xor_b32_e32 v0, s0, v0
	v_subrev_co_u32_e32 v0, vcc, s0, v0
	s_cbranch_execnz .LBB61_11
.LBB61_10:
	s_sub_i32 s0, 0, s9
	v_mul_lo_u32 v0, s0, v11
	v_mul_hi_u32 v0, v11, v0
	v_add_u32_e32 v0, v11, v0
	v_mul_hi_u32 v0, s4, v0
	v_mul_lo_u32 v13, v0, s9
	v_sub_u32_e32 v13, s4, v13
	v_add_u32_e32 v1, 1, v0
	v_subrev_u32_e32 v14, s9, v13
	v_cmp_le_u32_e32 vcc, s9, v13
	v_cndmask_b32_e32 v13, v13, v14, vcc
	v_cndmask_b32_e32 v0, v0, v1, vcc
	v_add_u32_e32 v1, 1, v0
	v_cmp_le_u32_e32 vcc, s9, v13
	v_cndmask_b32_e32 v0, v0, v1, vcc
.LBB61_11:
	v_cmp_ne_u32_e32 vcc, v8, v0
	s_cbranch_vccz .LBB61_14
; %bb.12:
	s_add_i32 s0, s8, s9
	s_lshl_b32 s0, s0, 4
	v_mul_hi_u32 v1, v0, s16
	s_add_i32 s0, s0, s21
	s_mov_b32 s1, s10
	v_add_u32_e32 v1, v1, v0
	s_lshl_b64 s[0:1], s[0:1], 3
	v_lshrrev_b32_e32 v1, s17, v1
	s_add_u32 s4, s2, s0
	v_mul_lo_u32 v13, v1, s18
	s_addc_u32 s5, s3, s1
	v_cmp_eq_u32_e32 vcc, v13, v0
	v_cmp_gt_u32_e64 s[0:1], s19, v1
	s_or_b64 s[0:1], s[0:1], vcc
	s_and_b64 vcc, exec, s[0:1]
	s_cbranch_vccnz .LBB61_16
; %bb.13:
	s_add_i32 s11, s8, -1
	s_mov_b64 s[0:1], 0
	s_branch .LBB61_17
.LBB61_14:
                                        ; implicit-def: $sgpr0_sgpr1
                                        ; implicit-def: $vgpr14
                                        ; implicit-def: $vgpr1
                                        ; implicit-def: $vgpr13
                                        ; implicit-def: $sgpr11
                                        ; implicit-def: $vgpr0
	s_branch .LBB61_18
.LBB61_15:
                                        ; implicit-def: $vgpr0_vgpr1
	s_branch .LBB61_10
.LBB61_16:
	s_mov_b64 s[0:1], -1
	s_mov_b32 s11, s8
	v_mov_b32_e32 v0, v8
.LBB61_17:
	v_lshl_add_u32 v14, s8, 10, v4
	v_ashrrev_i32_e32 v15, 31, v14
	v_lshlrev_b64 v[14:15], 2, v[14:15]
	v_mov_b32_e32 v1, s23
	v_add_co_u32_e32 v14, vcc, s22, v14
	v_addc_co_u32_e32 v15, vcc, v1, v15, vcc
	global_load_dword v14, v[14:15], off
	s_load_dwordx2 s[4:5], s[4:5], 0x0
	v_max_f32_e32 v1, v7, v7
	s_waitcnt lgkmcnt(0)
	v_max_f32_e64 v13, s4, s4
	v_max_f32_e32 v1, v1, v13
	v_sub_f32_e32 v13, v7, v1
	v_sub_f32_e32 v15, s4, v1
	v_mul_f32_e32 v16, 0x3fb8aa3b, v13
	v_mul_f32_e32 v17, 0x3fb8aa3b, v15
	v_fma_f32 v18, v13, s6, -v16
	v_rndne_f32_e32 v19, v16
	v_fma_f32 v20, v15, s6, -v17
	v_rndne_f32_e32 v21, v17
	v_fmac_f32_e32 v18, 0x32a5705f, v13
	v_sub_f32_e32 v16, v16, v19
	v_fmac_f32_e32 v20, 0x32a5705f, v15
	v_sub_f32_e32 v17, v17, v21
	v_add_f32_e32 v16, v16, v18
	v_cvt_i32_f32_e32 v19, v19
	v_add_f32_e32 v17, v17, v20
	v_exp_f32_e32 v16, v16
	v_cvt_i32_f32_e32 v21, v21
	v_exp_f32_e32 v17, v17
	v_cmp_ngt_f32_e32 vcc, s7, v13
	v_ldexp_f32 v16, v16, v19
	v_cndmask_b32_e32 v16, 0, v16, vcc
	v_ldexp_f32 v17, v17, v21
	v_cmp_ngt_f32_e32 vcc, s7, v15
	v_cndmask_b32_e32 v17, 0, v17, vcc
	v_cmp_nlt_f32_e32 vcc, s12, v13
	v_cndmask_b32_e32 v16, v12, v16, vcc
	v_cmp_nlt_f32_e32 vcc, s12, v15
	v_cndmask_b32_e32 v17, v12, v17, vcc
	v_cmp_le_f32_e32 vcc, s13, v13
	v_cndmask_b32_e32 v16, 0, v16, vcc
	v_cmp_le_f32_e32 vcc, s13, v15
	v_cndmask_b32_e32 v15, 0, v17, vcc
	v_mul_f32_e32 v13, s5, v15
	v_fmac_f32_e32 v13, v6, v16
	s_waitcnt vmcnt(0)
	v_mul_f32_e32 v14, v14, v15
	v_fmac_f32_e32 v14, v5, v16
	s_cbranch_execnz .LBB61_19
.LBB61_18:
	s_add_i32 s11, s8, -1
	s_mov_b64 s[0:1], 0
	v_mov_b32_e32 v0, v8
	v_mov_b32_e32 v13, v6
	;; [unrolled: 1-line block ×3, first 2 shown]
	s_waitcnt vmcnt(0)
	v_mov_b32_e32 v14, v5
.LBB61_19:
	s_andn2_b64 vcc, exec, s[0:1]
	s_cbranch_vccz .LBB61_23
; %bb.20:
	v_mov_b32_e32 v8, v0
	s_mov_b32 s8, s11
	v_mov_b32_e32 v6, v13
	v_mov_b32_e32 v7, v1
	s_waitcnt vmcnt(0)
	v_mov_b32_e32 v5, v14
	s_mul_hi_i32 s11, s8, s15
	s_cmp_lg_u64 s[10:11], 0
	s_mul_i32 s4, s8, s15
	s_cbranch_scc1 .LBB61_9
	s_branch .LBB61_15
.LBB61_21:
                                        ; implicit-def: $sgpr20_sgpr21
	s_load_dwordx4 s[16:19], s[4:5], 0x44
	s_branch .LBB61_2
.LBB61_22:
                                        ; implicit-def: $vgpr2_vgpr3
	s_branch .LBB61_5
.LBB61_23:
	v_div_scale_f32 v0, s[0:1], v13, v13, v14
	v_rcp_f32_e32 v1, v0
	v_div_scale_f32 v4, vcc, v14, v13, v14
	s_waitcnt vmcnt(0)
	v_fma_f32 v5, -v0, v1, 1.0
	v_fmac_f32_e32 v1, v5, v1
	v_mul_f32_e32 v5, v4, v1
	v_fma_f32 v6, -v0, v5, v4
	v_fmac_f32_e32 v5, v6, v1
	v_fma_f32 v0, -v0, v5, v4
	v_div_fmas_f32 v0, v0, v1, v5
	v_div_fixup_f32 v0, v0, v13, v14
	global_store_dword v[2:3], v0, off
.LBB61_24:
	s_endpgm
	.section	.rodata,"a",@progbits
	.p2align	6, 0x0
	.amdhsa_kernel _ZL33flash_attn_stream_k_fixup_generalILi64ELi16ELi1EEvPfPK15HIP_vector_typeIfLj2EEiiiiS1_IjLj3EES5_S5_S5_
		.amdhsa_group_segment_fixed_size 0
		.amdhsa_private_segment_fixed_size 0
		.amdhsa_kernarg_size 336
		.amdhsa_user_sgpr_count 6
		.amdhsa_user_sgpr_private_segment_buffer 1
		.amdhsa_user_sgpr_dispatch_ptr 0
		.amdhsa_user_sgpr_queue_ptr 0
		.amdhsa_user_sgpr_kernarg_segment_ptr 1
		.amdhsa_user_sgpr_dispatch_id 0
		.amdhsa_user_sgpr_flat_scratch_init 0
		.amdhsa_user_sgpr_kernarg_preload_length 0
		.amdhsa_user_sgpr_kernarg_preload_offset 0
		.amdhsa_user_sgpr_private_segment_size 0
		.amdhsa_uses_dynamic_stack 0
		.amdhsa_system_sgpr_private_segment_wavefront_offset 0
		.amdhsa_system_sgpr_workgroup_id_x 1
		.amdhsa_system_sgpr_workgroup_id_y 1
		.amdhsa_system_sgpr_workgroup_id_z 1
		.amdhsa_system_sgpr_workgroup_info 0
		.amdhsa_system_vgpr_workitem_id 0
		.amdhsa_next_free_vgpr 22
		.amdhsa_next_free_sgpr 32
		.amdhsa_accum_offset 24
		.amdhsa_reserve_vcc 1
		.amdhsa_reserve_flat_scratch 0
		.amdhsa_float_round_mode_32 0
		.amdhsa_float_round_mode_16_64 0
		.amdhsa_float_denorm_mode_32 3
		.amdhsa_float_denorm_mode_16_64 3
		.amdhsa_dx10_clamp 1
		.amdhsa_ieee_mode 1
		.amdhsa_fp16_overflow 0
		.amdhsa_tg_split 0
		.amdhsa_exception_fp_ieee_invalid_op 0
		.amdhsa_exception_fp_denorm_src 0
		.amdhsa_exception_fp_ieee_div_zero 0
		.amdhsa_exception_fp_ieee_overflow 0
		.amdhsa_exception_fp_ieee_underflow 0
		.amdhsa_exception_fp_ieee_inexact 0
		.amdhsa_exception_int_div_zero 0
	.end_amdhsa_kernel
	.section	.text._ZL33flash_attn_stream_k_fixup_generalILi64ELi16ELi1EEvPfPK15HIP_vector_typeIfLj2EEiiiiS1_IjLj3EES5_S5_S5_,"axG",@progbits,_ZL33flash_attn_stream_k_fixup_generalILi64ELi16ELi1EEvPfPK15HIP_vector_typeIfLj2EEiiiiS1_IjLj3EES5_S5_S5_,comdat
.Lfunc_end61:
	.size	_ZL33flash_attn_stream_k_fixup_generalILi64ELi16ELi1EEvPfPK15HIP_vector_typeIfLj2EEiiiiS1_IjLj3EES5_S5_S5_, .Lfunc_end61-_ZL33flash_attn_stream_k_fixup_generalILi64ELi16ELi1EEvPfPK15HIP_vector_typeIfLj2EEiiiiS1_IjLj3EES5_S5_S5_
                                        ; -- End function
	.section	.AMDGPU.csdata,"",@progbits
; Kernel info:
; codeLenInByte = 2816
; NumSgprs: 36
; NumVgprs: 22
; NumAgprs: 0
; TotalNumVgprs: 22
; ScratchSize: 0
; MemoryBound: 0
; FloatMode: 240
; IeeeMode: 1
; LDSByteSize: 0 bytes/workgroup (compile time only)
; SGPRBlocks: 4
; VGPRBlocks: 2
; NumSGPRsForWavesPerEU: 36
; NumVGPRsForWavesPerEU: 22
; AccumOffset: 24
; Occupancy: 8
; WaveLimiterHint : 0
; COMPUTE_PGM_RSRC2:SCRATCH_EN: 0
; COMPUTE_PGM_RSRC2:USER_SGPR: 6
; COMPUTE_PGM_RSRC2:TRAP_HANDLER: 0
; COMPUTE_PGM_RSRC2:TGID_X_EN: 1
; COMPUTE_PGM_RSRC2:TGID_Y_EN: 1
; COMPUTE_PGM_RSRC2:TGID_Z_EN: 1
; COMPUTE_PGM_RSRC2:TIDIG_COMP_CNT: 0
; COMPUTE_PGM_RSRC3_GFX90A:ACCUM_OFFSET: 5
; COMPUTE_PGM_RSRC3_GFX90A:TG_SPLIT: 0
	.section	.text._ZL15flash_attn_tileILi64ELi64ELi8ELi1ELb0EEvPKcS1_S1_S1_S1_PKiPfP15HIP_vector_typeIfLj2EEffffjfiS5_IjLj3EEiiiiiiiiiiiliiliiiiil,"axG",@progbits,_ZL15flash_attn_tileILi64ELi64ELi8ELi1ELb0EEvPKcS1_S1_S1_S1_PKiPfP15HIP_vector_typeIfLj2EEffffjfiS5_IjLj3EEiiiiiiiiiiiliiliiiiil,comdat
	.globl	_ZL15flash_attn_tileILi64ELi64ELi8ELi1ELb0EEvPKcS1_S1_S1_S1_PKiPfP15HIP_vector_typeIfLj2EEffffjfiS5_IjLj3EEiiiiiiiiiiiliiliiiiil ; -- Begin function _ZL15flash_attn_tileILi64ELi64ELi8ELi1ELb0EEvPKcS1_S1_S1_S1_PKiPfP15HIP_vector_typeIfLj2EEffffjfiS5_IjLj3EEiiiiiiiiiiiliiliiiiil
	.p2align	8
	.type	_ZL15flash_attn_tileILi64ELi64ELi8ELi1ELb0EEvPKcS1_S1_S1_S1_PKiPfP15HIP_vector_typeIfLj2EEffffjfiS5_IjLj3EEiiiiiiiiiiiliiliiiiil,@function
_ZL15flash_attn_tileILi64ELi64ELi8ELi1ELb0EEvPKcS1_S1_S1_S1_PKiPfP15HIP_vector_typeIfLj2EEffffjfiS5_IjLj3EEiiiiiiiiiiiliiliiiiil: ; @_ZL15flash_attn_tileILi64ELi64ELi8ELi1ELb0EEvPKcS1_S1_S1_S1_PKiPfP15HIP_vector_typeIfLj2EEffffjfiS5_IjLj3EEiiiiiiiiiiiliiliiiiil
; %bb.0:
	s_load_dwordx4 s[36:39], s[4:5], 0x5c
	s_load_dwordx2 s[14:15], s[4:5], 0x80
	s_add_u32 flat_scratch_lo, s6, s11
	s_addc_u32 flat_scratch_hi, s7, 0
	s_add_u32 s0, s0, s11
	s_waitcnt lgkmcnt(0)
	v_cvt_f32_u32_e32 v1, s39
	s_addc_u32 s1, s1, 0
	s_sub_i32 s6, 0, s39
	s_load_dwordx16 s[16:31], s[4:5], 0x0
	v_rcp_iflag_f32_e32 v1, v1
	s_load_dwordx2 s[46:47], s[4:5], 0xb8
	s_mov_b64 s[44:45], 0
	v_mul_f32_e32 v1, 0x4f7ffffe, v1
	v_cvt_u32_f32_e32 v1, v1
	v_readfirstlane_b32 s7, v1
	s_mul_i32 s6, s6, s7
	s_mul_hi_u32 s6, s7, s6
	s_add_i32 s7, s7, s6
	s_mul_hi_u32 s6, s10, s7
	s_mul_i32 s7, s6, s39
	s_sub_i32 s7, s10, s7
	s_add_i32 s11, s6, 1
	s_sub_i32 s12, s7, s39
	s_cmp_ge_u32 s7, s39
	s_cselect_b32 s6, s11, s6
	s_cselect_b32 s7, s12, s7
	s_add_i32 s11, s6, 1
	s_cmp_ge_u32 s7, s39
	s_cselect_b32 s33, s11, s6
	s_abs_i32 s6, s15
	v_cvt_f32_u32_e32 v1, s6
	s_mul_i32 s12, s33, s39
	s_sub_i32 s13, 0, s6
	s_sub_i32 s34, s10, s12
	v_rcp_iflag_f32_e32 v1, v1
	s_abs_i32 s11, s39
	s_xor_b32 s7, s39, s15
	s_ashr_i32 s7, s7, 31
	v_mul_f32_e32 v1, 0x4f7ffffe, v1
	v_cvt_u32_f32_e32 v1, v1
	v_readfirstlane_b32 s10, v1
	s_mul_i32 s13, s13, s10
	s_mul_hi_u32 s12, s10, s13
	s_add_i32 s10, s10, s12
	s_mul_hi_u32 s10, s11, s10
	s_mul_i32 s12, s10, s6
	s_sub_i32 s11, s11, s12
	s_add_i32 s13, s10, 1
	s_sub_i32 s12, s11, s6
	s_cmp_ge_u32 s11, s6
	s_cselect_b32 s10, s13, s10
	s_cselect_b32 s11, s12, s11
	s_add_i32 s12, s10, 1
	s_cmp_ge_u32 s11, s6
	s_cselect_b32 s6, s12, s10
	s_xor_b32 s6, s6, s7
	s_sub_i32 s49, s6, s7
	s_abs_i32 s15, s49
	v_cvt_f32_u32_e32 v1, s15
	s_sub_i32 s6, 0, s15
	s_abs_i32 s48, s34
	v_rcp_iflag_f32_e32 v1, v1
	v_mul_f32_e32 v1, 0x4f7ffffe, v1
	v_cvt_u32_f32_e32 v1, v1
	v_readfirstlane_b32 s7, v1
	s_mul_i32 s6, s6, s7
	s_mul_hi_u32 s6, s7, s6
	s_add_i32 s6, s7, s6
	s_waitcnt lgkmcnt(0)
	s_cmp_eq_u64 s[22:23], 0
	s_cbranch_scc1 .LBB62_2
; %bb.1:
	s_abs_i32 s7, s46
	v_cvt_f32_u32_e32 v1, s7
	s_sub_i32 s35, 0, s7
	s_abs_i32 s13, s33
	s_ashr_i32 s12, s33, 31
	v_rcp_iflag_f32_e32 v1, v1
	s_load_dwordx2 s[10:11], s[4:5], 0xc8
	v_mul_f32_e32 v1, 0x4f7ffffe, v1
	v_cvt_u32_f32_e32 v1, v1
	v_readfirstlane_b32 s40, v1
	s_mul_i32 s35, s35, s40
	s_mul_hi_u32 s35, s40, s35
	s_add_i32 s40, s40, s35
	s_mul_hi_u32 s35, s13, s40
	s_mul_i32 s35, s35, s7
	s_sub_i32 s13, s13, s35
	s_sub_i32 s35, s13, s7
	s_cmp_ge_u32 s13, s7
	s_cselect_b32 s13, s35, s13
	s_sub_i32 s35, s13, s7
	s_cmp_ge_u32 s13, s7
	s_cselect_b32 s7, s35, s13
	s_xor_b32 s7, s7, s12
	s_sub_i32 s7, s7, s12
	s_ashr_i32 s12, s7, 31
	s_waitcnt lgkmcnt(0)
	s_mul_i32 s11, s7, s11
	s_mul_hi_u32 s13, s7, s10
	s_add_i32 s11, s13, s11
	s_mul_i32 s12, s12, s10
	s_add_i32 s11, s11, s12
	s_mul_i32 s7, s7, s10
	s_add_u32 s44, s22, s7
	s_addc_u32 s45, s23, s11
.LBB62_2:
	s_load_dwordx4 s[40:43], s[4:5], 0x40
	s_mul_hi_u32 s46, s48, s6
	s_load_dword s6, s[4:5], 0x50
	v_mov_b32_e32 v23, 1.0
	s_waitcnt lgkmcnt(0)
	v_cmp_le_f32_e64 s[10:11], s41, 0
	s_and_b64 vcc, exec, s[10:11]
	s_cbranch_vccnz .LBB62_4
; %bb.3:
	s_sub_i32 s7, s34, s6
	s_lshl_b32 s7, s7, 1
	s_add_i32 s10, s34, 1
	s_or_b32 s11, s7, 1
	s_cmp_lt_u32 s34, s6
	s_cselect_b64 vcc, -1, 0
	s_and_b64 s[6:7], vcc, exec
	v_mov_b32_e32 v1, s43
	v_mov_b32_e32 v2, s42
	s_cselect_b32 s6, s10, s11
	v_cndmask_b32_e32 v18, v1, v2, vcc
	v_cvt_f32_i32_e32 v1, s6
	v_cmp_neq_f32_e32 vcc, 1.0, v18
	s_mov_b32 s6, 0x3f2aaaab
	s_movk_i32 s10, 0x204
	v_cndmask_b32_e32 v19, 1.0, v1, vcc
	v_cmp_eq_f32_e32 vcc, 0, v19
	v_cndmask_b32_e64 v20, |v18|, 1.0, vcc
	v_frexp_mant_f32_e32 v1, v20
	v_cmp_gt_f32_e64 s[6:7], s6, v1
	v_cndmask_b32_e64 v2, 1.0, 2.0, s[6:7]
	v_mul_f32_e32 v1, v1, v2
	v_add_f32_e32 v2, 1.0, v1
	v_rcp_f32_e32 v10, v2
	v_add_f32_e32 v3, -1.0, v2
	v_sub_f32_e32 v5, v1, v3
	v_add_f32_e32 v3, -1.0, v1
	v_mul_f32_e32 v1, v3, v10
	v_mul_f32_e32 v4, v2, v1
	v_fma_f32 v6, v1, v2, -v4
	v_fmac_f32_e32 v6, v1, v5
	v_add_f32_e32 v2, v4, v6
	v_sub_f32_e32 v5, v3, v2
	v_pk_add_f32 v[8:9], v[2:3], v[4:5] neg_lo:[0,1] neg_hi:[0,1]
	v_mov_b32_e32 v7, v2
	v_pk_add_f32 v[2:3], v[8:9], v[6:7] neg_lo:[0,1] neg_hi:[0,1]
	v_add_f32_e32 v2, v2, v3
	v_add_f32_e32 v2, v5, v2
	v_mul_f32_e32 v3, v10, v2
	v_add_f32_e32 v2, v1, v3
	v_sub_f32_e32 v1, v2, v1
	v_sub_f32_e32 v1, v3, v1
	v_mul_f32_e32 v3, v2, v2
	v_fma_f32 v5, v2, v2, -v3
	v_add_f32_e32 v4, v1, v1
	v_fmac_f32_e32 v5, v2, v4
	v_add_f32_e32 v4, v3, v5
	v_mov_b32_e32 v6, 0x3e91f4c4
	v_fmac_f32_e32 v6, 0x3e76c4e1, v4
	v_mov_b32_e32 v7, 0x3ecccdef
	v_fmac_f32_e32 v7, v4, v6
	v_sub_f32_e32 v3, v4, v3
	v_sub_f32_e32 v12, v5, v3
	v_mul_f32_e32 v3, v4, v7
	v_fma_f32 v5, v4, v7, -v3
	v_fmac_f32_e32 v5, v12, v7
	v_add_f32_e32 v6, v3, v5
	v_add_f32_e32 v7, 0x3f2aaaaa, v6
	v_sub_f32_e32 v3, v6, v3
	v_sub_f32_e32 v3, v5, v3
	v_add_f32_e32 v5, 0xbf2aaaaa, v7
	v_add_f32_e32 v3, 0x31739010, v3
	v_sub_f32_e32 v5, v6, v5
	v_pk_mul_f32 v[8:9], v[2:3], v[4:5]
	v_fma_f32 v6, v4, v2, -v8
	v_pk_add_f32 v[10:11], v[2:3], v[4:5]
	v_fmac_f32_e32 v6, v4, v1
	v_mov_b32_e32 v9, v11
	v_fmac_f32_e32 v6, v12, v2
	v_pk_add_f32 v[4:5], v[8:9], v[6:7]
	v_sub_f32_e32 v3, v4, v8
	v_sub_f32_e32 v3, v6, v3
	;; [unrolled: 1-line block ×3, first 2 shown]
	v_add_f32_e32 v9, v11, v6
	v_mov_b32_e32 v6, v5
	v_pk_mul_f32 v[6:7], v[4:5], v[6:7]
	v_cvt_f64_f32_e32 v[10:11], v20
	v_frexp_exp_i32_f64_e32 v7, v[10:11]
	v_subbrev_co_u32_e64 v7, s[6:7], 0, v7, s[6:7]
	v_cvt_f32_i32_e32 v7, v7
	v_fma_f32 v8, v4, v5, -v6
	v_fmac_f32_e32 v8, v4, v9
	s_mov_b32 s6, 0x3f317218
	v_mul_f32_e32 v4, 0x3f317218, v7
	v_fmac_f32_e32 v8, v3, v5
	v_fma_f32 v10, v7, s6, -v4
	v_fmac_f32_e32 v10, 0xb102e308, v7
	v_ldexp_f32 v11, v2, 1
	v_add_f32_e32 v5, v6, v8
	v_pk_add_f32 v[2:3], v[4:5], v[10:11]
	v_mov_b32_e32 v12, v5
	v_mov_b32_e32 v13, v3
	;; [unrolled: 1-line block ×3, first 2 shown]
	v_pk_add_f32 v[6:7], v[12:13], v[6:7] neg_lo:[0,1] neg_hi:[0,1]
	v_mov_b32_e32 v9, v5
	v_ldexp_f32 v1, v1, 1
	v_pk_add_f32 v[6:7], v[8:9], v[6:7] neg_lo:[0,1] neg_hi:[0,1]
	v_add_f32_e32 v1, v1, v6
	v_add_f32_e32 v5, v1, v7
	v_pk_add_f32 v[6:7], v[2:3], v[4:5] neg_lo:[0,1] neg_hi:[0,1]
	v_pk_add_f32 v[8:9], v[2:3], v[4:5]
	v_mov_b32_e32 v12, v6
	v_mov_b32_e32 v13, v9
	v_mov_b32_e32 v11, v2
	v_pk_add_f32 v[12:13], v[10:11], v[12:13]
	v_mov_b32_e32 v4, v13
	v_pk_add_f32 v[14:15], v[4:5], v[2:3] neg_lo:[0,1] neg_hi:[0,1]
	v_mov_b32_e32 v1, v14
	v_mov_b32_e32 v12, v9
	;; [unrolled: 1-line block ×4, first 2 shown]
	v_pk_add_f32 v[6:7], v[10:11], v[6:7] neg_lo:[0,1] neg_hi:[0,1]
	v_pk_add_f32 v[16:17], v[8:9], v[0:1] neg_lo:[0,1] neg_hi:[0,1]
	v_pk_add_f32 v[2:3], v[12:13], v[2:3] neg_lo:[0,1] neg_hi:[0,1]
	v_mov_b32_e32 v10, v5
	v_pk_add_f32 v[2:3], v[10:11], v[2:3] neg_lo:[0,1] neg_hi:[0,1]
	v_mov_b32_e32 v16, v6
	v_pk_add_f32 v[8:9], v[16:17], v[2:3]
	v_mov_b32_e32 v10, v9
	v_pk_add_f32 v[10:11], v[8:9], v[10:11]
	v_pk_add_f32 v[4:5], v[4:5], v[10:11]
	v_mov_b32_e32 v7, v13
	v_mov_b32_e32 v9, v4
	v_pk_add_f32 v[12:13], v[8:9], v[6:7] neg_lo:[0,1] neg_hi:[0,1]
	v_mov_b32_e32 v3, v10
	v_sub_f32_e32 v1, v8, v12
	v_pk_add_f32 v[2:3], v[2:3], v[12:13] neg_lo:[0,1] neg_hi:[0,1]
	v_sub_f32_e32 v1, v6, v1
	v_add_f32_e32 v1, v2, v1
	v_add_f32_e32 v1, v1, v3
	;; [unrolled: 1-line block ×3, first 2 shown]
	v_sub_f32_e32 v3, v2, v4
	v_sub_f32_e32 v1, v1, v3
	v_mul_f32_e32 v3, v19, v2
	v_fma_f32 v2, v19, v2, -v3
	v_fmac_f32_e32 v2, v19, v1
	v_add_f32_e32 v1, v3, v2
	v_cmp_class_f32_e64 s[6:7], v3, s10
	v_sub_f32_e32 v4, v1, v3
	v_cndmask_b32_e64 v1, v1, v3, s[6:7]
	s_mov_b32 s12, 0x42b17218
	v_mov_b32_e32 v3, 0x37000000
	v_cmp_eq_f32_e64 s[6:7], s12, v1
	v_cndmask_b32_e64 v3, 0, v3, s[6:7]
	v_sub_f32_e32 v2, v2, v4
	v_sub_f32_e32 v4, v1, v3
	s_mov_b32 s6, 0x3fb8aa3b
	v_mul_f32_e32 v5, 0x3fb8aa3b, v4
	v_fma_f32 v6, v4, s6, -v5
	v_rndne_f32_e32 v7, v5
	v_fmac_f32_e32 v6, 0x32a5705f, v4
	v_sub_f32_e32 v5, v5, v7
	v_add_f32_e32 v5, v5, v6
	v_exp_f32_e32 v5, v5
	v_cvt_i32_f32_e32 v6, v7
	s_mov_b32 s11, 0x7f800000
	v_cmp_neq_f32_e64 s[6:7], |v1|, s11
	v_cndmask_b32_e64 v1, 0, v2, s[6:7]
	s_mov_b32 s6, 0xc2ce8ed0
	v_ldexp_f32 v2, v5, v6
	v_cmp_ngt_f32_e64 s[6:7], s6, v4
	v_add_f32_e32 v1, v3, v1
	v_cndmask_b32_e64 v2, 0, v2, s[6:7]
	v_mov_b32_e32 v3, 0x7f800000
	v_cmp_nlt_f32_e64 s[6:7], s12, v4
	v_cndmask_b32_e64 v2, v3, v2, s[6:7]
	v_fma_f32 v1, v2, v1, v2
	v_cmp_class_f32_e64 s[6:7], v2, s10
	v_trunc_f32_e32 v4, v19
	v_cndmask_b32_e64 v1, v1, v2, s[6:7]
	v_cndmask_b32_e64 v2, v18, 1.0, vcc
	v_cmp_eq_f32_e32 vcc, v4, v19
	v_mul_f32_e32 v4, 0.5, v19
	v_trunc_f32_e32 v6, v4
	v_cmp_neq_f32_e64 s[6:7], v6, v4
	s_and_b64 s[6:7], vcc, s[6:7]
	v_cndmask_b32_e64 v4, 1.0, v2, s[6:7]
	s_brev_b32 s22, -2
	v_mov_b32_e32 v5, 0x7fc00000
	v_bfi_b32 v1, s22, v1, v4
	v_cndmask_b32_e32 v4, v5, v1, vcc
	v_cmp_gt_f32_e32 vcc, 0, v2
	v_cndmask_b32_e32 v1, v1, v4, vcc
	v_cmp_eq_f32_e32 vcc, s11, v20
	v_cmp_eq_f32_e64 s[10:11], 0, v2
	v_cmp_gt_f32_e64 s[12:13], 0, v19
	s_xor_b64 s[12:13], s[12:13], s[10:11]
	v_cndmask_b32_e64 v3, v3, 0, s[12:13]
	v_cndmask_b32_e64 v4, 0, v2, s[6:7]
	v_bfi_b32 v3, s22, v3, v4
	s_or_b64 vcc, vcc, s[10:11]
	v_cndmask_b32_e32 v1, v1, v3, vcc
	v_cmp_o_f32_e32 vcc, v2, v2
	v_cndmask_b32_e32 v23, v5, v1, vcc
.LBB62_4:
	s_load_dwordx4 s[52:55], s[4:5], 0x70
	s_ashr_i32 s35, s34, 31
	s_ashr_i32 s6, s49, 31
	s_lshl_b32 s22, s8, 3
	v_bfe_u32 v22, v0, 10, 10
	s_waitcnt lgkmcnt(0)
	s_mul_i32 s7, s33, s54
	s_ashr_i32 s11, s7, 31
	s_mul_i32 s10, s34, s53
	s_add_u32 s7, s16, s7
	s_addc_u32 s11, s17, s11
	s_ashr_i32 s12, s10, 31
	v_lshlrev_b32_e32 v16, 1, v22
	v_and_b32_e32 v17, 0x3ff, v0
	s_add_u32 s7, s7, s10
	v_lshlrev_b32_e32 v0, 3, v17
	v_add_u32_e32 v18, s22, v16
	v_add_co_u32_e32 v6, vcc, s7, v0
	v_mul_hi_u32 v0, v18, s36
	v_add_u32_e32 v0, v18, v0
	v_lshrrev_b32_e32 v0, s37, v0
	v_mul_lo_u32 v0, v0, s38
	s_addc_u32 s10, s11, s12
	s_ashr_i32 s12, s52, 31
	v_sub_u32_e32 v24, v18, v0
	v_mov_b32_e32 v0, s52
	v_mov_b32_e32 v1, s10
	v_alignbit_b32 v4, s12, v0, 2
	v_addc_co_u32_e32 v7, vcc, 0, v1, vcc
	v_mad_u64_u32 v[0:1], s[10:11], v4, v24, 0
	v_mov_b32_e32 v2, v1
	s_lshr_b32 s7, s12, 2
	v_or_b32_e32 v14, 1, v16
	v_mad_u64_u32 v[2:3], s[10:11], s7, v24, v[2:3]
	v_add_u32_e32 v15, s22, v14
	v_mov_b32_e32 v1, v2
	v_mul_hi_u32 v2, v15, s36
	v_add_u32_e32 v2, v15, v2
	v_lshrrev_b32_e32 v2, s37, v2
	v_mul_lo_u32 v2, v2, s38
	v_sub_u32_e32 v5, v15, v2
	v_mad_u64_u32 v[2:3], s[10:11], v4, v5, 0
	v_mov_b32_e32 v4, v3
	v_lshlrev_b64 v[0:1], 2, v[0:1]
	v_mad_u64_u32 v[4:5], s[10:11], s7, v5, v[4:5]
	v_add_co_u32_e32 v0, vcc, v6, v0
	v_mov_b32_e32 v3, v4
	v_addc_co_u32_e32 v1, vcc, v7, v1, vcc
	v_lshlrev_b64 v[2:3], 2, v[2:3]
	v_add_co_u32_e32 v2, vcc, v6, v2
	v_addc_co_u32_e32 v3, vcc, v7, v3, vcc
	global_load_dwordx2 v[4:5], v[0:1], off
	global_load_dwordx2 v[6:7], v[2:3], off
	v_lshlrev_b32_e32 v0, 6, v22
	v_add_lshl_u32 v0, v0, v17, 2
	v_lshlrev_b32_e32 v1, 5, v14
	s_cmp_eq_u64 s[26:27], 0
	v_add_lshl_u32 v1, v1, v17, 2
	s_waitcnt vmcnt(1)
	v_fma_mixlo_f16 v2, v4, s40, 0
	s_waitcnt vmcnt(0)
	v_fma_mixlo_f16 v3, v6, s40, 0
	v_fma_mixhi_f16 v2, v5, s40, 0
	v_fma_mixhi_f16 v3, v7, s40, 0
	ds_write_b32 v0, v2 offset:4608
	ds_write_b32 v1, v3 offset:4608
	s_waitcnt lgkmcnt(0)
	s_barrier
	s_cbranch_scc1 .LBB62_6
; %bb.5:
	s_load_dword s7, s[4:5], 0xd0
	s_mov_b32 s11, 0
	s_waitcnt lgkmcnt(0)
	s_mul_i32 s7, s7, s33
	s_add_i32 s10, s7, s8
	s_lshl_b64 s[10:11], s[10:11], 2
	s_add_u32 s10, s26, s10
	s_addc_u32 s11, s27, s11
	s_load_dword s14, s[10:11], 0x0
.LBB62_6:
	s_nop 0
	s_load_dwordx2 s[10:11], s[4:5], 0x8c
	s_load_dwordx4 s[40:43], s[4:5], 0x98
	s_load_dwordx2 s[16:17], s[4:5], 0xa8
	s_ashr_i32 s7, s33, 31
	s_ashr_i32 s23, s47, 1
	s_waitcnt lgkmcnt(0)
	s_ashr_i32 s12, s10, 2
	s_mul_i32 s10, s33, s41
	s_mul_hi_u32 s13, s33, s40
	s_add_i32 s10, s13, s10
	s_mul_i32 s13, s7, s40
	s_ashr_i32 s8, s42, 2
	s_add_i32 s10, s10, s13
	s_mul_i32 s13, s33, s40
	s_add_u32 s13, s18, s13
	s_mul_i32 s18, s46, s15
	s_addc_u32 s10, s19, s10
	s_sub_i32 s18, s48, s18
	s_xor_b32 s6, s35, s6
	s_add_i32 s19, s46, 1
	s_sub_i32 s26, s18, s15
	s_cmp_ge_u32 s18, s15
	s_cselect_b32 s19, s19, s46
	s_cselect_b32 s18, s26, s18
	s_add_i32 s26, s19, 1
	s_cmp_ge_u32 s18, s15
	s_cselect_b32 s15, s26, s19
	s_xor_b32 s15, s15, s6
	s_sub_i32 s6, s15, s6
	s_mul_i32 s11, s6, s11
	s_ashr_i32 s15, s11, 31
	s_add_u32 s13, s13, s11
	s_addc_u32 s15, s10, s15
	s_mul_i32 s10, s33, s17
	s_mul_hi_u32 s11, s33, s16
	s_add_i32 s10, s11, s10
	s_mul_i32 s7, s7, s16
	s_add_i32 s10, s10, s7
	s_mul_i32 s7, s33, s16
	s_add_u32 s7, s20, s7
	s_mul_i32 s6, s6, s43
	s_addc_u32 s10, s21, s10
	s_ashr_i32 s11, s6, 31
	s_add_u32 s18, s7, s6
	s_addc_u32 s19, s10, s11
	s_lshl_b32 s20, s9, 5
	s_sub_i32 s16, s14, 32
	s_mov_b32 s6, 0xfeffffff
	s_cmp_ge_i32 s20, s16
	v_mov_b32_e32 v3, 0
	v_mov_b32_e32 v20, 0
	v_lshrrev_b32_e32 v26, 3, v17
	v_lshlrev_b32_e32 v21, 2, v17
	v_mbcnt_lo_u32_b32 v25, -1, 0
	s_cbranch_scc1 .LBB62_14
; %bb.7:
	v_mov_b32_e32 v3, 0x1200
	v_lshl_add_u32 v30, v22, 8, v3
	v_or_b32_e32 v3, 1, v18
	v_mul_hi_u32 v8, s36, v3
	v_add_u32_e32 v8, v3, v8
	v_lshrrev_b32_e32 v8, s37, v8
	v_lshl_add_u32 v0, v22, 2, v26
	v_and_b32_e32 v2, 28, v21
	v_mul_lo_u32 v8, v8, s38
	v_lshlrev_b32_e32 v1, 2, v2
	s_movk_i32 s6, 0x90
	v_mul_lo_u32 v4, s12, v0
	s_cmp_lg_u64 s[44:45], 0
	v_sub_u32_e32 v3, v3, v8
	v_mul_lo_u32 v8, s8, v0
	v_mad_u32_u24 v27, v0, s6, v1
	v_lshl_add_u32 v6, s12, 4, v4
	v_mul_lo_u32 v32, v3, s23
	v_mov_b32_e32 v3, 0x1600
	v_lshl_add_u32 v10, s8, 4, v8
	s_cselect_b64 s[6:7], -1, 0
	v_mov_b32_e32 v19, 0
	v_ashrrev_i32_e32 v5, 31, v4
	v_ashrrev_i32_e32 v7, 31, v6
	v_lshl_add_u32 v33, v22, 7, v3
	v_lshl_or_b32 v34, v0, 7, v1
	v_ashrrev_i32_e32 v9, 31, v8
	v_ashrrev_i32_e32 v11, 31, v10
	s_add_u32 s10, s4, 0xd0
	v_mov_b32_e32 v0, 0xfeffffff
	v_cndmask_b32_e64 v1, 0, 1, s[6:7]
	v_add_u32_e32 v28, 0x900, v27
	v_mul_u32_u24_e32 v29, 0x90, v17
	v_mul_lo_u32 v31, v24, s23
	v_add_u32_e32 v35, 0x800, v34
	s_addc_u32 s11, s5, 0
	v_lshlrev_b64 v[4:5], 2, v[4:5]
	v_lshlrev_b32_e32 v36, 2, v2
	v_lshlrev_b64 v[6:7], 2, v[6:7]
	v_mbcnt_hi_u32_b32 v37, -1, v25
	s_mov_b32 s17, 0x3fb8aa3b
	s_mov_b32 s21, 0xc2ce8ed0
	;; [unrolled: 1-line block ×3, first 2 shown]
	v_add_u32_e32 v38, v33, v21
	v_lshlrev_b64 v[8:9], 2, v[8:9]
	v_lshlrev_b64 v[10:11], 2, v[10:11]
	v_cmp_ne_u32_e64 s[6:7], 1, v1
	v_mov_b32_e32 v39, 0x7f800000
	v_mov_b32_e32 v20, 0
	;; [unrolled: 1-line block ×5, first 2 shown]
	s_branch .LBB62_10
.LBB62_8:                               ;   in Loop: Header=BB62_10 Depth=1
	v_add_u32_e32 v48, v45, v32
	v_ashrrev_i32_e32 v49, 31, v48
	v_lshlrev_b64 v[48:49], 1, v[48:49]
	v_mov_b32_e32 v45, s45
	v_add_co_u32_e32 v48, vcc, s44, v48
	v_addc_co_u32_e32 v49, vcc, v45, v49, vcc
	flat_load_ushort v45, v[48:49]
	s_waitcnt vmcnt(0) lgkmcnt(0)
	v_cvt_f32_f16_e32 v45, v45
	v_mul_f32_e32 v45, v23, v45
.LBB62_9:                               ;   in Loop: Header=BB62_10 Depth=1
	v_add_f32_e32 v13, v13, v45
	v_add_f32_e32 v45, 0x40051340, v13
	v_max_f32_e32 v48, v1, v1
	v_max_f32_e32 v45, v48, v45
	ds_bpermute_b32 v46, v46, v45
	s_mul_hi_i32 s41, s20, s8
	s_mul_i32 s40, s20, s8
	s_lshl_b64 s[40:41], s[40:41], 2
	s_add_u32 s27, s18, s40
	s_waitcnt lgkmcnt(0)
	v_max_f32_e32 v46, v46, v46
	v_max_f32_e32 v45, v45, v46
	ds_bpermute_b32 v46, v47, v45
	s_addc_u32 s40, s19, s41
	s_waitcnt lgkmcnt(0)
	s_barrier
	v_max_f32_e32 v46, v46, v46
	v_max_f32_e32 v45, v45, v46
	ds_bpermute_b32 v44, v44, v45
	v_mov_b32_e32 v46, s40
	v_max_f32_e32 v40, v40, v40
	s_waitcnt lgkmcnt(0)
	v_max_f32_e32 v44, v44, v44
	v_max_f32_e32 v56, v45, v44
	v_add_co_u32_e32 v44, vcc, s27, v8
	v_addc_co_u32_e32 v45, vcc, v46, v9, vcc
	v_add_co_u32_e32 v52, vcc, v44, v36
	v_addc_co_u32_e32 v53, vcc, 0, v45, vcc
	v_mov_b32_e32 v44, s40
	v_add_co_u32_e32 v45, vcc, s27, v10
	v_addc_co_u32_e32 v44, vcc, v44, v11, vcc
	v_add_co_u32_e32 v54, vcc, v45, v36
	v_addc_co_u32_e32 v55, vcc, 0, v44, vcc
	global_load_dwordx4 v[44:47], v[52:53], off
	global_load_dwordx4 v[48:51], v[54:55], off
	ds_bpermute_b32 v43, v43, v56
	s_waitcnt lgkmcnt(0)
	v_max_f32_e32 v43, v43, v43
	v_max_f32_e32 v52, v56, v43
	ds_bpermute_b32 v53, v42, v52
	v_mov_b32_e32 v42, v0
	v_mov_b32_e32 v43, v1
	s_waitcnt lgkmcnt(0)
	v_max_f32_e32 v0, v53, v53
	v_max_f32_e32 v1, v52, v0
	;; [unrolled: 1-line block ×4, first 2 shown]
	v_pk_add_f32 v[12:13], v[12:13], v[0:1] neg_lo:[0,1] neg_hi:[0,1]
	v_mul_f32_e32 v40, 0x3fb8aa3b, v13
	v_fma_f32 v41, v13, s17, -v40
	v_rndne_f32_e32 v52, v40
	v_fmac_f32_e32 v41, 0x32a5705f, v13
	v_sub_f32_e32 v40, v40, v52
	v_add_f32_e32 v40, v40, v41
	v_exp_f32_e32 v40, v40
	v_cvt_i32_f32_e32 v41, v52
	v_cmp_ngt_f32_e32 vcc, s21, v13
	v_ldexp_f32 v40, v40, v41
	v_mul_f32_e32 v41, 0x3fb8aa3b, v12
	v_fma_f32 v52, v12, s17, -v41
	v_rndne_f32_e32 v53, v41
	v_fmac_f32_e32 v52, 0x32a5705f, v12
	v_sub_f32_e32 v41, v41, v53
	v_add_f32_e32 v41, v41, v52
	v_exp_f32_e32 v41, v41
	v_cvt_i32_f32_e32 v52, v53
	v_cndmask_b32_e32 v40, 0, v40, vcc
	v_cmp_nlt_f32_e32 vcc, s26, v13
	v_cndmask_b32_e32 v13, v39, v40, vcc
	v_ldexp_f32 v40, v41, v52
	v_cmp_ngt_f32_e32 vcc, s21, v12
	v_cndmask_b32_e32 v40, 0, v40, vcc
	v_cmp_nlt_f32_e32 vcc, s26, v12
	v_cndmask_b32_e32 v12, v39, v40, vcc
	v_pk_add_f32 v[40:41], v[42:43], v[0:1] neg_lo:[0,1] neg_hi:[0,1]
	v_mul_f32_e32 v42, 0x3fb8aa3b, v41
	v_fma_f32 v43, v41, s17, -v42
	v_rndne_f32_e32 v54, v42
	v_fmac_f32_e32 v43, 0x32a5705f, v41
	v_sub_f32_e32 v42, v42, v54
	v_add_f32_e32 v42, v42, v43
	v_exp_f32_e32 v42, v42
	v_cvt_i32_f32_e32 v43, v54
	v_cvt_f16_f32_e32 v52, v13
	v_cvt_f16_f32_e32 v53, v12
	v_cmp_ngt_f32_e32 vcc, s21, v41
	v_ldexp_f32 v42, v42, v43
	v_mul_f32_e32 v43, 0x3fb8aa3b, v40
	v_pack_b32_f16 v54, v53, v52
	v_fma_f32 v52, v40, s17, -v43
	v_rndne_f32_e32 v53, v43
	v_fmac_f32_e32 v52, 0x32a5705f, v40
	v_sub_f32_e32 v43, v43, v53
	v_add_f32_e32 v43, v43, v52
	v_exp_f32_e32 v43, v43
	v_cvt_i32_f32_e32 v52, v53
	v_cndmask_b32_e32 v42, 0, v42, vcc
	v_cmp_nlt_f32_e32 vcc, s26, v41
	v_cndmask_b32_e32 v53, v39, v42, vcc
	v_ldexp_f32 v41, v43, v52
	v_cmp_ngt_f32_e32 vcc, s21, v40
	v_cndmask_b32_e32 v41, 0, v41, vcc
	v_cmp_nlt_f32_e32 vcc, s26, v40
	v_cndmask_b32_e32 v52, v39, v41, vcc
	v_pk_fma_f32 v[2:3], v[2:3], v[52:53], v[12:13]
	ds_write_b32 v38, v54
	s_waitcnt vmcnt(1)
	ds_write_b128 v34, v[44:47]
	s_waitcnt vmcnt(0)
	ds_write_b128 v35, v[48:51]
	s_waitcnt lgkmcnt(0)
	s_barrier
	ds_read2_b32 v[12:13], v21 offset1:32
	ds_read_b128 v[40:43], v33
	v_cvt_f16_f32_e32 v56, v52
	v_cvt_f16_f32_e32 v58, v53
	ds_read_b128 v[44:47], v33 offset:16
	ds_read_b128 v[48:51], v33 offset:32
	ds_read_b128 v[52:55], v33 offset:48
	s_waitcnt lgkmcnt(3)
	v_pk_mul_f16 v57, v12, v40 op_sel_hi:[1,0]
	v_pk_fma_f16 v20, v56, v20, v57 op_sel_hi:[0,1,1]
	ds_read2_b32 v[56:57], v21 offset0:64 offset1:96
	v_pk_mul_f16 v12, v12, v40 op_sel:[0,1]
	v_pk_fma_f16 v12, v19, v58, v12 op_sel_hi:[1,0,1]
	v_pk_fma_f16 v19, v13, v41, v20 op_sel_hi:[1,0,1]
	v_pk_fma_f16 v20, v13, v41, v12 op_sel:[0,1,0]
	ds_read2_b32 v[12:13], v21 offset0:128 offset1:160
	s_waitcnt lgkmcnt(1)
	v_pk_fma_f16 v19, v56, v42, v19 op_sel_hi:[1,0,1]
	v_pk_fma_f16 v20, v56, v42, v20 op_sel:[0,1,0]
	v_pk_fma_f16 v19, v57, v43, v19 op_sel_hi:[1,0,1]
	v_pk_fma_f16 v20, v57, v43, v20 op_sel:[0,1,0]
	ds_read2_b32 v[40:41], v21 offset0:192 offset1:224
	s_waitcnt lgkmcnt(1)
	v_pk_fma_f16 v19, v12, v44, v19 op_sel_hi:[1,0,1]
	v_pk_fma_f16 v12, v12, v44, v20 op_sel:[0,1,0]
	v_add_u32_e32 v42, 0x400, v21
	v_pk_fma_f16 v19, v13, v45, v19 op_sel_hi:[1,0,1]
	v_pk_fma_f16 v20, v13, v45, v12 op_sel:[0,1,0]
	ds_read2_b32 v[12:13], v42 offset1:32
	s_waitcnt lgkmcnt(1)
	v_pk_fma_f16 v19, v40, v46, v19 op_sel_hi:[1,0,1]
	v_pk_fma_f16 v20, v40, v46, v20 op_sel:[0,1,0]
	v_pk_fma_f16 v19, v41, v47, v19 op_sel_hi:[1,0,1]
	v_pk_fma_f16 v20, v41, v47, v20 op_sel:[0,1,0]
	ds_read2_b32 v[40:41], v42 offset0:64 offset1:96
	s_waitcnt lgkmcnt(1)
	v_pk_fma_f16 v19, v12, v48, v19 op_sel_hi:[1,0,1]
	v_pk_fma_f16 v12, v12, v48, v20 op_sel:[0,1,0]
	v_pk_fma_f16 v19, v13, v49, v19 op_sel_hi:[1,0,1]
	v_pk_fma_f16 v20, v13, v49, v12 op_sel:[0,1,0]
	ds_read2_b32 v[12:13], v42 offset0:128 offset1:160
	ds_read2_b32 v[44:45], v42 offset0:192 offset1:224
	s_waitcnt lgkmcnt(2)
	v_pk_fma_f16 v19, v40, v50, v19 op_sel_hi:[1,0,1]
	v_pk_fma_f16 v20, v40, v50, v20 op_sel:[0,1,0]
	v_pk_fma_f16 v19, v41, v51, v19 op_sel_hi:[1,0,1]
	v_pk_fma_f16 v20, v41, v51, v20 op_sel:[0,1,0]
	s_waitcnt lgkmcnt(1)
	v_pk_fma_f16 v19, v12, v52, v19 op_sel_hi:[1,0,1]
	v_pk_fma_f16 v12, v12, v52, v20 op_sel:[0,1,0]
	v_pk_fma_f16 v12, v13, v53, v12 op_sel:[0,1,0]
	v_add_u32_e32 v50, 0x800, v21
	v_pk_fma_f16 v19, v13, v53, v19 op_sel_hi:[1,0,1]
	s_waitcnt lgkmcnt(0)
	v_pk_fma_f16 v20, v44, v54, v12 op_sel:[0,1,0]
	ds_read2_b32 v[12:13], v50 offset1:32
	ds_read_b128 v[40:43], v33 offset:64
	v_pk_fma_f16 v19, v44, v54, v19 op_sel_hi:[1,0,1]
	v_pk_fma_f16 v19, v45, v55, v19 op_sel_hi:[1,0,1]
	v_pk_fma_f16 v20, v45, v55, v20 op_sel:[0,1,0]
	ds_read2_b32 v[48:49], v50 offset0:64 offset1:96
	ds_read_b128 v[44:47], v33 offset:80
	s_waitcnt lgkmcnt(2)
	v_pk_fma_f16 v19, v12, v40, v19 op_sel_hi:[1,0,1]
	v_pk_fma_f16 v12, v12, v40, v20 op_sel:[0,1,0]
	v_pk_fma_f16 v19, v13, v41, v19 op_sel_hi:[1,0,1]
	v_pk_fma_f16 v20, v13, v41, v12 op_sel:[0,1,0]
	ds_read2_b32 v[12:13], v50 offset0:128 offset1:160
	s_waitcnt lgkmcnt(2)
	v_pk_fma_f16 v19, v48, v42, v19 op_sel_hi:[1,0,1]
	v_pk_fma_f16 v20, v48, v42, v20 op_sel:[0,1,0]
	v_pk_fma_f16 v19, v49, v43, v19 op_sel_hi:[1,0,1]
	v_pk_fma_f16 v20, v49, v43, v20 op_sel:[0,1,0]
	ds_read2_b32 v[48:49], v50 offset0:192 offset1:224
	s_waitcnt lgkmcnt(1)
	v_pk_fma_f16 v19, v12, v44, v19 op_sel_hi:[1,0,1]
	v_pk_fma_f16 v12, v12, v44, v20 op_sel:[0,1,0]
	v_add_u32_e32 v50, 0xc00, v21
	v_pk_fma_f16 v19, v13, v45, v19 op_sel_hi:[1,0,1]
	v_pk_fma_f16 v20, v13, v45, v12 op_sel:[0,1,0]
	ds_read2_b32 v[12:13], v50 offset1:32
	ds_read_b128 v[40:43], v33 offset:96
	s_waitcnt lgkmcnt(2)
	v_pk_fma_f16 v19, v48, v46, v19 op_sel_hi:[1,0,1]
	v_pk_fma_f16 v20, v48, v46, v20 op_sel:[0,1,0]
	v_pk_fma_f16 v19, v49, v47, v19 op_sel_hi:[1,0,1]
	v_pk_fma_f16 v20, v49, v47, v20 op_sel:[0,1,0]
	ds_read2_b32 v[48:49], v50 offset0:64 offset1:96
	s_waitcnt lgkmcnt(1)
	v_pk_fma_f16 v19, v12, v40, v19 op_sel_hi:[1,0,1]
	v_pk_fma_f16 v12, v12, v40, v20 op_sel:[0,1,0]
	ds_read_b128 v[44:47], v33 offset:112
	v_pk_fma_f16 v19, v13, v41, v19 op_sel_hi:[1,0,1]
	v_pk_fma_f16 v20, v13, v41, v12 op_sel:[0,1,0]
	ds_read2_b32 v[12:13], v50 offset0:128 offset1:160
	ds_read2_b32 v[40:41], v50 offset0:192 offset1:224
	s_waitcnt lgkmcnt(0)
	s_barrier
	s_load_dword s27, s[10:11], 0x4
	v_pk_fma_f16 v19, v48, v42, v19 op_sel_hi:[1,0,1]
	v_pk_fma_f16 v20, v48, v42, v20 op_sel:[0,1,0]
	v_pk_fma_f16 v19, v49, v43, v19 op_sel_hi:[1,0,1]
	v_pk_fma_f16 v20, v49, v43, v20 op_sel:[0,1,0]
	;; [unrolled: 2-line block ×4, first 2 shown]
	s_waitcnt lgkmcnt(0)
	s_lshl_b32 s27, s27, 5
	v_pk_fma_f16 v13, v40, v46, v19 op_sel_hi:[1,0,1]
	v_pk_fma_f16 v12, v40, v46, v12 op_sel:[0,1,0]
	s_add_i32 s20, s27, s20
	v_pk_fma_f16 v20, v41, v47, v13 op_sel_hi:[1,0,1]
	s_cmp_lt_i32 s20, s16
	v_pk_fma_f16 v19, v41, v47, v12 op_sel:[0,1,0]
	s_cbranch_scc0 .LBB62_15
.LBB62_10:                              ; =>This Inner Loop Header: Depth=1
	s_mul_hi_i32 s41, s20, s12
	s_mul_i32 s40, s20, s12
	s_lshl_b64 s[40:41], s[40:41], 2
	s_add_u32 s27, s13, s40
	s_addc_u32 s40, s15, s41
	v_mov_b32_e32 v12, s40
	v_add_co_u32_e32 v13, vcc, s27, v4
	v_addc_co_u32_e32 v40, vcc, v12, v5, vcc
	v_add_co_u32_e32 v12, vcc, v13, v36
	v_addc_co_u32_e32 v13, vcc, 0, v40, vcc
	v_mov_b32_e32 v40, s40
	v_add_co_u32_e32 v41, vcc, s27, v6
	v_addc_co_u32_e32 v40, vcc, v40, v7, vcc
	v_add_co_u32_e32 v48, vcc, v41, v36
	v_addc_co_u32_e32 v49, vcc, 0, v40, vcc
	global_load_dwordx4 v[40:43], v[12:13], off
	global_load_dwordx4 v[44:47], v[48:49], off
	v_mov_b32_e32 v12, 0
	v_mov_b32_e32 v13, 0
	s_and_b64 vcc, exec, s[6:7]
	s_waitcnt vmcnt(1)
	ds_write_b128 v27, v[40:43]
	s_waitcnt vmcnt(0)
	ds_write_b128 v28, v[44:47]
	s_waitcnt lgkmcnt(0)
	s_barrier
	ds_read_b128 v[40:43], v29
	ds_read_b128 v[44:47], v30
	ds_read_b128 v[48:51], v30 offset:128
	s_waitcnt lgkmcnt(1)
	;;#ASMSTART
	v_dot2_f32_f16 v12, v40, v44, v12
	;;#ASMEND
	;;#ASMSTART
	v_dot2_f32_f16 v12, v41, v45, v12
	;;#ASMEND
	;;#ASMSTART
	v_dot2_f32_f16 v12, v42, v46, v12
	;;#ASMEND
	;;#ASMSTART
	v_dot2_f32_f16 v12, v43, v47, v12
	;;#ASMEND
	s_waitcnt lgkmcnt(0)
	;;#ASMSTART
	v_dot2_f32_f16 v13, v40, v48, v13
	;;#ASMEND
	;;#ASMSTART
	v_dot2_f32_f16 v13, v41, v49, v13
	;;#ASMEND
	;;#ASMSTART
	v_dot2_f32_f16 v13, v42, v50, v13
	;;#ASMEND
	;;#ASMSTART
	v_dot2_f32_f16 v13, v43, v51, v13
	;;#ASMEND
	ds_read_b128 v[40:43], v29 offset:16
	ds_read_b128 v[44:47], v30 offset:16
	ds_read_b128 v[48:51], v30 offset:144
	s_waitcnt lgkmcnt(1)
	;;#ASMSTART
	v_dot2_f32_f16 v12, v40, v44, v12
	;;#ASMEND
	;;#ASMSTART
	v_dot2_f32_f16 v12, v41, v45, v12
	;;#ASMEND
	;;#ASMSTART
	v_dot2_f32_f16 v12, v42, v46, v12
	;;#ASMEND
	;;#ASMSTART
	v_dot2_f32_f16 v12, v43, v47, v12
	;;#ASMEND
	s_waitcnt lgkmcnt(0)
	;;#ASMSTART
	v_dot2_f32_f16 v13, v40, v48, v13
	;;#ASMEND
	;;#ASMSTART
	v_dot2_f32_f16 v13, v41, v49, v13
	;;#ASMEND
	;;#ASMSTART
	v_dot2_f32_f16 v13, v42, v50, v13
	;;#ASMEND
	;;#ASMSTART
	v_dot2_f32_f16 v13, v43, v51, v13
	;;#ASMEND
	ds_read_b128 v[40:43], v29 offset:32
	ds_read_b128 v[44:47], v30 offset:32
	;; [unrolled: 29-line block ×7, first 2 shown]
	ds_read_b128 v[50:53], v30 offset:240
	s_waitcnt lgkmcnt(1)
	;;#ASMSTART
	v_dot2_f32_f16 v12, v40, v46, v12
	;;#ASMEND
	;;#ASMSTART
	v_dot2_f32_f16 v12, v41, v47, v12
	;;#ASMEND
	;; [unrolled: 3-line block ×4, first 2 shown]
	s_waitcnt lgkmcnt(0)
	;;#ASMSTART
	v_dot2_f32_f16 v13, v40, v50, v13
	;;#ASMEND
	;;#ASMSTART
	v_dot2_f32_f16 v13, v41, v51, v13
	;;#ASMEND
	v_add_u32_e32 v45, s20, v17
	;;#ASMSTART
	v_dot2_f32_f16 v13, v42, v52, v13
	;;#ASMEND
	v_mov_b32_e32 v40, 0
	;;#ASMSTART
	v_dot2_f32_f16 v13, v43, v53, v13
	;;#ASMEND
	s_cbranch_vccnz .LBB62_12
; %bb.11:                               ;   in Loop: Header=BB62_10 Depth=1
	v_add_u32_e32 v40, v45, v31
	v_ashrrev_i32_e32 v41, 31, v40
	v_lshlrev_b64 v[40:41], 1, v[40:41]
	v_mov_b32_e32 v42, s45
	v_add_co_u32_e32 v40, vcc, s44, v40
	v_addc_co_u32_e32 v41, vcc, v42, v41, vcc
	flat_load_ushort v40, v[40:41]
	s_waitcnt vmcnt(0) lgkmcnt(0)
	v_cvt_f32_f16_e32 v40, v40
	v_mul_f32_e32 v40, v23, v40
.LBB62_12:                              ;   in Loop: Header=BB62_10 Depth=1
	v_and_b32_e32 v41, 0x60, v37
	v_add_u32_e32 v41, 32, v41
	v_xor_b32_e32 v42, 16, v37
	v_cmp_lt_i32_e32 vcc, v42, v41
	v_cndmask_b32_e32 v42, v37, v42, vcc
	v_add_f32_e32 v12, v12, v40
	v_lshlrev_b32_e32 v46, 2, v42
	v_add_f32_e32 v40, 0x40051340, v12
	v_max_f32_e32 v42, v0, v0
	v_max_f32_e32 v40, v42, v40
	ds_bpermute_b32 v42, v46, v40
	v_xor_b32_e32 v43, 8, v37
	v_cmp_lt_i32_e32 vcc, v43, v41
	v_cndmask_b32_e32 v43, v37, v43, vcc
	v_lshlrev_b32_e32 v47, 2, v43
	s_waitcnt lgkmcnt(0)
	v_max_f32_e32 v42, v42, v42
	v_max_f32_e32 v40, v40, v42
	ds_bpermute_b32 v42, v47, v40
	v_xor_b32_e32 v43, 4, v37
	v_cmp_lt_i32_e32 vcc, v43, v41
	v_cndmask_b32_e32 v43, v37, v43, vcc
	v_lshlrev_b32_e32 v44, 2, v43
	s_waitcnt lgkmcnt(0)
	;; [unrolled: 8-line block ×4, first 2 shown]
	v_max_f32_e32 v41, v48, v48
	v_max_f32_e32 v40, v40, v41
	ds_bpermute_b32 v41, v42, v40
	s_and_b64 vcc, exec, s[6:7]
	s_cbranch_vccz .LBB62_8
; %bb.13:                               ;   in Loop: Header=BB62_10 Depth=1
	v_mov_b32_e32 v45, 0
	s_branch .LBB62_9
.LBB62_14:
	s_mov_b32 s7, s6
	v_pk_mov_b32 v[0:1], s[6:7], s[6:7] op_sel:[0,1]
	v_mov_b32_e32 v2, v3
	v_mov_b32_e32 v19, 0
.LBB62_15:
	v_lshlrev_b32_e32 v9, 1, v17
	s_cmp_gt_i32 s14, s20
	s_cbranch_scc1 .LBB62_17
; %bb.16:
	v_mbcnt_hi_u32_b32 v13, -1, v25
	v_and_b32_e32 v4, 0x60, v13
	v_add_u32_e32 v27, 32, v4
	v_xor_b32_e32 v28, 16, v13
	v_xor_b32_e32 v29, 8, v13
	v_xor_b32_e32 v30, 4, v13
	v_xor_b32_e32 v31, 2, v13
	v_xor_b32_e32 v32, 1, v13
	s_cbranch_execz .LBB62_18
	s_branch .LBB62_28
.LBB62_17:
                                        ; implicit-def: $vgpr13
                                        ; implicit-def: $vgpr27
                                        ; implicit-def: $vgpr28
                                        ; implicit-def: $vgpr29
                                        ; implicit-def: $vgpr30
                                        ; implicit-def: $vgpr31
                                        ; implicit-def: $vgpr32
.LBB62_18:
	s_mul_hi_i32 s7, s20, s12
	s_mul_i32 s6, s20, s12
	v_lshl_add_u32 v11, v22, 2, v26
	v_and_b32_e32 v4, 28, v21
	s_sub_i32 s21, s14, s20
	s_lshl_b64 s[6:7], s[6:7], 2
	v_lshlrev_b32_e32 v10, 2, v4
	v_mul_lo_u32 v4, s12, v11
	s_add_u32 s10, s13, s6
	v_ashrrev_i32_e32 v5, 31, v4
	s_addc_u32 s11, s15, s7
	v_lshlrev_b64 v[12:13], 2, v[4:5]
	v_mov_b32_e32 v5, s11
	v_add_co_u32_e32 v7, vcc, s10, v12
	v_addc_co_u32_e32 v5, vcc, v5, v13, vcc
	s_mov_b64 s[6:7], src_private_base
	v_add_co_u32_e32 v7, vcc, v7, v10
	v_mov_b32_e32 v6, 0
	v_addc_co_u32_e32 v5, vcc, 0, v5, vcc
	v_mov_b32_e32 v8, s7
	v_cmp_gt_i32_e64 s[6:7], s21, v11
	v_mov_b32_e32 v30, 0
	buffer_store_dword v6, off, s[0:3], 0
	buffer_store_dword v6, off, s[0:3], 0 offset:8
	buffer_store_dword v6, off, s[0:3], 0 offset:4
	;; [unrolled: 1-line block ×3, first 2 shown]
	v_cndmask_b32_e64 v13, v8, v5, s[6:7]
	v_cndmask_b32_e64 v12, v30, v7, s[6:7]
	flat_load_dwordx4 v[26:29], v[12:13]
	v_lshl_add_u32 v4, s12, 4, v4
	v_ashrrev_i32_e32 v5, 31, v4
	v_lshlrev_b64 v[4:5], 2, v[4:5]
	v_mov_b32_e32 v13, s11
	v_add_co_u32_e32 v4, vcc, s10, v4
	v_addc_co_u32_e32 v5, vcc, v13, v5, vcc
	s_movk_i32 s13, 0x90
	v_add_u32_e32 v12, 16, v11
	v_add_co_u32_e32 v4, vcc, v4, v10
	v_mad_u32_u24 v7, v11, s13, v10
	v_addc_co_u32_e32 v5, vcc, 0, v5, vcc
	v_cmp_gt_i32_e64 s[14:15], s21, v12
	v_cndmask_b32_e64 v5, v8, v5, s[14:15]
	v_cndmask_b32_e64 v4, v30, v4, s[14:15]
	buffer_store_dword v6, off, s[0:3], 0
	buffer_store_dword v6, off, s[0:3], 0 offset:8
	buffer_store_dword v6, off, s[0:3], 0 offset:4
	;; [unrolled: 1-line block ×3, first 2 shown]
	v_mul_u32_u24_e32 v13, 0x90, v17
	v_lshlrev_b32_e32 v38, 8, v22
	s_cmp_lg_u64 s[44:45], 0
	s_cselect_b64 s[12:13], -1, 0
	v_add_u32_e32 v8, s20, v17
	v_cmp_gt_i32_e64 s[10:11], s21, v17
	s_waitcnt vmcnt(0) lgkmcnt(0)
	ds_write_b128 v7, v[26:29]
	flat_load_dwordx4 v[26:29], v[4:5]
	v_mov_b32_e32 v4, 0
	v_mov_b32_e32 v5, 0
	s_waitcnt vmcnt(0) lgkmcnt(0)
	ds_write_b128 v7, v[26:29] offset:2304
	s_waitcnt lgkmcnt(0)
	s_barrier
	ds_read_b128 v[26:29], v13
	ds_read_b128 v[30:33], v38 offset:4608
	ds_read_b128 v[34:37], v38 offset:4736
	s_waitcnt lgkmcnt(1)
	;;#ASMSTART
	v_dot2_f32_f16 v4, v26, v30, v4
	;;#ASMEND
	;;#ASMSTART
	v_dot2_f32_f16 v4, v27, v31, v4
	;;#ASMEND
	;;#ASMSTART
	v_dot2_f32_f16 v4, v28, v32, v4
	;;#ASMEND
	;;#ASMSTART
	v_dot2_f32_f16 v4, v29, v33, v4
	;;#ASMEND
	s_waitcnt lgkmcnt(0)
	;;#ASMSTART
	v_dot2_f32_f16 v5, v26, v34, v5
	;;#ASMEND
	;;#ASMSTART
	v_dot2_f32_f16 v5, v27, v35, v5
	;;#ASMEND
	;;#ASMSTART
	v_dot2_f32_f16 v5, v28, v36, v5
	;;#ASMEND
	;;#ASMSTART
	v_dot2_f32_f16 v5, v29, v37, v5
	;;#ASMEND
	ds_read_b128 v[26:29], v13 offset:16
	ds_read_b128 v[30:33], v38 offset:4624
	ds_read_b128 v[34:37], v38 offset:4752
	s_waitcnt lgkmcnt(1)
	;;#ASMSTART
	v_dot2_f32_f16 v4, v26, v30, v4
	;;#ASMEND
	;;#ASMSTART
	v_dot2_f32_f16 v4, v27, v31, v4
	;;#ASMEND
	;;#ASMSTART
	v_dot2_f32_f16 v4, v28, v32, v4
	;;#ASMEND
	;;#ASMSTART
	v_dot2_f32_f16 v4, v29, v33, v4
	;;#ASMEND
	s_waitcnt lgkmcnt(0)
	;;#ASMSTART
	v_dot2_f32_f16 v5, v26, v34, v5
	;;#ASMEND
	;;#ASMSTART
	v_dot2_f32_f16 v5, v27, v35, v5
	;;#ASMEND
	;;#ASMSTART
	v_dot2_f32_f16 v5, v28, v36, v5
	;;#ASMEND
	;;#ASMSTART
	v_dot2_f32_f16 v5, v29, v37, v5
	;;#ASMEND
	ds_read_b128 v[26:29], v13 offset:32
	;; [unrolled: 29-line block ×7, first 2 shown]
	ds_read_b128 v[30:33], v38 offset:4720
	ds_read_b128 v[34:37], v38 offset:4848
	s_waitcnt lgkmcnt(1)
	;;#ASMSTART
	v_dot2_f32_f16 v4, v26, v30, v4
	;;#ASMEND
	;;#ASMSTART
	v_dot2_f32_f16 v4, v27, v31, v4
	;;#ASMEND
	;; [unrolled: 3-line block ×4, first 2 shown]
	s_waitcnt lgkmcnt(0)
	;;#ASMSTART
	v_dot2_f32_f16 v5, v26, v34, v5
	;;#ASMEND
	v_cndmask_b32_e64 v7, 0, 1, s[12:13]
	;;#ASMSTART
	v_dot2_f32_f16 v5, v27, v35, v5
	;;#ASMEND
	v_cmp_ne_u32_e64 s[12:13], 1, v7
	;;#ASMSTART
	v_dot2_f32_f16 v5, v28, v36, v5
	;;#ASMEND
	v_mov_b32_e32 v7, v0
	;;#ASMSTART
	v_dot2_f32_f16 v5, v29, v37, v5
	;;#ASMEND
	s_and_saveexec_b64 s[16:17], s[10:11]
	s_cbranch_execz .LBB62_22
; %bb.19:
	s_and_b64 vcc, exec, s[12:13]
	s_cbranch_vccnz .LBB62_21
; %bb.20:
	v_mad_u64_u32 v[6:7], s[26:27], v24, s23, v[8:9]
	v_ashrrev_i32_e32 v7, 31, v6
	v_lshlrev_b64 v[6:7], 1, v[6:7]
	v_mov_b32_e32 v13, s45
	v_add_co_u32_e32 v6, vcc, s44, v6
	v_addc_co_u32_e32 v7, vcc, v13, v7, vcc
	flat_load_ushort v6, v[6:7]
	s_waitcnt vmcnt(0) lgkmcnt(0)
	v_cvt_f32_f16_e32 v6, v6
	v_mul_f32_e32 v6, v23, v6
.LBB62_21:
	v_add_f32_e32 v4, v4, v6
	v_add_f32_e32 v6, 0x40051340, v4
	v_max_f32_e32 v7, v0, v0
	v_max_f32_e32 v7, v7, v6
.LBB62_22:
	s_or_b64 exec, exec, s[16:17]
	v_mbcnt_hi_u32_b32 v13, -1, v25
	v_and_b32_e32 v6, 0x60, v13
	v_add_u32_e32 v27, 32, v6
	v_xor_b32_e32 v28, 16, v13
	v_cmp_lt_i32_e32 vcc, v28, v27
	v_cndmask_b32_e32 v6, v13, v28, vcc
	v_lshlrev_b32_e32 v33, 2, v6
	ds_bpermute_b32 v6, v33, v7
	v_xor_b32_e32 v29, 8, v13
	v_cmp_lt_i32_e32 vcc, v29, v27
	v_cndmask_b32_e32 v24, v13, v29, vcc
	v_max_f32_e32 v7, v7, v7
	s_waitcnt lgkmcnt(0)
	v_max_f32_e32 v6, v6, v6
	v_lshlrev_b32_e32 v34, 2, v24
	v_max_f32_e32 v6, v7, v6
	ds_bpermute_b32 v7, v34, v6
	v_xor_b32_e32 v30, 4, v13
	v_cmp_lt_i32_e32 vcc, v30, v27
	v_cndmask_b32_e32 v24, v13, v30, vcc
	v_lshlrev_b32_e32 v26, 2, v24
	s_waitcnt lgkmcnt(0)
	v_max_f32_e32 v7, v7, v7
	v_max_f32_e32 v6, v6, v7
	ds_bpermute_b32 v7, v26, v6
	v_xor_b32_e32 v31, 2, v13
	v_cmp_lt_i32_e32 vcc, v31, v27
	v_cndmask_b32_e32 v24, v13, v31, vcc
	v_lshlrev_b32_e32 v25, 2, v24
	s_waitcnt lgkmcnt(0)
	v_max_f32_e32 v7, v7, v7
	;; [unrolled: 8-line block ×3, first 2 shown]
	v_max_f32_e32 v6, v6, v7
	ds_bpermute_b32 v7, v24, v6
	s_waitcnt lgkmcnt(0)
	v_max_f32_e32 v7, v7, v7
	v_max_f32_e32 v6, v6, v7
	v_mov_b32_e32 v7, v1
	s_and_saveexec_b64 s[16:17], s[10:11]
	s_cbranch_execz .LBB62_27
; %bb.23:
	s_and_b64 vcc, exec, s[12:13]
	s_cbranch_vccnz .LBB62_25
; %bb.24:
	v_or_b32_e32 v7, 1, v18
	v_mul_hi_u32 v35, s36, v7
	v_add_u32_e32 v35, v7, v35
	v_lshrrev_b32_e32 v35, s37, v35
	v_mul_lo_u32 v35, v35, s38
	v_sub_u32_e32 v7, v7, v35
	v_mad_u64_u32 v[36:37], s[10:11], v7, s23, v[8:9]
	v_ashrrev_i32_e32 v37, 31, v36
	v_lshlrev_b64 v[36:37], 1, v[36:37]
	v_mov_b32_e32 v7, s45
	v_add_co_u32_e32 v36, vcc, s44, v36
	v_addc_co_u32_e32 v37, vcc, v7, v37, vcc
	flat_load_ushort v7, v[36:37]
	s_waitcnt vmcnt(0) lgkmcnt(0)
	v_cvt_f32_f16_e32 v7, v7
	v_mul_f32_e32 v7, v23, v7
	s_branch .LBB62_26
.LBB62_25:
	v_mov_b32_e32 v7, 0
.LBB62_26:
	v_add_f32_e32 v5, v5, v7
	v_add_f32_e32 v7, 0x40051340, v5
	v_max_f32_e32 v8, v1, v1
	v_max_f32_e32 v7, v8, v7
.LBB62_27:
	s_or_b64 exec, exec, s[16:17]
	ds_bpermute_b32 v8, v33, v7
	v_max_f32_e32 v7, v7, v7
	v_sub_f32_e32 v4, v4, v6
	s_mov_b32 s16, 0x3fb8aa3b
	v_mul_f32_e32 v23, 0x3fb8aa3b, v4
	s_waitcnt lgkmcnt(0)
	v_max_f32_e32 v8, v8, v8
	v_max_f32_e32 v7, v7, v8
	ds_bpermute_b32 v8, v34, v7
	v_rndne_f32_e32 v33, v23
	s_mov_b32 s12, 0xc2ce8ed0
	s_mov_b32 s13, 0x42b17218
	v_cmp_ngt_f32_e32 vcc, s12, v4
	s_waitcnt lgkmcnt(0)
	v_max_f32_e32 v8, v8, v8
	v_max_f32_e32 v7, v7, v8
	ds_bpermute_b32 v8, v26, v7
	v_fma_f32 v26, v4, s16, -v23
	v_fmac_f32_e32 v26, 0x32a5705f, v4
	v_sub_f32_e32 v23, v23, v33
	v_add_f32_e32 v23, v23, v26
	s_waitcnt lgkmcnt(0)
	v_max_f32_e32 v8, v8, v8
	v_max_f32_e32 v7, v7, v8
	ds_bpermute_b32 v8, v25, v7
	v_cvt_i32_f32_e32 v25, v33
	v_exp_f32_e32 v23, v23
	v_mov_b32_e32 v26, 0x7f800000
	v_lshlrev_b32_e32 v33, 7, v22
	s_waitcnt lgkmcnt(0)
	v_max_f32_e32 v8, v8, v8
	v_max_f32_e32 v7, v7, v8
	ds_bpermute_b32 v8, v24, v7
	v_ldexp_f32 v23, v23, v25
	v_cndmask_b32_e32 v23, 0, v23, vcc
	v_cmp_nlt_f32_e32 vcc, s13, v4
	v_cndmask_b32_e32 v4, v26, v23, vcc
	s_waitcnt lgkmcnt(0)
	v_max_f32_e32 v8, v8, v8
	v_max_f32_e32 v7, v7, v8
	v_sub_f32_e32 v5, v5, v7
	v_mul_f32_e32 v8, 0x3fb8aa3b, v5
	v_fma_f32 v23, v5, s16, -v8
	v_rndne_f32_e32 v24, v8
	v_fmac_f32_e32 v23, 0x32a5705f, v5
	v_sub_f32_e32 v8, v8, v24
	v_add_f32_e32 v8, v8, v23
	v_exp_f32_e32 v8, v8
	v_cvt_i32_f32_e32 v23, v24
	v_cmp_ngt_f32_e64 s[10:11], s12, v5
	v_cmp_gt_u32_e32 vcc, s21, v17
	v_cndmask_b32_e32 v4, 0, v4, vcc
	v_ldexp_f32 v8, v8, v23
	v_cndmask_b32_e64 v8, 0, v8, s[10:11]
	v_cmp_nlt_f32_e64 s[10:11], s13, v5
	v_cndmask_b32_e64 v5, v26, v8, s[10:11]
	v_cndmask_b32_e32 v5, 0, v5, vcc
	v_cvt_f16_f32_e32 v24, v4
	v_cvt_f16_f32_e32 v8, v5
	s_movk_i32 s10, 0x1600
	v_add3_u32 v22, v33, s10, v21
	s_mul_hi_i32 s11, s20, s8
	s_mul_i32 s10, s20, s8
	s_lshl_b64 s[10:11], s[10:11], 2
	v_mul_lo_u32 v34, s8, v11
	v_pack_b32_f16 v8, v24, v8
	s_add_u32 s17, s18, s10
	v_ashrrev_i32_e32 v35, 31, v34
	s_barrier
	ds_write_b32 v22, v8
	s_addc_u32 s18, s19, s11
	v_lshlrev_b64 v[22:23], 2, v[34:35]
	v_mov_b32_e32 v8, s18
	v_add_co_u32_e32 v22, vcc, s17, v22
	v_addc_co_u32_e32 v8, vcc, v8, v23, vcc
	s_mov_b64 s[10:11], src_private_base
	v_add_co_u32_e32 v22, vcc, v22, v10
	v_addc_co_u32_e32 v8, vcc, 0, v8, vcc
	v_mov_b32_e32 v37, s11
	v_mov_b32_e32 v36, 0
	v_cndmask_b32_e64 v23, v37, v8, s[6:7]
	v_mov_b32_e32 v8, 0
	buffer_store_dword v36, off, s[0:3], 0
	buffer_store_dword v36, off, s[0:3], 0 offset:8
	buffer_store_dword v36, off, s[0:3], 0 offset:4
	;; [unrolled: 1-line block ×3, first 2 shown]
	v_cndmask_b32_e64 v22, v8, v22, s[6:7]
	flat_load_dwordx4 v[22:25], v[22:23]
	v_lshl_add_u32 v34, s8, 4, v34
	v_ashrrev_i32_e32 v35, 31, v34
	v_lshlrev_b64 v[34:35], 2, v[34:35]
	v_mov_b32_e32 v38, s18
	v_add_co_u32_e32 v34, vcc, s17, v34
	v_addc_co_u32_e32 v35, vcc, v38, v35, vcc
	v_add_co_u32_e32 v34, vcc, v34, v10
	v_lshl_or_b32 v11, v11, 7, v10
	v_addc_co_u32_e32 v35, vcc, 0, v35, vcc
	v_cndmask_b32_e64 v34, v8, v34, s[14:15]
	v_cndmask_b32_e64 v35, v37, v35, s[14:15]
	buffer_store_dword v36, off, s[0:3], 0
	buffer_store_dword v36, off, s[0:3], 0 offset:8
	buffer_store_dword v36, off, s[0:3], 0 offset:4
	;; [unrolled: 1-line block ×3, first 2 shown]
	v_sub_f32_e32 v0, v0, v6
	v_lshl_or_b32 v8, v12, 7, v10
	v_mul_f32_e32 v10, 0x3fb8aa3b, v0
	v_rndne_f32_e32 v12, v10
	v_cmp_ngt_f32_e32 vcc, s12, v0
	v_add_u32_e32 v46, 0x400, v21
	v_add_u32_e32 v54, 0x800, v21
	;; [unrolled: 1-line block ×3, first 2 shown]
	s_waitcnt vmcnt(0) lgkmcnt(0)
	ds_write_b128 v11, v[22:25]
	flat_load_dwordx4 v[22:25], v[34:35]
	v_fma_f32 v11, v0, s16, -v10
	v_fmac_f32_e32 v11, 0x32a5705f, v0
	v_sub_f32_e32 v10, v10, v12
	v_add_f32_e32 v10, v10, v11
	v_cvt_i32_f32_e32 v12, v12
	v_exp_f32_e32 v10, v10
	v_ldexp_f32 v10, v10, v12
	v_cndmask_b32_e32 v10, 0, v10, vcc
	v_cmp_nlt_f32_e32 vcc, s13, v0
	v_cndmask_b32_e32 v0, v26, v10, vcc
	v_sub_f32_e32 v10, v1, v7
	v_mul_f32_e32 v1, 0x3fb8aa3b, v10
	v_fma_f32 v11, v10, s16, -v1
	v_rndne_f32_e32 v12, v1
	v_fmac_f32_e32 v11, 0x32a5705f, v10
	v_sub_f32_e32 v1, v1, v12
	v_add_f32_e32 v1, v1, v11
	v_cvt_i32_f32_e32 v12, v12
	v_exp_f32_e32 v11, v1
	v_fmac_f32_e32 v4, v2, v0
	v_cmp_ngt_f32_e32 vcc, s12, v10
	v_cvt_f16_f32_e32 v88, v0
	v_ldexp_f32 v2, v11, v12
	v_cndmask_b32_e32 v2, 0, v2, vcc
	v_cmp_nlt_f32_e32 vcc, s13, v10
	v_cndmask_b32_e32 v2, v26, v2, vcc
	v_cvt_f16_f32_e32 v12, v2
	v_pk_mov_b32 v[0:1], v[6:7], v[6:7] op_sel:[0,1]
	v_fmac_f32_e32 v5, v3, v2
	s_waitcnt vmcnt(0) lgkmcnt(0)
	ds_write_b128 v8, v[22:25]
	s_waitcnt lgkmcnt(0)
	s_barrier
	ds_read2_b32 v[2:3], v21 offset1:32
	ds_read_b128 v[22:25], v33 offset:5632
	ds_read_b128 v[34:37], v33 offset:5648
	;; [unrolled: 1-line block ×4, first 2 shown]
	ds_read2_b32 v[6:7], v21 offset0:64 offset1:96
	ds_read2_b32 v[10:11], v21 offset0:128 offset1:160
	;; [unrolled: 1-line block ×3, first 2 shown]
	ds_read2_b32 v[64:65], v46 offset1:32
	ds_read2_b32 v[66:67], v46 offset0:64 offset1:96
	ds_read2_b32 v[68:69], v46 offset0:128 offset1:160
	ds_read2_b32 v[70:71], v46 offset0:192 offset1:224
	ds_read2_b32 v[72:73], v54 offset1:32
	ds_read2_b32 v[74:75], v54 offset0:64 offset1:96
	ds_read2_b32 v[76:77], v54 offset0:128 offset1:160
	ds_read_b128 v[46:49], v33 offset:5696
	ds_read_b128 v[50:53], v33 offset:5712
	ds_read2_b32 v[78:79], v54 offset0:192 offset1:224
	ds_read2_b32 v[80:81], v86 offset1:32
	ds_read2_b32 v[82:83], v86 offset0:64 offset1:96
	ds_read2_b32 v[84:85], v86 offset0:128 offset1:160
	ds_read_b128 v[54:57], v33 offset:5728
	ds_read_b128 v[58:61], v33 offset:5744
	ds_read2_b32 v[86:87], v86 offset0:192 offset1:224
	s_waitcnt lgkmcnt(14)
	v_pk_mul_f16 v8, v2, v22 op_sel_hi:[1,0]
	v_pk_mul_f16 v2, v2, v22 op_sel:[0,1]
	v_pk_fma_f16 v8, v88, v20, v8 op_sel_hi:[0,1,1]
	v_pk_fma_f16 v2, v19, v12, v2 op_sel_hi:[1,0,1]
	;; [unrolled: 1-line block ×3, first 2 shown]
	v_pk_fma_f16 v2, v3, v23, v2 op_sel:[0,1,0]
	v_pk_fma_f16 v3, v6, v24, v8 op_sel_hi:[1,0,1]
	v_pk_fma_f16 v2, v6, v24, v2 op_sel:[0,1,0]
	v_pk_fma_f16 v3, v7, v25, v3 op_sel_hi:[1,0,1]
	;; [unrolled: 2-line block ×10, first 2 shown]
	v_pk_fma_f16 v2, v67, v41, v2 op_sel:[0,1,0]
	s_waitcnt lgkmcnt(13)
	v_pk_fma_f16 v3, v68, v42, v3 op_sel_hi:[1,0,1]
	v_pk_fma_f16 v2, v68, v42, v2 op_sel:[0,1,0]
	v_pk_fma_f16 v3, v69, v43, v3 op_sel_hi:[1,0,1]
	v_pk_fma_f16 v2, v69, v43, v2 op_sel:[0,1,0]
	s_waitcnt lgkmcnt(12)
	v_pk_fma_f16 v3, v70, v44, v3 op_sel_hi:[1,0,1]
	v_pk_fma_f16 v2, v70, v44, v2 op_sel:[0,1,0]
	v_pk_fma_f16 v3, v71, v45, v3 op_sel_hi:[1,0,1]
	;; [unrolled: 5-line block ×3, first 2 shown]
	v_pk_fma_f16 v2, v73, v47, v2 op_sel:[0,1,0]
	v_pk_fma_f16 v3, v74, v48, v3 op_sel_hi:[1,0,1]
	v_pk_fma_f16 v2, v74, v48, v2 op_sel:[0,1,0]
	v_pk_fma_f16 v3, v75, v49, v3 op_sel_hi:[1,0,1]
	v_pk_fma_f16 v2, v75, v49, v2 op_sel:[0,1,0]
	s_waitcnt lgkmcnt(7)
	v_pk_fma_f16 v3, v76, v50, v3 op_sel_hi:[1,0,1]
	v_pk_fma_f16 v2, v76, v50, v2 op_sel:[0,1,0]
	v_pk_fma_f16 v3, v77, v51, v3 op_sel_hi:[1,0,1]
	v_pk_fma_f16 v2, v77, v51, v2 op_sel:[0,1,0]
	s_waitcnt lgkmcnt(6)
	;; [unrolled: 5-line block ×3, first 2 shown]
	v_pk_fma_f16 v3, v80, v54, v3 op_sel_hi:[1,0,1]
	v_pk_fma_f16 v2, v80, v54, v2 op_sel:[0,1,0]
	v_pk_fma_f16 v3, v81, v55, v3 op_sel_hi:[1,0,1]
	v_pk_fma_f16 v2, v81, v55, v2 op_sel:[0,1,0]
	;; [unrolled: 2-line block ×4, first 2 shown]
	s_waitcnt lgkmcnt(1)
	v_pk_fma_f16 v3, v84, v58, v3 op_sel_hi:[1,0,1]
	v_pk_fma_f16 v2, v84, v58, v2 op_sel:[0,1,0]
	v_pk_fma_f16 v3, v85, v59, v3 op_sel_hi:[1,0,1]
	v_pk_fma_f16 v2, v85, v59, v2 op_sel:[0,1,0]
	s_waitcnt lgkmcnt(0)
	v_pk_fma_f16 v3, v86, v60, v3 op_sel_hi:[1,0,1]
	v_pk_fma_f16 v2, v86, v60, v2 op_sel:[0,1,0]
	v_pk_fma_f16 v20, v87, v61, v3 op_sel_hi:[1,0,1]
	v_pk_fma_f16 v19, v87, v61, v2 op_sel:[0,1,0]
	v_pk_mov_b32 v[2:3], v[4:5], v[4:5] op_sel:[0,1]
	s_barrier
.LBB62_28:
	v_cmp_lt_i32_e32 vcc, v28, v27
	v_cndmask_b32_e32 v4, v13, v28, vcc
	v_lshlrev_b32_e32 v5, 2, v4
	ds_bpermute_b32 v4, v5, v2
	ds_bpermute_b32 v5, v5, v3
	v_cmp_lt_i32_e32 vcc, v29, v27
	v_cndmask_b32_e32 v6, v13, v29, vcc
	v_lshlrev_b32_e32 v6, 2, v6
	v_cmp_lt_i32_e32 vcc, v30, v27
	s_waitcnt lgkmcnt(0)
	v_pk_add_f32 v[2:3], v[2:3], v[4:5]
	ds_bpermute_b32 v4, v6, v2
	ds_bpermute_b32 v5, v6, v3
	v_cndmask_b32_e32 v6, v13, v30, vcc
	v_lshlrev_b32_e32 v6, 2, v6
	v_cmp_lt_i32_e32 vcc, v31, v27
	s_cmp_eq_u64 s[24:25], 0
	s_waitcnt lgkmcnt(0)
	v_pk_add_f32 v[2:3], v[2:3], v[4:5]
	ds_bpermute_b32 v4, v6, v2
	ds_bpermute_b32 v5, v6, v3
	v_cndmask_b32_e32 v6, v13, v31, vcc
	v_lshlrev_b32_e32 v6, 2, v6
	v_cmp_lt_i32_e32 vcc, v32, v27
	s_cselect_b64 s[6:7], -1, 0
	s_waitcnt lgkmcnt(0)
	v_pk_add_f32 v[2:3], v[2:3], v[4:5]
	ds_bpermute_b32 v4, v6, v2
	ds_bpermute_b32 v5, v6, v3
	v_cndmask_b32_e32 v6, v13, v32, vcc
	v_lshlrev_b32_e32 v6, 2, v6
	s_cmp_lg_u32 s9, 0
	s_cselect_b64 s[10:11], -1, 0
	s_waitcnt lgkmcnt(0)
	v_pk_add_f32 v[2:3], v[2:3], v[4:5]
	ds_bpermute_b32 v4, v6, v2
	ds_bpermute_b32 v5, v6, v3
	s_or_b64 s[6:7], s[10:11], s[6:7]
	s_and_b64 vcc, exec, s[6:7]
	s_waitcnt lgkmcnt(0)
	v_pk_add_f32 v[2:3], v[2:3], v[4:5]
	s_cbranch_vccnz .LBB62_30
; %bb.29:
	s_lshl_b64 s[6:7], s[34:35], 2
	s_add_u32 s6, s24, s6
	s_addc_u32 s7, s25, s7
	v_mov_b32_e32 v4, 0
	global_load_dword v4, v4, s[6:7]
	v_max_f32_e32 v5, v1, v1
	v_max_f32_e32 v6, v0, v0
	s_mov_b32 s6, 0x3fb8aa3b
	s_mov_b32 s7, 0xc2ce8ed0
	;; [unrolled: 1-line block ×3, first 2 shown]
	v_mov_b32_e32 v8, 0x7f800000
	s_waitcnt vmcnt(0)
	v_max_f32_e32 v10, v4, v4
	v_max_f32_e32 v7, v5, v10
	;; [unrolled: 1-line block ×3, first 2 shown]
	v_pk_add_f32 v[0:1], v[0:1], v[6:7] neg_lo:[0,1] neg_hi:[0,1]
	v_mul_f32_e32 v10, 0x3fb8aa3b, v1
	v_pk_add_f32 v[4:5], v[4:5], v[6:7] op_sel_hi:[0,1] neg_lo:[0,1] neg_hi:[0,1]
	v_mul_f32_e32 v11, 0x3fb8aa3b, v0
	v_fma_f32 v21, v1, s6, -v10
	v_rndne_f32_e32 v22, v10
	v_mul_f32_e32 v12, 0x3fb8aa3b, v5
	v_fma_f32 v23, v0, s6, -v11
	v_rndne_f32_e32 v24, v11
	v_fmac_f32_e32 v21, 0x32a5705f, v1
	v_sub_f32_e32 v10, v10, v22
	v_mul_f32_e32 v13, 0x3fb8aa3b, v4
	v_fma_f32 v25, v5, s6, -v12
	v_rndne_f32_e32 v26, v12
	v_fmac_f32_e32 v23, 0x32a5705f, v0
	v_sub_f32_e32 v11, v11, v24
	v_add_f32_e32 v10, v10, v21
	v_fma_f32 v27, v4, s6, -v13
	v_rndne_f32_e32 v28, v13
	v_cvt_i32_f32_e32 v22, v22
	v_fmac_f32_e32 v25, 0x32a5705f, v5
	v_sub_f32_e32 v12, v12, v26
	v_add_f32_e32 v11, v11, v23
	v_exp_f32_e32 v10, v10
	v_cvt_i32_f32_e32 v24, v24
	v_fmac_f32_e32 v27, 0x32a5705f, v4
	v_sub_f32_e32 v13, v13, v28
	v_add_f32_e32 v12, v12, v25
	v_exp_f32_e32 v11, v11
	v_cvt_i32_f32_e32 v26, v26
	v_add_f32_e32 v13, v13, v27
	v_exp_f32_e32 v12, v12
	v_cvt_i32_f32_e32 v28, v28
	v_exp_f32_e32 v13, v13
	v_ldexp_f32 v10, v10, v22
	v_cmp_ngt_f32_e32 vcc, s7, v1
	v_ldexp_f32 v11, v11, v24
	v_cndmask_b32_e32 v10, 0, v10, vcc
	v_cmp_ngt_f32_e32 vcc, s7, v0
	v_ldexp_f32 v12, v12, v26
	v_cndmask_b32_e32 v11, 0, v11, vcc
	;; [unrolled: 3-line block ×3, first 2 shown]
	v_cmp_ngt_f32_e32 vcc, s7, v4
	v_cndmask_b32_e32 v13, 0, v13, vcc
	v_cmp_nlt_f32_e32 vcc, s8, v1
	v_cndmask_b32_e32 v1, v8, v10, vcc
	v_cmp_nlt_f32_e32 vcc, s8, v0
	v_cndmask_b32_e32 v0, v8, v11, vcc
	v_cvt_f16_f32_e32 v10, v0
	v_cvt_f16_f32_e32 v11, v1
	v_cmp_nlt_f32_e32 vcc, s8, v5
	v_cndmask_b32_e32 v5, v8, v12, vcc
	v_cmp_nlt_f32_e32 vcc, s8, v4
	v_cndmask_b32_e32 v4, v8, v13, vcc
	v_pk_fma_f32 v[2:3], v[2:3], v[0:1], v[4:5]
	v_pk_mul_f16 v20, v20, v10 op_sel_hi:[1,0]
	v_pk_mul_f16 v19, v19, v11 op_sel_hi:[1,0]
	v_pk_mov_b32 v[0:1], v[6:7], v[6:7] op_sel:[0,1]
.LBB62_30:
	v_cmp_gt_i32_e32 vcc, s38, v18
	s_and_saveexec_b64 s[6:7], vcc
	s_cbranch_execz .LBB62_40
; %bb.31:
	s_load_dword s8, s[4:5], 0xd4
	v_mov_b32_e32 v4, 1.0
	s_waitcnt lgkmcnt(0)
	s_cmp_lg_u32 s8, 1
	s_cselect_b64 s[10:11], -1, 0
	s_cmp_eq_u32 s8, 1
	s_cselect_b64 s[6:7], -1, 0
	s_and_b64 vcc, exec, s[10:11]
	s_cbranch_vccnz .LBB62_33
; %bb.32:
	v_div_scale_f32 v4, s[4:5], v2, v2, 1.0
	v_rcp_f32_e32 v5, v4
	v_div_scale_f32 v6, vcc, 1.0, v2, 1.0
	v_fma_f32 v7, -v4, v5, 1.0
	v_fmac_f32_e32 v5, v7, v5
	v_mul_f32_e32 v7, v6, v5
	v_fma_f32 v8, -v4, v7, v6
	v_fmac_f32_e32 v7, v8, v5
	v_fma_f32 v4, -v4, v7, v6
	v_div_fmas_f32 v4, v4, v5, v7
	v_div_fixup_f32 v4, v4, v2, 1.0
.LBB62_33:
	s_mul_i32 s12, s33, s38
	s_add_i32 s12, s12, s22
	v_add_u32_e32 v5, s12, v16
	v_mul_lo_u32 v5, v5, s39
	v_add_u32_e32 v5, s34, v5
	v_mul_lo_u32 v5, s8, v5
	v_add_u32_e32 v6, s9, v5
	v_lshl_add_u32 v10, v6, 6, v9
	v_mov_b32_e32 v11, 0
	v_cvt_f32_f16_sdwa v13, v20 dst_sel:DWORD dst_unused:UNUSED_PAD src0_sel:WORD_1
	v_cvt_f32_f16_e32 v12, v20
	v_lshlrev_b64 v[10:11], 2, v[10:11]
	v_mov_b32_e32 v5, s29
	v_add_co_u32_e64 v10, s[4:5], s28, v10
	v_cmp_eq_u32_e32 vcc, 0, v17
	v_addc_co_u32_e64 v11, s[4:5], v5, v11, s[4:5]
	v_pk_mul_f32 v[4:5], v[4:5], v[12:13] op_sel_hi:[0,1]
	s_and_b64 s[4:5], vcc, s[10:11]
	global_store_dwordx2 v[10:11], v[4:5], off
	s_and_saveexec_b64 s[10:11], s[4:5]
	s_cbranch_execz .LBB62_35
; %bb.34:
	v_ashrrev_i32_e32 v7, 31, v6
	v_lshlrev_b64 v[4:5], 3, v[6:7]
	v_mov_b32_e32 v6, s31
	v_add_co_u32_e32 v4, vcc, s30, v4
	v_addc_co_u32_e32 v5, vcc, v6, v5, vcc
	v_mov_b32_e32 v6, v0
	v_mov_b32_e32 v7, v2
	global_store_dwordx2 v[4:5], v[6:7], off
.LBB62_35:
	s_or_b64 exec, exec, s[10:11]
	v_cmp_gt_i32_e32 vcc, s38, v15
	s_and_b64 exec, exec, vcc
	s_cbranch_execz .LBB62_40
; %bb.36:
	s_andn2_b64 vcc, exec, s[6:7]
	v_mov_b32_e32 v0, 1.0
	s_cbranch_vccnz .LBB62_38
; %bb.37:
	v_div_scale_f32 v0, s[6:7], v3, v3, 1.0
	v_rcp_f32_e32 v2, v0
	v_div_scale_f32 v4, vcc, 1.0, v3, 1.0
	v_fma_f32 v5, -v0, v2, 1.0
	v_fmac_f32_e32 v2, v5, v2
	v_mul_f32_e32 v5, v4, v2
	v_fma_f32 v6, -v0, v5, v4
	v_fmac_f32_e32 v5, v6, v2
	v_fma_f32 v0, -v0, v5, v4
	v_div_fmas_f32 v0, v0, v2, v5
	v_div_fixup_f32 v0, v0, v3, 1.0
.LBB62_38:
	v_add_u32_e32 v2, s12, v14
	v_mul_lo_u32 v2, v2, s39
	v_add_u32_e32 v2, s34, v2
	v_mul_lo_u32 v2, s8, v2
	v_add_u32_e32 v4, s9, v2
	v_lshl_add_u32 v6, v4, 6, v9
	v_cvt_f32_f16_sdwa v9, v19 dst_sel:DWORD dst_unused:UNUSED_PAD src0_sel:WORD_1
	v_cvt_f32_f16_e32 v8, v19
	v_mov_b32_e32 v7, 0
	v_lshlrev_b64 v[6:7], 2, v[6:7]
	v_mov_b32_e32 v2, s29
	v_add_co_u32_e32 v6, vcc, s28, v6
	v_addc_co_u32_e32 v7, vcc, v2, v7, vcc
	v_pk_mul_f32 v[8:9], v[0:1], v[8:9] op_sel_hi:[0,1]
	global_store_dwordx2 v[6:7], v[8:9], off
	s_and_b64 exec, exec, s[4:5]
	s_cbranch_execz .LBB62_40
; %bb.39:
	v_ashrrev_i32_e32 v5, 31, v4
	v_lshlrev_b64 v[4:5], 3, v[4:5]
	v_mov_b32_e32 v0, s31
	v_add_co_u32_e32 v4, vcc, s30, v4
	v_addc_co_u32_e32 v5, vcc, v0, v5, vcc
	v_mov_b32_e32 v2, v1
	global_store_dwordx2 v[4:5], v[2:3], off
.LBB62_40:
	s_endpgm
	.section	.rodata,"a",@progbits
	.p2align	6, 0x0
	.amdhsa_kernel _ZL15flash_attn_tileILi64ELi64ELi8ELi1ELb0EEvPKcS1_S1_S1_S1_PKiPfP15HIP_vector_typeIfLj2EEffffjfiS5_IjLj3EEiiiiiiiiiiiliiliiiiil
		.amdhsa_group_segment_fixed_size 6144
		.amdhsa_private_segment_fixed_size 32
		.amdhsa_kernarg_size 464
		.amdhsa_user_sgpr_count 8
		.amdhsa_user_sgpr_private_segment_buffer 1
		.amdhsa_user_sgpr_dispatch_ptr 0
		.amdhsa_user_sgpr_queue_ptr 0
		.amdhsa_user_sgpr_kernarg_segment_ptr 1
		.amdhsa_user_sgpr_dispatch_id 0
		.amdhsa_user_sgpr_flat_scratch_init 1
		.amdhsa_user_sgpr_kernarg_preload_length 0
		.amdhsa_user_sgpr_kernarg_preload_offset 0
		.amdhsa_user_sgpr_private_segment_size 0
		.amdhsa_uses_dynamic_stack 0
		.amdhsa_system_sgpr_private_segment_wavefront_offset 1
		.amdhsa_system_sgpr_workgroup_id_x 1
		.amdhsa_system_sgpr_workgroup_id_y 1
		.amdhsa_system_sgpr_workgroup_id_z 1
		.amdhsa_system_sgpr_workgroup_info 0
		.amdhsa_system_vgpr_workitem_id 1
		.amdhsa_next_free_vgpr 89
		.amdhsa_next_free_sgpr 56
		.amdhsa_accum_offset 92
		.amdhsa_reserve_vcc 1
		.amdhsa_reserve_flat_scratch 1
		.amdhsa_float_round_mode_32 0
		.amdhsa_float_round_mode_16_64 0
		.amdhsa_float_denorm_mode_32 3
		.amdhsa_float_denorm_mode_16_64 3
		.amdhsa_dx10_clamp 1
		.amdhsa_ieee_mode 1
		.amdhsa_fp16_overflow 0
		.amdhsa_tg_split 0
		.amdhsa_exception_fp_ieee_invalid_op 0
		.amdhsa_exception_fp_denorm_src 0
		.amdhsa_exception_fp_ieee_div_zero 0
		.amdhsa_exception_fp_ieee_overflow 0
		.amdhsa_exception_fp_ieee_underflow 0
		.amdhsa_exception_fp_ieee_inexact 0
		.amdhsa_exception_int_div_zero 0
	.end_amdhsa_kernel
	.section	.text._ZL15flash_attn_tileILi64ELi64ELi8ELi1ELb0EEvPKcS1_S1_S1_S1_PKiPfP15HIP_vector_typeIfLj2EEffffjfiS5_IjLj3EEiiiiiiiiiiiliiliiiiil,"axG",@progbits,_ZL15flash_attn_tileILi64ELi64ELi8ELi1ELb0EEvPKcS1_S1_S1_S1_PKiPfP15HIP_vector_typeIfLj2EEffffjfiS5_IjLj3EEiiiiiiiiiiiliiliiiiil,comdat
.Lfunc_end62:
	.size	_ZL15flash_attn_tileILi64ELi64ELi8ELi1ELb0EEvPKcS1_S1_S1_S1_PKiPfP15HIP_vector_typeIfLj2EEffffjfiS5_IjLj3EEiiiiiiiiiiiliiliiiiil, .Lfunc_end62-_ZL15flash_attn_tileILi64ELi64ELi8ELi1ELb0EEvPKcS1_S1_S1_S1_PKiPfP15HIP_vector_typeIfLj2EEffffjfiS5_IjLj3EEiiiiiiiiiiiliiliiiiil
                                        ; -- End function
	.section	.AMDGPU.csdata,"",@progbits
; Kernel info:
; codeLenInByte = 9608
; NumSgprs: 62
; NumVgprs: 89
; NumAgprs: 0
; TotalNumVgprs: 89
; ScratchSize: 32
; MemoryBound: 0
; FloatMode: 240
; IeeeMode: 1
; LDSByteSize: 6144 bytes/workgroup (compile time only)
; SGPRBlocks: 7
; VGPRBlocks: 11
; NumSGPRsForWavesPerEU: 62
; NumVGPRsForWavesPerEU: 89
; AccumOffset: 92
; Occupancy: 5
; WaveLimiterHint : 1
; COMPUTE_PGM_RSRC2:SCRATCH_EN: 1
; COMPUTE_PGM_RSRC2:USER_SGPR: 8
; COMPUTE_PGM_RSRC2:TRAP_HANDLER: 0
; COMPUTE_PGM_RSRC2:TGID_X_EN: 1
; COMPUTE_PGM_RSRC2:TGID_Y_EN: 1
; COMPUTE_PGM_RSRC2:TGID_Z_EN: 1
; COMPUTE_PGM_RSRC2:TIDIG_COMP_CNT: 1
; COMPUTE_PGM_RSRC3_GFX90A:ACCUM_OFFSET: 22
; COMPUTE_PGM_RSRC3_GFX90A:TG_SPLIT: 0
	.section	.text._ZL33flash_attn_stream_k_fixup_uniformILi64ELi8ELi1EEvPfPK15HIP_vector_typeIfLj2EEiiiiiiS1_IjLj3EES5_S5_,"axG",@progbits,_ZL33flash_attn_stream_k_fixup_uniformILi64ELi8ELi1EEvPfPK15HIP_vector_typeIfLj2EEiiiiiiS1_IjLj3EES5_S5_,comdat
	.globl	_ZL33flash_attn_stream_k_fixup_uniformILi64ELi8ELi1EEvPfPK15HIP_vector_typeIfLj2EEiiiiiiS1_IjLj3EES5_S5_ ; -- Begin function _ZL33flash_attn_stream_k_fixup_uniformILi64ELi8ELi1EEvPfPK15HIP_vector_typeIfLj2EEiiiiiiS1_IjLj3EES5_S5_
	.p2align	8
	.type	_ZL33flash_attn_stream_k_fixup_uniformILi64ELi8ELi1EEvPfPK15HIP_vector_typeIfLj2EEiiiiiiS1_IjLj3EES5_S5_,@function
_ZL33flash_attn_stream_k_fixup_uniformILi64ELi8ELi1EEvPfPK15HIP_vector_typeIfLj2EEiiiiiiS1_IjLj3EES5_S5_: ; @_ZL33flash_attn_stream_k_fixup_uniformILi64ELi8ELi1EEvPfPK15HIP_vector_typeIfLj2EEiiiiiiS1_IjLj3EES5_S5_
; %bb.0:
	s_load_dwordx8 s[12:19], s[4:5], 0x1c
	s_load_dwordx2 s[10:11], s[4:5], 0x10
	s_load_dwordx4 s[0:3], s[4:5], 0x3c
	s_waitcnt lgkmcnt(0)
	s_mul_hi_u32 s9, s15, s6
	s_add_i32 s9, s6, s9
	s_lshr_b32 s9, s9, s16
	s_mul_i32 s15, s9, s17
	s_sub_i32 s15, s6, s15
	s_mul_hi_u32 s16, s15, s18
	s_add_i32 s16, s15, s16
	s_lshr_b32 s16, s16, s19
	s_mul_i32 s0, s16, s0
	s_sub_i32 s0, s15, s0
	;; [unrolled: 5-line block ×3, first 2 shown]
	s_lshl_b32 s0, s17, 3
	s_add_i32 s0, s0, s7
	s_cmp_lt_i32 s0, s10
	s_cselect_b64 s[0:1], -1, 0
	s_add_i32 s2, s15, s8
	s_cmp_lt_i32 s2, s13
	s_cselect_b64 s[2:3], -1, 0
	s_and_b64 s[0:1], s[0:1], s[2:3]
	s_andn2_b64 vcc, exec, s[0:1]
	s_cbranch_vccnz .LBB63_6
; %bb.1:
	s_load_dwordx4 s[0:3], s[4:5], 0x0
	s_mul_i32 s4, s9, s10
	s_add_i32 s4, s4, s7
	s_mul_i32 s4, s4, s11
	s_mul_i32 s16, s16, s13
	s_add_i32 s4, s4, s8
	s_add_i32 s4, s4, s16
	s_mul_i32 s5, s11, s17
	s_add_i32 s4, s4, s15
	s_lshl_b32 s5, s5, 9
	s_lshl_b32 s4, s4, 6
	s_add_i32 s5, s5, s4
	v_or_b32_e32 v2, s5, v0
	v_ashrrev_i32_e32 v3, 31, v2
	v_lshlrev_b64 v[2:3], 2, v[2:3]
	s_waitcnt lgkmcnt(0)
	v_mov_b32_e32 v1, s1
	v_add_co_u32_e32 v2, vcc, s0, v2
	v_addc_co_u32_e32 v3, vcc, v1, v3, vcc
	global_load_dword v8, v[2:3], off
	s_add_i32 s4, s7, s8
	s_mul_i32 s7, s6, s14
	s_add_i32 s5, s7, s14
	s_lshl_b32 s0, s5, 3
	s_add_i32 s0, s4, s0
	s_add_i32 s0, s0, -8
	s_ashr_i32 s1, s0, 31
	s_lshl_b64 s[0:1], s[0:1], 3
	s_add_u32 s0, s2, s0
	s_addc_u32 s1, s3, s1
	s_load_dword s10, s[0:1], 0x4
	s_add_i32 s8, s5, -2
	s_cmp_lt_i32 s8, s7
	s_cbranch_scc1 .LBB63_4
; %bb.2:
	s_lshl_b32 s8, s12, 5
	s_ashr_i32 s9, s8, 31
	s_lshl_b64 s[8:9], s[8:9], 2
	s_add_u32 s8, s2, s8
	s_addc_u32 s11, s3, s9
	s_add_i32 s6, s6, 1
	s_add_i32 s9, s5, -1
	s_mul_i32 s5, s14, s6
	s_load_dword s0, s[0:1], 0x0
	s_lshl_b32 s1, s4, 6
	s_lshl_b32 s6, s5, 9
	s_add_i32 s1, s1, s6
	v_or_b32_e32 v0, s1, v0
	s_lshl_b32 s1, s5, 3
	s_add_i32 s1, s4, s1
	s_lshl_b32 s4, s12, 3
	s_add_i32 s1, s1, s4
	v_add_u32_e32 v0, 0xfffffc00, v0
	s_add_i32 s4, s1, -16
	s_waitcnt lgkmcnt(0)
	v_mov_b32_e32 v7, s10
	v_mov_b32_e32 v6, s0
	v_mov_b32_e32 v4, s11
	s_mov_b32 s6, 0x3fb8aa3b
	s_mov_b32 s10, 0xc2ce8ed0
	;; [unrolled: 1-line block ×3, first 2 shown]
	v_mov_b32_e32 v5, 0x7f800000
	s_mov_b32 s12, 0xc1a00000
.LBB63_3:                               ; =>This Inner Loop Header: Depth=1
	v_ashrrev_i32_e32 v1, 31, v0
	v_lshlrev_b64 v[10:11], 2, v[0:1]
	v_add_co_u32_e32 v10, vcc, s8, v10
	v_addc_co_u32_e32 v11, vcc, v4, v11, vcc
	global_load_dword v1, v[10:11], off
	s_ashr_i32 s5, s4, 31
	s_lshl_b64 s[0:1], s[4:5], 3
	s_add_u32 s0, s2, s0
	s_addc_u32 s1, s3, s1
	s_load_dwordx2 s[14:15], s[0:1], 0x0
	s_waitcnt vmcnt(1)
	v_mov_b32_e32 v9, v8
	v_max_f32_e32 v8, v6, v6
	v_mov_b32_e32 v10, v7
	s_add_i32 s9, s9, -1
	s_waitcnt lgkmcnt(0)
	v_max_f32_e64 v7, s14, s14
	v_max_f32_e32 v7, v8, v7
	v_sub_f32_e32 v11, s14, v7
	v_sub_f32_e32 v8, v6, v7
	v_mul_f32_e32 v12, 0x3fb8aa3b, v11
	v_mov_b32_e32 v6, v7
	v_mul_f32_e32 v7, 0x3fb8aa3b, v8
	v_fma_f32 v15, v11, s6, -v12
	v_rndne_f32_e32 v16, v12
	v_fma_f32 v13, v8, s6, -v7
	v_rndne_f32_e32 v14, v7
	v_fmac_f32_e32 v15, 0x32a5705f, v11
	v_sub_f32_e32 v12, v12, v16
	v_fmac_f32_e32 v13, 0x32a5705f, v8
	v_sub_f32_e32 v7, v7, v14
	v_add_f32_e32 v12, v12, v15
	v_cvt_i32_f32_e32 v16, v16
	v_add_f32_e32 v7, v7, v13
	v_exp_f32_e32 v12, v12
	v_cvt_i32_f32_e32 v14, v14
	v_exp_f32_e32 v7, v7
	v_cmp_ngt_f32_e32 vcc, s10, v11
	v_ldexp_f32 v12, v12, v16
	v_cmp_ngt_f32_e64 s[0:1], s10, v8
	v_ldexp_f32 v7, v7, v14
	v_cndmask_b32_e32 v12, 0, v12, vcc
	v_cmp_nlt_f32_e32 vcc, s11, v11
	v_cndmask_b32_e64 v7, 0, v7, s[0:1]
	v_cmp_nlt_f32_e64 s[0:1], s11, v8
	v_cndmask_b32_e32 v12, v5, v12, vcc
	v_cmp_le_f32_e32 vcc, s12, v11
	v_cndmask_b32_e64 v7, v5, v7, s[0:1]
	v_cmp_le_f32_e64 s[0:1], s12, v8
	v_cndmask_b32_e32 v8, 0, v12, vcc
	s_add_i32 s4, s4, -8
	v_cndmask_b32_e64 v11, 0, v7, s[0:1]
	v_mul_f32_e32 v7, s15, v8
	v_add_u32_e32 v0, 0xfffffe00, v0
	s_cmp_le_i32 s9, s7
	v_fmac_f32_e32 v7, v10, v11
	s_waitcnt vmcnt(0)
	v_mul_f32_e32 v8, v1, v8
	v_fmac_f32_e32 v8, v9, v11
	s_cbranch_scc0 .LBB63_3
	s_branch .LBB63_5
.LBB63_4:
	s_waitcnt lgkmcnt(0)
	v_mov_b32_e32 v7, s10
.LBB63_5:
	s_waitcnt vmcnt(0)
	v_div_scale_f32 v0, s[0:1], v7, v7, v8
	v_rcp_f32_e32 v1, v0
	v_div_scale_f32 v4, vcc, v8, v7, v8
	v_fma_f32 v5, -v0, v1, 1.0
	v_fmac_f32_e32 v1, v5, v1
	v_mul_f32_e32 v5, v4, v1
	v_fma_f32 v6, -v0, v5, v4
	v_fmac_f32_e32 v5, v6, v1
	v_fma_f32 v0, -v0, v5, v4
	v_div_fmas_f32 v0, v0, v1, v5
	v_div_fixup_f32 v0, v0, v7, v8
	global_store_dword v[2:3], v0, off
.LBB63_6:
	s_endpgm
	.section	.rodata,"a",@progbits
	.p2align	6, 0x0
	.amdhsa_kernel _ZL33flash_attn_stream_k_fixup_uniformILi64ELi8ELi1EEvPfPK15HIP_vector_typeIfLj2EEiiiiiiS1_IjLj3EES5_S5_
		.amdhsa_group_segment_fixed_size 0
		.amdhsa_private_segment_fixed_size 0
		.amdhsa_kernarg_size 76
		.amdhsa_user_sgpr_count 6
		.amdhsa_user_sgpr_private_segment_buffer 1
		.amdhsa_user_sgpr_dispatch_ptr 0
		.amdhsa_user_sgpr_queue_ptr 0
		.amdhsa_user_sgpr_kernarg_segment_ptr 1
		.amdhsa_user_sgpr_dispatch_id 0
		.amdhsa_user_sgpr_flat_scratch_init 0
		.amdhsa_user_sgpr_kernarg_preload_length 0
		.amdhsa_user_sgpr_kernarg_preload_offset 0
		.amdhsa_user_sgpr_private_segment_size 0
		.amdhsa_uses_dynamic_stack 0
		.amdhsa_system_sgpr_private_segment_wavefront_offset 0
		.amdhsa_system_sgpr_workgroup_id_x 1
		.amdhsa_system_sgpr_workgroup_id_y 1
		.amdhsa_system_sgpr_workgroup_id_z 1
		.amdhsa_system_sgpr_workgroup_info 0
		.amdhsa_system_vgpr_workitem_id 0
		.amdhsa_next_free_vgpr 17
		.amdhsa_next_free_sgpr 20
		.amdhsa_accum_offset 20
		.amdhsa_reserve_vcc 1
		.amdhsa_reserve_flat_scratch 0
		.amdhsa_float_round_mode_32 0
		.amdhsa_float_round_mode_16_64 0
		.amdhsa_float_denorm_mode_32 3
		.amdhsa_float_denorm_mode_16_64 3
		.amdhsa_dx10_clamp 1
		.amdhsa_ieee_mode 1
		.amdhsa_fp16_overflow 0
		.amdhsa_tg_split 0
		.amdhsa_exception_fp_ieee_invalid_op 0
		.amdhsa_exception_fp_denorm_src 0
		.amdhsa_exception_fp_ieee_div_zero 0
		.amdhsa_exception_fp_ieee_overflow 0
		.amdhsa_exception_fp_ieee_underflow 0
		.amdhsa_exception_fp_ieee_inexact 0
		.amdhsa_exception_int_div_zero 0
	.end_amdhsa_kernel
	.section	.text._ZL33flash_attn_stream_k_fixup_uniformILi64ELi8ELi1EEvPfPK15HIP_vector_typeIfLj2EEiiiiiiS1_IjLj3EES5_S5_,"axG",@progbits,_ZL33flash_attn_stream_k_fixup_uniformILi64ELi8ELi1EEvPfPK15HIP_vector_typeIfLj2EEiiiiiiS1_IjLj3EES5_S5_,comdat
.Lfunc_end63:
	.size	_ZL33flash_attn_stream_k_fixup_uniformILi64ELi8ELi1EEvPfPK15HIP_vector_typeIfLj2EEiiiiiiS1_IjLj3EES5_S5_, .Lfunc_end63-_ZL33flash_attn_stream_k_fixup_uniformILi64ELi8ELi1EEvPfPK15HIP_vector_typeIfLj2EEiiiiiiS1_IjLj3EES5_S5_
                                        ; -- End function
	.section	.AMDGPU.csdata,"",@progbits
; Kernel info:
; codeLenInByte = 836
; NumSgprs: 24
; NumVgprs: 17
; NumAgprs: 0
; TotalNumVgprs: 17
; ScratchSize: 0
; MemoryBound: 0
; FloatMode: 240
; IeeeMode: 1
; LDSByteSize: 0 bytes/workgroup (compile time only)
; SGPRBlocks: 2
; VGPRBlocks: 2
; NumSGPRsForWavesPerEU: 24
; NumVGPRsForWavesPerEU: 17
; AccumOffset: 20
; Occupancy: 8
; WaveLimiterHint : 0
; COMPUTE_PGM_RSRC2:SCRATCH_EN: 0
; COMPUTE_PGM_RSRC2:USER_SGPR: 6
; COMPUTE_PGM_RSRC2:TRAP_HANDLER: 0
; COMPUTE_PGM_RSRC2:TGID_X_EN: 1
; COMPUTE_PGM_RSRC2:TGID_Y_EN: 1
; COMPUTE_PGM_RSRC2:TGID_Z_EN: 1
; COMPUTE_PGM_RSRC2:TIDIG_COMP_CNT: 0
; COMPUTE_PGM_RSRC3_GFX90A:ACCUM_OFFSET: 4
; COMPUTE_PGM_RSRC3_GFX90A:TG_SPLIT: 0
	.section	.text._ZL33flash_attn_stream_k_fixup_generalILi64ELi8ELi1EEvPfPK15HIP_vector_typeIfLj2EEiiiiS1_IjLj3EES5_S5_S5_,"axG",@progbits,_ZL33flash_attn_stream_k_fixup_generalILi64ELi8ELi1EEvPfPK15HIP_vector_typeIfLj2EEiiiiS1_IjLj3EES5_S5_S5_,comdat
	.globl	_ZL33flash_attn_stream_k_fixup_generalILi64ELi8ELi1EEvPfPK15HIP_vector_typeIfLj2EEiiiiS1_IjLj3EES5_S5_S5_ ; -- Begin function _ZL33flash_attn_stream_k_fixup_generalILi64ELi8ELi1EEvPfPK15HIP_vector_typeIfLj2EEiiiiS1_IjLj3EES5_S5_S5_
	.p2align	8
	.type	_ZL33flash_attn_stream_k_fixup_generalILi64ELi8ELi1EEvPfPK15HIP_vector_typeIfLj2EEiiiiS1_IjLj3EES5_S5_S5_,@function
_ZL33flash_attn_stream_k_fixup_generalILi64ELi8ELi1EEvPfPK15HIP_vector_typeIfLj2EEiiiiS1_IjLj3EES5_S5_S5_: ; @_ZL33flash_attn_stream_k_fixup_generalILi64ELi8ELi1EEvPfPK15HIP_vector_typeIfLj2EEiiiiS1_IjLj3EES5_S5_S5_
; %bb.0:
	s_load_dwordx4 s[12:15], s[4:5], 0x10
	s_load_dword s9, s[4:5], 0x50
	s_mov_b32 s2, 0
	s_waitcnt lgkmcnt(0)
	s_mul_hi_i32 s3, s15, s6
	s_cmp_lg_u64 s[2:3], 0
	s_mul_i32 s2, s15, s6
	s_cbranch_scc0 .LBB64_21
; %bb.1:
	v_cvt_f32_u32_e32 v1, s9
	v_cvt_f32_ubyte0_e32 v2, 0
	s_sub_u32 s10, 0, s9
	s_subb_u32 s11, 0, 0
	v_madmk_f32 v1, v2, 0x4f800000, v1
	v_rcp_f32_e32 v1, v1
	v_mul_f32_e32 v1, 0x5f7ffffc, v1
	v_mul_f32_e32 v2, 0x2f800000, v1
	v_trunc_f32_e32 v2, v2
	v_madmk_f32 v1, v2, 0xcf800000, v1
	v_cvt_u32_f32_e32 v2, v2
	v_cvt_u32_f32_e32 v1, v1
	v_readfirstlane_b32 s16, v2
	v_readfirstlane_b32 s17, v1
	s_mul_i32 s18, s10, s16
	s_mul_hi_u32 s20, s10, s17
	s_mul_i32 s19, s11, s17
	s_add_i32 s18, s20, s18
	s_add_i32 s18, s18, s19
	s_mul_i32 s21, s10, s17
	s_mul_hi_u32 s19, s17, s18
	s_mul_i32 s20, s17, s18
	s_mul_hi_u32 s17, s17, s21
	s_add_u32 s17, s17, s20
	s_addc_u32 s19, 0, s19
	s_mul_hi_u32 s22, s16, s21
	s_mul_i32 s21, s16, s21
	s_add_u32 s17, s17, s21
	s_mul_hi_u32 s20, s16, s18
	s_addc_u32 s17, s19, s22
	s_addc_u32 s19, s20, 0
	s_mul_i32 s18, s16, s18
	s_add_u32 s17, s17, s18
	s_addc_u32 s18, 0, s19
	v_add_co_u32_e32 v1, vcc, s17, v1
	s_cmp_lg_u64 vcc, 0
	s_addc_u32 s16, s16, s18
	v_readfirstlane_b32 s18, v1
	s_mul_i32 s17, s10, s16
	s_mul_hi_u32 s19, s10, s18
	s_add_i32 s17, s19, s17
	s_mul_i32 s11, s11, s18
	s_add_i32 s17, s17, s11
	s_mul_i32 s10, s10, s18
	s_mul_hi_u32 s19, s16, s10
	s_mul_i32 s20, s16, s10
	s_mul_i32 s22, s18, s17
	s_mul_hi_u32 s10, s18, s10
	s_mul_hi_u32 s21, s18, s17
	s_add_u32 s10, s10, s22
	s_addc_u32 s18, 0, s21
	s_add_u32 s10, s10, s20
	s_mul_hi_u32 s11, s16, s17
	s_addc_u32 s10, s18, s19
	s_addc_u32 s11, s11, 0
	s_mul_i32 s17, s16, s17
	s_add_u32 s10, s10, s17
	s_addc_u32 s11, 0, s11
	v_add_co_u32_e32 v1, vcc, s10, v1
	s_cmp_lg_u64 vcc, 0
	s_addc_u32 s18, s16, s11
	s_ashr_i32 s10, s3, 31
	s_add_u32 s16, s2, s10
	s_mov_b32 s11, s10
	s_addc_u32 s17, s3, s10
	s_xor_b64 s[16:17], s[16:17], s[10:11]
	v_readfirstlane_b32 s20, v1
	s_mul_i32 s19, s16, s18
	s_mul_hi_u32 s21, s16, s20
	s_mul_hi_u32 s3, s16, s18
	s_add_u32 s19, s21, s19
	s_addc_u32 s3, 0, s3
	s_mul_hi_u32 s22, s17, s20
	s_mul_i32 s20, s17, s20
	s_add_u32 s19, s19, s20
	s_mul_hi_u32 s21, s17, s18
	s_addc_u32 s3, s3, s22
	s_addc_u32 s19, s21, 0
	s_mul_i32 s18, s17, s18
	s_add_u32 s3, s3, s18
	s_addc_u32 s18, 0, s19
	s_add_u32 s19, s3, 1
	s_addc_u32 s20, s18, 0
	s_add_u32 s21, s3, 2
	s_mul_i32 s23, s9, s18
	s_mul_hi_u32 s24, s9, s3
	s_addc_u32 s22, s18, 0
	s_add_i32 s24, s24, s23
	s_mul_i32 s23, s9, s3
	v_mov_b32_e32 v1, s23
	v_sub_co_u32_e32 v1, vcc, s16, v1
	s_cmp_lg_u64 vcc, 0
	s_subb_u32 s16, s17, s24
	v_subrev_co_u32_e32 v2, vcc, s9, v1
	s_cmp_lg_u64 vcc, 0
	s_subb_u32 s17, s16, 0
	v_readfirstlane_b32 s23, v2
	s_cmp_ge_u32 s23, s9
	s_cselect_b32 s23, -1, 0
	s_cmp_eq_u32 s17, 0
	s_cselect_b32 s17, s23, -1
	s_cmp_lg_u32 s17, 0
	s_cselect_b32 s17, s22, s20
	v_readfirstlane_b32 s20, v1
	s_cselect_b32 s19, s21, s19
	s_cmp_ge_u32 s20, s9
	s_cselect_b32 s20, -1, 0
	s_cmp_eq_u32 s16, 0
	s_cselect_b32 s16, s20, -1
	s_cmp_lg_u32 s16, 0
	s_cselect_b32 s17, s17, s18
	s_cselect_b32 s16, s19, s3
	s_xor_b64 s[16:17], s[16:17], s[10:11]
	s_sub_u32 s20, s16, s10
	s_load_dwordx4 s[16:19], s[4:5], 0x44
	s_cbranch_execnz .LBB64_3
.LBB64_2:
	v_cvt_f32_u32_e32 v1, s9
	s_sub_i32 s0, 0, s9
	v_rcp_iflag_f32_e32 v1, v1
	v_mul_f32_e32 v1, 0x4f7ffffe, v1
	v_cvt_u32_f32_e32 v1, v1
	v_readfirstlane_b32 s1, v1
	s_mul_i32 s0, s0, s1
	s_mul_hi_u32 s0, s1, s0
	s_add_i32 s1, s1, s0
	s_mul_hi_u32 s0, s2, s1
	s_mul_i32 s3, s0, s9
	s_sub_i32 s2, s2, s3
	s_add_i32 s1, s0, 1
	s_sub_i32 s3, s2, s9
	s_cmp_ge_u32 s2, s9
	s_cselect_b32 s0, s1, s0
	s_cselect_b32 s2, s3, s2
	s_add_i32 s1, s0, 1
	s_cmp_ge_u32 s2, s9
	s_cselect_b32 s20, s1, s0
.LBB64_3:
	s_add_i32 s0, s6, 1
	s_mul_hi_i32 s3, s15, s0
	s_mov_b32 s2, 0
	s_cmp_lg_u64 s[2:3], 0
	s_mul_i32 s2, s15, s0
	s_cbranch_scc0 .LBB64_22
; %bb.4:
	v_cvt_f32_u32_e32 v1, s9
	v_cvt_f32_ubyte0_e32 v2, 0
	s_sub_u32 s10, 0, s9
	s_subb_u32 s11, 0, 0
	v_madmk_f32 v1, v2, 0x4f800000, v1
	v_rcp_f32_e32 v1, v1
	v_mul_f32_e32 v1, 0x5f7ffffc, v1
	v_mul_f32_e32 v2, 0x2f800000, v1
	v_trunc_f32_e32 v2, v2
	v_madmk_f32 v1, v2, 0xcf800000, v1
	v_cvt_u32_f32_e32 v2, v2
	v_cvt_u32_f32_e32 v1, v1
	s_waitcnt lgkmcnt(0)
	v_readfirstlane_b32 s19, v2
	v_readfirstlane_b32 s21, v1
	s_mul_i32 s22, s10, s19
	s_mul_hi_u32 s24, s10, s21
	s_mul_i32 s23, s11, s21
	s_add_i32 s22, s24, s22
	s_add_i32 s22, s22, s23
	s_mul_i32 s25, s10, s21
	s_mul_hi_u32 s23, s21, s22
	s_mul_i32 s24, s21, s22
	s_mul_hi_u32 s21, s21, s25
	s_add_u32 s21, s21, s24
	s_addc_u32 s23, 0, s23
	s_mul_hi_u32 s26, s19, s25
	s_mul_i32 s25, s19, s25
	s_add_u32 s21, s21, s25
	s_mul_hi_u32 s24, s19, s22
	s_addc_u32 s21, s23, s26
	s_addc_u32 s23, s24, 0
	s_mul_i32 s22, s19, s22
	s_add_u32 s21, s21, s22
	s_addc_u32 s22, 0, s23
	v_add_co_u32_e32 v1, vcc, s21, v1
	s_cmp_lg_u64 vcc, 0
	s_addc_u32 s19, s19, s22
	v_readfirstlane_b32 s22, v1
	s_mul_i32 s21, s10, s19
	s_mul_hi_u32 s23, s10, s22
	s_add_i32 s21, s23, s21
	s_mul_i32 s11, s11, s22
	s_add_i32 s21, s21, s11
	s_mul_i32 s10, s10, s22
	s_mul_hi_u32 s23, s19, s10
	s_mul_i32 s24, s19, s10
	s_mul_i32 s26, s22, s21
	s_mul_hi_u32 s10, s22, s10
	s_mul_hi_u32 s25, s22, s21
	s_add_u32 s10, s10, s26
	s_addc_u32 s22, 0, s25
	s_add_u32 s10, s10, s24
	s_mul_hi_u32 s11, s19, s21
	s_addc_u32 s10, s22, s23
	s_addc_u32 s11, s11, 0
	s_mul_i32 s21, s19, s21
	s_add_u32 s10, s10, s21
	s_addc_u32 s11, 0, s11
	v_add_co_u32_e32 v1, vcc, s10, v1
	s_cmp_lg_u64 vcc, 0
	s_addc_u32 s19, s19, s11
	s_ashr_i32 s10, s3, 31
	s_add_u32 s22, s2, s10
	s_mov_b32 s11, s10
	s_addc_u32 s23, s3, s10
	s_xor_b64 s[22:23], s[22:23], s[10:11]
	v_readfirstlane_b32 s21, v1
	s_mul_i32 s11, s22, s19
	s_mul_hi_u32 s24, s22, s21
	s_mul_hi_u32 s3, s22, s19
	s_add_u32 s11, s24, s11
	s_addc_u32 s3, 0, s3
	s_mul_hi_u32 s25, s23, s21
	s_mul_i32 s21, s23, s21
	s_add_u32 s11, s11, s21
	s_mul_hi_u32 s24, s23, s19
	s_addc_u32 s3, s3, s25
	s_addc_u32 s11, s24, 0
	s_mul_i32 s19, s23, s19
	s_add_u32 s3, s3, s19
	s_addc_u32 s11, 0, s11
	s_mul_i32 s11, s9, s11
	s_mul_hi_u32 s24, s9, s3
	s_add_i32 s24, s24, s11
	s_mul_i32 s11, s9, s3
	v_mov_b32_e32 v1, s11
	s_add_u32 s19, s3, 1
	s_add_u32 s21, s3, 2
	v_sub_co_u32_e32 v1, vcc, s22, v1
	s_cmp_lg_u64 vcc, 0
	s_subb_u32 s11, s23, s24
	v_subrev_co_u32_e32 v2, vcc, s9, v1
	s_cmp_lg_u64 vcc, 0
	s_subb_u32 s22, s11, 0
	v_cmp_le_u32_e32 vcc, s9, v2
	s_cmp_eq_u32 s22, 0
	v_cndmask_b32_e64 v2, 0, -1, vcc
	s_cselect_b64 vcc, -1, 0
	v_cndmask_b32_e32 v2, -1, v2, vcc
	v_mov_b32_e32 v3, s19
	v_mov_b32_e32 v4, s21
	v_cmp_ne_u32_e32 vcc, 0, v2
	v_cndmask_b32_e32 v2, v3, v4, vcc
	v_cmp_le_u32_e32 vcc, s9, v1
	s_cmp_eq_u32 s11, 0
	v_cndmask_b32_e64 v1, 0, -1, vcc
	s_cselect_b64 vcc, -1, 0
	v_cndmask_b32_e32 v1, -1, v1, vcc
	v_mov_b32_e32 v3, s3
	v_cmp_ne_u32_e32 vcc, 0, v1
	v_cndmask_b32_e32 v1, v3, v2, vcc
	v_xor_b32_e32 v1, s10, v1
	v_subrev_co_u32_e32 v2, vcc, s10, v1
	s_cbranch_execnz .LBB64_6
.LBB64_5:
	v_cvt_f32_u32_e32 v1, s9
	s_sub_i32 s0, 0, s9
	s_mov_b32 s1, 0
	v_rcp_iflag_f32_e32 v1, v1
	v_mul_f32_e32 v1, 0x4f7ffffe, v1
	v_cvt_u32_f32_e32 v1, v1
	v_readfirstlane_b32 s3, v1
	s_mul_i32 s0, s0, s3
	s_mul_hi_u32 s0, s3, s0
	s_add_i32 s3, s3, s0
	s_mul_hi_u32 s0, s2, s3
	s_mul_i32 s10, s0, s9
	s_sub_i32 s2, s2, s10
	s_add_i32 s3, s0, 1
	s_sub_i32 s10, s2, s9
	s_cmp_ge_u32 s2, s9
	s_cselect_b32 s0, s3, s0
	s_cselect_b32 s2, s10, s2
	s_add_i32 s3, s0, 1
	s_cmp_ge_u32 s2, s9
	s_cselect_b32 s0, s3, s0
	v_pk_mov_b32 v[2:3], s[0:1], s[0:1] op_sel:[0,1]
.LBB64_6:
	s_waitcnt lgkmcnt(0)
	s_mul_hi_u32 s0, s20, s16
	s_add_i32 s0, s0, s20
	v_mul_hi_u32 v1, v2, s16
	s_lshr_b32 s19, s0, s17
	v_add_u32_e32 v1, v1, v2
	s_mul_i32 s0, s19, s18
	v_lshrrev_b32_e32 v1, s17, v1
	s_cmp_eq_u32 s0, s20
	v_cmp_eq_u32_e64 s[0:1], s19, v1
	v_mul_lo_u32 v1, v1, s18
	v_cmp_eq_u32_e32 vcc, s20, v2
	s_cselect_b64 s[10:11], -1, 0
	v_cmp_ne_u32_e64 s[2:3], v1, v2
	s_and_b64 s[0:1], s[0:1], s[2:3]
	s_or_b64 s[2:3], vcc, s[10:11]
	s_or_b64 s[0:1], s[2:3], s[0:1]
	s_and_b64 vcc, exec, s[0:1]
	s_cbranch_vccnz .LBB64_24
; %bb.7:
	s_load_dwordx8 s[24:31], s[4:5], 0x20
	s_load_dword s0, s[4:5], 0x40
	s_mov_b32 s10, 0
	s_waitcnt lgkmcnt(0)
	s_mul_hi_u32 s1, s20, s24
	s_add_i32 s1, s1, s20
	s_lshr_b32 s11, s1, s25
	s_mul_i32 s1, s11, s26
	s_sub_i32 s1, s20, s1
	s_mul_hi_u32 s2, s1, s27
	s_add_i32 s2, s1, s2
	s_lshr_b32 s25, s2, s28
	s_mul_i32 s2, s25, s29
	s_sub_i32 s1, s1, s2
	;; [unrolled: 5-line block ×3, first 2 shown]
	s_mul_hi_u32 s1, s0, s16
	s_add_i32 s0, s0, s1
	s_lshr_b32 s26, s0, s17
	s_lshl_b32 s0, s26, 3
	s_add_i32 s0, s0, s7
	s_cmp_lt_i32 s0, s12
	s_cselect_b64 s[0:1], -1, 0
	s_add_i32 s2, s24, s8
	s_cmp_lt_i32 s2, s14
	s_cselect_b64 s[2:3], -1, 0
	s_and_b64 s[0:1], s[0:1], s[2:3]
	s_andn2_b64 vcc, exec, s[0:1]
	s_cbranch_vccnz .LBB64_24
; %bb.8:
	s_load_dwordx4 s[0:3], s[4:5], 0x0
	s_lshl_b32 s4, s9, 5
	s_mov_b32 s5, s10
	s_add_i32 s21, s7, s8
	s_lshl_b64 s[4:5], s[4:5], 2
	s_waitcnt lgkmcnt(0)
	s_add_u32 s22, s2, s4
	s_mul_i32 s4, s11, s12
	s_addc_u32 s23, s3, s5
	s_add_i32 s4, s4, s7
	s_mul_i32 s4, s4, s13
	s_mul_i32 s25, s25, s14
	s_add_i32 s4, s4, s8
	s_add_i32 s4, s4, s25
	s_mul_i32 s5, s13, s26
	s_add_i32 s4, s4, s24
	s_lshl_b32 s5, s5, 9
	s_lshl_b32 s4, s4, 6
	s_add_i32 s5, s5, s4
	v_or_b32_e32 v2, s5, v0
	v_ashrrev_i32_e32 v3, 31, v2
	v_lshlrev_b64 v[2:3], 2, v[2:3]
	v_mov_b32_e32 v1, s1
	v_add_co_u32_e32 v2, vcc, s0, v2
	v_addc_co_u32_e32 v3, vcc, v1, v3, vcc
	global_load_dword v5, v[2:3], off
	v_lshl_or_b32 v4, s21, 6, v0
	v_cvt_f32_u32_e32 v0, s9
	v_cvt_f32_ubyte0_e32 v1, 0
	s_lshl_b32 s0, s6, 3
	s_add_i32 s0, s0, s21
	v_mac_f32_e32 v0, 0x4f800000, v1
	v_rcp_f32_e32 v0, v0
	v_cvt_f32_u32_e32 v1, s9
	s_ashr_i32 s1, s0, 31
	s_lshl_b64 s[0:1], s[0:1], 3
	v_mul_f32_e32 v0, 0x5f7ffffc, v0
	v_rcp_iflag_f32_e32 v1, v1
	s_add_u32 s0, s2, s0
	v_mul_f32_e32 v9, 0x2f800000, v0
	s_addc_u32 s1, s3, s1
	v_trunc_f32_e32 v10, v9
	s_load_dwordx2 s[0:1], s[0:1], 0x0
	v_mac_f32_e32 v0, 0xcf800000, v10
	v_cvt_u32_f32_e32 v9, v0
	v_mul_f32_e32 v0, 0x4f7ffffe, v1
	v_cvt_u32_f32_e32 v10, v10
	v_cvt_u32_f32_e32 v11, v0
	s_add_i32 s8, s6, -1
	s_waitcnt lgkmcnt(0)
	v_mov_b32_e32 v6, s1
	v_mov_b32_e32 v7, s0
	;; [unrolled: 1-line block ×3, first 2 shown]
	s_mov_b32 s6, 0x3fb8aa3b
	s_mov_b32 s7, 0xc2ce8ed0
	;; [unrolled: 1-line block ×4, first 2 shown]
	v_mov_b32_e32 v12, 0x7f800000
	s_mul_hi_i32 s11, s8, s15
	s_cmp_lg_u64 s[10:11], 0
	s_mul_i32 s4, s8, s15
	s_cbranch_scc0 .LBB64_15
.LBB64_9:
	s_sub_u32 s0, 0, s9
	v_readfirstlane_b32 s5, v9
	v_readfirstlane_b32 s24, v10
	s_subb_u32 s1, 0, 0
	s_mul_hi_u32 s20, s0, s5
	s_mul_i32 s25, s0, s24
	s_mul_i32 s14, s1, s5
	s_add_i32 s20, s20, s25
	s_add_i32 s20, s20, s14
	s_mul_i32 s26, s0, s5
	s_mul_hi_u32 s14, s5, s20
	s_mul_i32 s25, s5, s20
	s_mul_hi_u32 s5, s5, s26
	s_add_u32 s5, s5, s25
	s_addc_u32 s14, 0, s14
	s_mul_hi_u32 s27, s24, s26
	s_mul_i32 s26, s24, s26
	s_add_u32 s5, s5, s26
	s_mul_hi_u32 s25, s24, s20
	s_addc_u32 s5, s14, s27
	s_addc_u32 s14, s25, 0
	s_mul_i32 s20, s24, s20
	s_add_u32 s5, s5, s20
	s_addc_u32 s14, 0, s14
	v_add_co_u32_e32 v0, vcc, s5, v9
	s_cmp_lg_u64 vcc, 0
	s_addc_u32 s5, s24, s14
	v_readfirstlane_b32 s20, v0
	s_mul_i32 s14, s0, s5
	s_mul_hi_u32 s24, s0, s20
	s_add_i32 s14, s24, s14
	s_mul_i32 s1, s1, s20
	s_add_i32 s14, s14, s1
	s_mul_i32 s0, s0, s20
	s_mul_hi_u32 s24, s5, s0
	s_mul_i32 s25, s5, s0
	s_mul_i32 s27, s20, s14
	s_mul_hi_u32 s0, s20, s0
	s_mul_hi_u32 s26, s20, s14
	s_add_u32 s0, s0, s27
	s_addc_u32 s20, 0, s26
	s_add_u32 s0, s0, s25
	s_mul_hi_u32 s1, s5, s14
	s_addc_u32 s0, s20, s24
	s_addc_u32 s1, s1, 0
	s_mul_i32 s14, s5, s14
	s_add_u32 s0, s0, s14
	s_addc_u32 s1, 0, s1
	v_add_co_u32_e32 v0, vcc, s0, v0
	s_cmp_lg_u64 vcc, 0
	s_addc_u32 s5, s5, s1
	s_ashr_i32 s0, s11, 31
	s_add_u32 s24, s4, s0
	s_mov_b32 s1, s0
	s_addc_u32 s25, s11, s0
	s_xor_b64 s[24:25], s[24:25], s[0:1]
	v_readfirstlane_b32 s14, v0
	s_mul_i32 s11, s24, s5
	s_mul_hi_u32 s20, s24, s14
	s_mul_hi_u32 s1, s24, s5
	s_add_u32 s11, s20, s11
	s_addc_u32 s1, 0, s1
	s_mul_hi_u32 s26, s25, s14
	s_mul_i32 s14, s25, s14
	s_add_u32 s11, s11, s14
	s_mul_hi_u32 s20, s25, s5
	s_addc_u32 s1, s1, s26
	s_addc_u32 s11, s20, 0
	s_mul_i32 s5, s25, s5
	s_add_u32 s1, s1, s5
	s_addc_u32 s5, 0, s11
	s_mul_i32 s5, s9, s5
	s_mul_hi_u32 s20, s9, s1
	s_add_i32 s20, s20, s5
	s_mul_i32 s5, s9, s1
	v_mov_b32_e32 v0, s5
	s_add_u32 s11, s1, 1
	s_add_u32 s14, s1, 2
	v_sub_co_u32_e32 v0, vcc, s24, v0
	s_cmp_lg_u64 vcc, 0
	s_subb_u32 s5, s25, s20
	v_subrev_co_u32_e32 v1, vcc, s9, v0
	s_cmp_lg_u64 vcc, 0
	s_subb_u32 s20, s5, 0
	v_cmp_le_u32_e32 vcc, s9, v1
	s_cmp_eq_u32 s20, 0
	v_cndmask_b32_e64 v1, 0, -1, vcc
	s_cselect_b64 vcc, -1, 0
	v_cndmask_b32_e32 v1, -1, v1, vcc
	v_mov_b32_e32 v13, s11
	v_mov_b32_e32 v14, s14
	v_cmp_ne_u32_e32 vcc, 0, v1
	v_cndmask_b32_e32 v1, v13, v14, vcc
	v_cmp_le_u32_e32 vcc, s9, v0
	s_cmp_eq_u32 s5, 0
	v_cndmask_b32_e64 v0, 0, -1, vcc
	s_cselect_b64 vcc, -1, 0
	v_cndmask_b32_e32 v0, -1, v0, vcc
	v_mov_b32_e32 v13, s1
	v_cmp_ne_u32_e32 vcc, 0, v0
	v_cndmask_b32_e32 v0, v13, v1, vcc
	v_xor_b32_e32 v0, s0, v0
	v_subrev_co_u32_e32 v0, vcc, s0, v0
	s_cbranch_execnz .LBB64_11
.LBB64_10:
	s_sub_i32 s0, 0, s9
	v_mul_lo_u32 v0, s0, v11
	v_mul_hi_u32 v0, v11, v0
	v_add_u32_e32 v0, v11, v0
	v_mul_hi_u32 v0, s4, v0
	v_mul_lo_u32 v13, v0, s9
	v_sub_u32_e32 v13, s4, v13
	v_add_u32_e32 v1, 1, v0
	v_subrev_u32_e32 v14, s9, v13
	v_cmp_le_u32_e32 vcc, s9, v13
	v_cndmask_b32_e32 v13, v13, v14, vcc
	v_cndmask_b32_e32 v0, v0, v1, vcc
	v_add_u32_e32 v1, 1, v0
	v_cmp_le_u32_e32 vcc, s9, v13
	v_cndmask_b32_e32 v0, v0, v1, vcc
.LBB64_11:
	v_cmp_ne_u32_e32 vcc, v8, v0
	s_cbranch_vccz .LBB64_14
; %bb.12:
	s_add_i32 s0, s8, s9
	s_lshl_b32 s0, s0, 3
	v_mul_hi_u32 v1, v0, s16
	s_add_i32 s0, s0, s21
	s_mov_b32 s1, s10
	v_add_u32_e32 v1, v1, v0
	s_lshl_b64 s[0:1], s[0:1], 3
	v_lshrrev_b32_e32 v1, s17, v1
	s_add_u32 s4, s2, s0
	v_mul_lo_u32 v13, v1, s18
	s_addc_u32 s5, s3, s1
	v_cmp_eq_u32_e32 vcc, v13, v0
	v_cmp_gt_u32_e64 s[0:1], s19, v1
	s_or_b64 s[0:1], s[0:1], vcc
	s_and_b64 vcc, exec, s[0:1]
	s_cbranch_vccnz .LBB64_16
; %bb.13:
	s_add_i32 s11, s8, -1
	s_mov_b64 s[0:1], 0
	s_branch .LBB64_17
.LBB64_14:
                                        ; implicit-def: $sgpr0_sgpr1
                                        ; implicit-def: $vgpr14
                                        ; implicit-def: $vgpr1
                                        ; implicit-def: $vgpr13
                                        ; implicit-def: $sgpr11
                                        ; implicit-def: $vgpr0
	s_branch .LBB64_18
.LBB64_15:
                                        ; implicit-def: $vgpr0_vgpr1
	s_branch .LBB64_10
.LBB64_16:
	s_mov_b64 s[0:1], -1
	s_mov_b32 s11, s8
	v_mov_b32_e32 v0, v8
.LBB64_17:
	v_lshl_add_u32 v14, s8, 9, v4
	v_ashrrev_i32_e32 v15, 31, v14
	v_lshlrev_b64 v[14:15], 2, v[14:15]
	v_mov_b32_e32 v1, s23
	v_add_co_u32_e32 v14, vcc, s22, v14
	v_addc_co_u32_e32 v15, vcc, v1, v15, vcc
	global_load_dword v14, v[14:15], off
	s_load_dwordx2 s[4:5], s[4:5], 0x0
	v_max_f32_e32 v1, v7, v7
	s_waitcnt lgkmcnt(0)
	v_max_f32_e64 v13, s4, s4
	v_max_f32_e32 v1, v1, v13
	v_sub_f32_e32 v13, v7, v1
	v_sub_f32_e32 v15, s4, v1
	v_mul_f32_e32 v16, 0x3fb8aa3b, v13
	v_mul_f32_e32 v17, 0x3fb8aa3b, v15
	v_fma_f32 v18, v13, s6, -v16
	v_rndne_f32_e32 v19, v16
	v_fma_f32 v20, v15, s6, -v17
	v_rndne_f32_e32 v21, v17
	v_fmac_f32_e32 v18, 0x32a5705f, v13
	v_sub_f32_e32 v16, v16, v19
	v_fmac_f32_e32 v20, 0x32a5705f, v15
	v_sub_f32_e32 v17, v17, v21
	v_add_f32_e32 v16, v16, v18
	v_cvt_i32_f32_e32 v19, v19
	v_add_f32_e32 v17, v17, v20
	v_exp_f32_e32 v16, v16
	v_cvt_i32_f32_e32 v21, v21
	v_exp_f32_e32 v17, v17
	v_cmp_ngt_f32_e32 vcc, s7, v13
	v_ldexp_f32 v16, v16, v19
	v_cndmask_b32_e32 v16, 0, v16, vcc
	v_ldexp_f32 v17, v17, v21
	v_cmp_ngt_f32_e32 vcc, s7, v15
	v_cndmask_b32_e32 v17, 0, v17, vcc
	v_cmp_nlt_f32_e32 vcc, s12, v13
	v_cndmask_b32_e32 v16, v12, v16, vcc
	v_cmp_nlt_f32_e32 vcc, s12, v15
	v_cndmask_b32_e32 v17, v12, v17, vcc
	v_cmp_le_f32_e32 vcc, s13, v13
	v_cndmask_b32_e32 v16, 0, v16, vcc
	v_cmp_le_f32_e32 vcc, s13, v15
	v_cndmask_b32_e32 v15, 0, v17, vcc
	v_mul_f32_e32 v13, s5, v15
	v_fmac_f32_e32 v13, v6, v16
	s_waitcnt vmcnt(0)
	v_mul_f32_e32 v14, v14, v15
	v_fmac_f32_e32 v14, v5, v16
	s_cbranch_execnz .LBB64_19
.LBB64_18:
	s_add_i32 s11, s8, -1
	s_mov_b64 s[0:1], 0
	v_mov_b32_e32 v0, v8
	v_mov_b32_e32 v13, v6
	;; [unrolled: 1-line block ×3, first 2 shown]
	s_waitcnt vmcnt(0)
	v_mov_b32_e32 v14, v5
.LBB64_19:
	s_andn2_b64 vcc, exec, s[0:1]
	s_cbranch_vccz .LBB64_23
; %bb.20:
	v_mov_b32_e32 v8, v0
	s_mov_b32 s8, s11
	v_mov_b32_e32 v6, v13
	v_mov_b32_e32 v7, v1
	s_waitcnt vmcnt(0)
	v_mov_b32_e32 v5, v14
	s_mul_hi_i32 s11, s8, s15
	s_cmp_lg_u64 s[10:11], 0
	s_mul_i32 s4, s8, s15
	s_cbranch_scc1 .LBB64_9
	s_branch .LBB64_15
.LBB64_21:
                                        ; implicit-def: $sgpr20_sgpr21
	s_load_dwordx4 s[16:19], s[4:5], 0x44
	s_branch .LBB64_2
.LBB64_22:
                                        ; implicit-def: $vgpr2_vgpr3
	s_branch .LBB64_5
.LBB64_23:
	v_div_scale_f32 v0, s[0:1], v13, v13, v14
	v_rcp_f32_e32 v1, v0
	v_div_scale_f32 v4, vcc, v14, v13, v14
	s_waitcnt vmcnt(0)
	v_fma_f32 v5, -v0, v1, 1.0
	v_fmac_f32_e32 v1, v5, v1
	v_mul_f32_e32 v5, v4, v1
	v_fma_f32 v6, -v0, v5, v4
	v_fmac_f32_e32 v5, v6, v1
	v_fma_f32 v0, -v0, v5, v4
	v_div_fmas_f32 v0, v0, v1, v5
	v_div_fixup_f32 v0, v0, v13, v14
	global_store_dword v[2:3], v0, off
.LBB64_24:
	s_endpgm
	.section	.rodata,"a",@progbits
	.p2align	6, 0x0
	.amdhsa_kernel _ZL33flash_attn_stream_k_fixup_generalILi64ELi8ELi1EEvPfPK15HIP_vector_typeIfLj2EEiiiiS1_IjLj3EES5_S5_S5_
		.amdhsa_group_segment_fixed_size 0
		.amdhsa_private_segment_fixed_size 0
		.amdhsa_kernarg_size 336
		.amdhsa_user_sgpr_count 6
		.amdhsa_user_sgpr_private_segment_buffer 1
		.amdhsa_user_sgpr_dispatch_ptr 0
		.amdhsa_user_sgpr_queue_ptr 0
		.amdhsa_user_sgpr_kernarg_segment_ptr 1
		.amdhsa_user_sgpr_dispatch_id 0
		.amdhsa_user_sgpr_flat_scratch_init 0
		.amdhsa_user_sgpr_kernarg_preload_length 0
		.amdhsa_user_sgpr_kernarg_preload_offset 0
		.amdhsa_user_sgpr_private_segment_size 0
		.amdhsa_uses_dynamic_stack 0
		.amdhsa_system_sgpr_private_segment_wavefront_offset 0
		.amdhsa_system_sgpr_workgroup_id_x 1
		.amdhsa_system_sgpr_workgroup_id_y 1
		.amdhsa_system_sgpr_workgroup_id_z 1
		.amdhsa_system_sgpr_workgroup_info 0
		.amdhsa_system_vgpr_workitem_id 0
		.amdhsa_next_free_vgpr 22
		.amdhsa_next_free_sgpr 32
		.amdhsa_accum_offset 24
		.amdhsa_reserve_vcc 1
		.amdhsa_reserve_flat_scratch 0
		.amdhsa_float_round_mode_32 0
		.amdhsa_float_round_mode_16_64 0
		.amdhsa_float_denorm_mode_32 3
		.amdhsa_float_denorm_mode_16_64 3
		.amdhsa_dx10_clamp 1
		.amdhsa_ieee_mode 1
		.amdhsa_fp16_overflow 0
		.amdhsa_tg_split 0
		.amdhsa_exception_fp_ieee_invalid_op 0
		.amdhsa_exception_fp_denorm_src 0
		.amdhsa_exception_fp_ieee_div_zero 0
		.amdhsa_exception_fp_ieee_overflow 0
		.amdhsa_exception_fp_ieee_underflow 0
		.amdhsa_exception_fp_ieee_inexact 0
		.amdhsa_exception_int_div_zero 0
	.end_amdhsa_kernel
	.section	.text._ZL33flash_attn_stream_k_fixup_generalILi64ELi8ELi1EEvPfPK15HIP_vector_typeIfLj2EEiiiiS1_IjLj3EES5_S5_S5_,"axG",@progbits,_ZL33flash_attn_stream_k_fixup_generalILi64ELi8ELi1EEvPfPK15HIP_vector_typeIfLj2EEiiiiS1_IjLj3EES5_S5_S5_,comdat
.Lfunc_end64:
	.size	_ZL33flash_attn_stream_k_fixup_generalILi64ELi8ELi1EEvPfPK15HIP_vector_typeIfLj2EEiiiiS1_IjLj3EES5_S5_S5_, .Lfunc_end64-_ZL33flash_attn_stream_k_fixup_generalILi64ELi8ELi1EEvPfPK15HIP_vector_typeIfLj2EEiiiiS1_IjLj3EES5_S5_S5_
                                        ; -- End function
	.section	.AMDGPU.csdata,"",@progbits
; Kernel info:
; codeLenInByte = 2816
; NumSgprs: 36
; NumVgprs: 22
; NumAgprs: 0
; TotalNumVgprs: 22
; ScratchSize: 0
; MemoryBound: 0
; FloatMode: 240
; IeeeMode: 1
; LDSByteSize: 0 bytes/workgroup (compile time only)
; SGPRBlocks: 4
; VGPRBlocks: 2
; NumSGPRsForWavesPerEU: 36
; NumVGPRsForWavesPerEU: 22
; AccumOffset: 24
; Occupancy: 8
; WaveLimiterHint : 0
; COMPUTE_PGM_RSRC2:SCRATCH_EN: 0
; COMPUTE_PGM_RSRC2:USER_SGPR: 6
; COMPUTE_PGM_RSRC2:TRAP_HANDLER: 0
; COMPUTE_PGM_RSRC2:TGID_X_EN: 1
; COMPUTE_PGM_RSRC2:TGID_Y_EN: 1
; COMPUTE_PGM_RSRC2:TGID_Z_EN: 1
; COMPUTE_PGM_RSRC2:TIDIG_COMP_CNT: 0
; COMPUTE_PGM_RSRC3_GFX90A:ACCUM_OFFSET: 5
; COMPUTE_PGM_RSRC3_GFX90A:TG_SPLIT: 0
	.section	.text._ZL15flash_attn_tileILi64ELi64ELi4ELi1ELb0EEvPKcS1_S1_S1_S1_PKiPfP15HIP_vector_typeIfLj2EEffffjfiS5_IjLj3EEiiiiiiiiiiiliiliiiiil,"axG",@progbits,_ZL15flash_attn_tileILi64ELi64ELi4ELi1ELb0EEvPKcS1_S1_S1_S1_PKiPfP15HIP_vector_typeIfLj2EEffffjfiS5_IjLj3EEiiiiiiiiiiiliiliiiiil,comdat
	.globl	_ZL15flash_attn_tileILi64ELi64ELi4ELi1ELb0EEvPKcS1_S1_S1_S1_PKiPfP15HIP_vector_typeIfLj2EEffffjfiS5_IjLj3EEiiiiiiiiiiiliiliiiiil ; -- Begin function _ZL15flash_attn_tileILi64ELi64ELi4ELi1ELb0EEvPKcS1_S1_S1_S1_PKiPfP15HIP_vector_typeIfLj2EEffffjfiS5_IjLj3EEiiiiiiiiiiiliiliiiiil
	.p2align	8
	.type	_ZL15flash_attn_tileILi64ELi64ELi4ELi1ELb0EEvPKcS1_S1_S1_S1_PKiPfP15HIP_vector_typeIfLj2EEffffjfiS5_IjLj3EEiiiiiiiiiiiliiliiiiil,@function
_ZL15flash_attn_tileILi64ELi64ELi4ELi1ELb0EEvPKcS1_S1_S1_S1_PKiPfP15HIP_vector_typeIfLj2EEffffjfiS5_IjLj3EEiiiiiiiiiiiliiliiiiil: ; @_ZL15flash_attn_tileILi64ELi64ELi4ELi1ELb0EEvPKcS1_S1_S1_S1_PKiPfP15HIP_vector_typeIfLj2EEffffjfiS5_IjLj3EEiiiiiiiiiiiliiliiiiil
; %bb.0:
	s_load_dwordx4 s[36:39], s[4:5], 0x5c
	s_load_dwordx2 s[14:15], s[4:5], 0x80
	s_add_u32 flat_scratch_lo, s6, s11
	s_addc_u32 flat_scratch_hi, s7, 0
	s_add_u32 s0, s0, s11
	s_waitcnt lgkmcnt(0)
	v_cvt_f32_u32_e32 v1, s39
	s_addc_u32 s1, s1, 0
	s_sub_i32 s6, 0, s39
	s_load_dwordx16 s[16:31], s[4:5], 0x0
	v_rcp_iflag_f32_e32 v1, v1
	s_load_dwordx2 s[46:47], s[4:5], 0xb8
	s_mov_b64 s[44:45], 0
	v_mul_f32_e32 v1, 0x4f7ffffe, v1
	v_cvt_u32_f32_e32 v1, v1
	v_readfirstlane_b32 s7, v1
	s_mul_i32 s6, s6, s7
	s_mul_hi_u32 s6, s7, s6
	s_add_i32 s7, s7, s6
	s_mul_hi_u32 s6, s10, s7
	s_mul_i32 s7, s6, s39
	s_sub_i32 s7, s10, s7
	s_add_i32 s11, s6, 1
	s_sub_i32 s12, s7, s39
	s_cmp_ge_u32 s7, s39
	s_cselect_b32 s6, s11, s6
	s_cselect_b32 s7, s12, s7
	s_add_i32 s11, s6, 1
	s_cmp_ge_u32 s7, s39
	s_cselect_b32 s33, s11, s6
	s_abs_i32 s6, s15
	v_cvt_f32_u32_e32 v1, s6
	s_mul_i32 s12, s33, s39
	s_sub_i32 s13, 0, s6
	s_sub_i32 s34, s10, s12
	v_rcp_iflag_f32_e32 v1, v1
	s_abs_i32 s11, s39
	s_xor_b32 s7, s39, s15
	s_ashr_i32 s7, s7, 31
	v_mul_f32_e32 v1, 0x4f7ffffe, v1
	v_cvt_u32_f32_e32 v1, v1
	v_readfirstlane_b32 s10, v1
	s_mul_i32 s13, s13, s10
	s_mul_hi_u32 s12, s10, s13
	s_add_i32 s10, s10, s12
	s_mul_hi_u32 s10, s11, s10
	s_mul_i32 s12, s10, s6
	s_sub_i32 s11, s11, s12
	s_add_i32 s13, s10, 1
	s_sub_i32 s12, s11, s6
	s_cmp_ge_u32 s11, s6
	s_cselect_b32 s10, s13, s10
	s_cselect_b32 s11, s12, s11
	s_add_i32 s12, s10, 1
	s_cmp_ge_u32 s11, s6
	s_cselect_b32 s6, s12, s10
	s_xor_b32 s6, s6, s7
	s_sub_i32 s15, s6, s7
	s_abs_i32 s48, s15
	v_cvt_f32_u32_e32 v1, s48
	s_sub_i32 s6, 0, s48
	s_abs_i32 s49, s34
	v_rcp_iflag_f32_e32 v1, v1
	v_mul_f32_e32 v1, 0x4f7ffffe, v1
	v_cvt_u32_f32_e32 v1, v1
	v_readfirstlane_b32 s7, v1
	s_mul_i32 s6, s6, s7
	s_mul_hi_u32 s6, s7, s6
	s_add_i32 s6, s7, s6
	s_waitcnt lgkmcnt(0)
	s_cmp_eq_u64 s[22:23], 0
	s_cbranch_scc1 .LBB65_2
; %bb.1:
	s_abs_i32 s7, s46
	v_cvt_f32_u32_e32 v1, s7
	s_sub_i32 s35, 0, s7
	s_abs_i32 s13, s33
	s_ashr_i32 s12, s33, 31
	v_rcp_iflag_f32_e32 v1, v1
	s_load_dwordx2 s[10:11], s[4:5], 0xc8
	v_mul_f32_e32 v1, 0x4f7ffffe, v1
	v_cvt_u32_f32_e32 v1, v1
	v_readfirstlane_b32 s40, v1
	s_mul_i32 s35, s35, s40
	s_mul_hi_u32 s35, s40, s35
	s_add_i32 s40, s40, s35
	s_mul_hi_u32 s35, s13, s40
	s_mul_i32 s35, s35, s7
	s_sub_i32 s13, s13, s35
	s_sub_i32 s35, s13, s7
	s_cmp_ge_u32 s13, s7
	s_cselect_b32 s13, s35, s13
	s_sub_i32 s35, s13, s7
	s_cmp_ge_u32 s13, s7
	s_cselect_b32 s7, s35, s13
	s_xor_b32 s7, s7, s12
	s_sub_i32 s7, s7, s12
	s_ashr_i32 s12, s7, 31
	s_waitcnt lgkmcnt(0)
	s_mul_i32 s11, s7, s11
	s_mul_hi_u32 s13, s7, s10
	s_add_i32 s11, s13, s11
	s_mul_i32 s12, s12, s10
	s_add_i32 s11, s11, s12
	s_mul_i32 s7, s7, s10
	s_add_u32 s44, s22, s7
	s_addc_u32 s45, s23, s11
.LBB65_2:
	s_load_dwordx4 s[40:43], s[4:5], 0x40
	s_mul_hi_u32 s22, s49, s6
	s_load_dword s6, s[4:5], 0x50
	v_mov_b32_e32 v29, 1.0
	s_waitcnt lgkmcnt(0)
	v_cmp_le_f32_e64 s[10:11], s41, 0
	s_and_b64 vcc, exec, s[10:11]
	s_cbranch_vccnz .LBB65_4
; %bb.3:
	s_sub_i32 s7, s34, s6
	s_lshl_b32 s7, s7, 1
	s_add_i32 s10, s34, 1
	s_or_b32 s11, s7, 1
	s_cmp_lt_u32 s34, s6
	s_cselect_b64 vcc, -1, 0
	s_and_b64 s[6:7], vcc, exec
	v_mov_b32_e32 v1, s43
	v_mov_b32_e32 v2, s42
	s_cselect_b32 s6, s10, s11
	v_cndmask_b32_e32 v18, v1, v2, vcc
	v_cvt_f32_i32_e32 v1, s6
	v_cmp_neq_f32_e32 vcc, 1.0, v18
	s_mov_b32 s6, 0x3f2aaaab
	s_movk_i32 s10, 0x204
	v_cndmask_b32_e32 v19, 1.0, v1, vcc
	v_cmp_eq_f32_e32 vcc, 0, v19
	v_cndmask_b32_e64 v20, |v18|, 1.0, vcc
	v_frexp_mant_f32_e32 v1, v20
	v_cmp_gt_f32_e64 s[6:7], s6, v1
	v_cndmask_b32_e64 v2, 1.0, 2.0, s[6:7]
	v_mul_f32_e32 v1, v1, v2
	v_add_f32_e32 v2, 1.0, v1
	v_rcp_f32_e32 v10, v2
	v_add_f32_e32 v3, -1.0, v2
	v_sub_f32_e32 v5, v1, v3
	v_add_f32_e32 v3, -1.0, v1
	v_mul_f32_e32 v1, v3, v10
	v_mul_f32_e32 v4, v2, v1
	v_fma_f32 v6, v1, v2, -v4
	v_fmac_f32_e32 v6, v1, v5
	v_add_f32_e32 v2, v4, v6
	v_sub_f32_e32 v5, v3, v2
	v_pk_add_f32 v[8:9], v[2:3], v[4:5] neg_lo:[0,1] neg_hi:[0,1]
	v_mov_b32_e32 v7, v2
	v_pk_add_f32 v[2:3], v[8:9], v[6:7] neg_lo:[0,1] neg_hi:[0,1]
	v_add_f32_e32 v2, v2, v3
	v_add_f32_e32 v2, v5, v2
	v_mul_f32_e32 v3, v10, v2
	v_add_f32_e32 v2, v1, v3
	v_sub_f32_e32 v1, v2, v1
	v_sub_f32_e32 v1, v3, v1
	v_mul_f32_e32 v3, v2, v2
	v_fma_f32 v5, v2, v2, -v3
	v_add_f32_e32 v4, v1, v1
	v_fmac_f32_e32 v5, v2, v4
	v_add_f32_e32 v4, v3, v5
	v_mov_b32_e32 v6, 0x3e91f4c4
	v_fmac_f32_e32 v6, 0x3e76c4e1, v4
	v_mov_b32_e32 v7, 0x3ecccdef
	v_fmac_f32_e32 v7, v4, v6
	v_sub_f32_e32 v3, v4, v3
	v_sub_f32_e32 v12, v5, v3
	v_mul_f32_e32 v3, v4, v7
	v_fma_f32 v5, v4, v7, -v3
	v_fmac_f32_e32 v5, v12, v7
	v_add_f32_e32 v6, v3, v5
	v_add_f32_e32 v7, 0x3f2aaaaa, v6
	v_sub_f32_e32 v3, v6, v3
	v_sub_f32_e32 v3, v5, v3
	v_add_f32_e32 v5, 0xbf2aaaaa, v7
	v_add_f32_e32 v3, 0x31739010, v3
	v_sub_f32_e32 v5, v6, v5
	v_pk_mul_f32 v[8:9], v[2:3], v[4:5]
	v_fma_f32 v6, v4, v2, -v8
	v_pk_add_f32 v[10:11], v[2:3], v[4:5]
	v_fmac_f32_e32 v6, v4, v1
	v_mov_b32_e32 v9, v11
	v_fmac_f32_e32 v6, v12, v2
	v_pk_add_f32 v[4:5], v[8:9], v[6:7]
	v_sub_f32_e32 v3, v4, v8
	v_sub_f32_e32 v3, v6, v3
	;; [unrolled: 1-line block ×3, first 2 shown]
	v_add_f32_e32 v9, v11, v6
	v_mov_b32_e32 v6, v5
	v_pk_mul_f32 v[6:7], v[4:5], v[6:7]
	v_cvt_f64_f32_e32 v[10:11], v20
	v_frexp_exp_i32_f64_e32 v7, v[10:11]
	v_subbrev_co_u32_e64 v7, s[6:7], 0, v7, s[6:7]
	v_cvt_f32_i32_e32 v7, v7
	v_fma_f32 v8, v4, v5, -v6
	v_fmac_f32_e32 v8, v4, v9
	s_mov_b32 s6, 0x3f317218
	v_mul_f32_e32 v4, 0x3f317218, v7
	v_fmac_f32_e32 v8, v3, v5
	v_fma_f32 v10, v7, s6, -v4
	v_fmac_f32_e32 v10, 0xb102e308, v7
	v_ldexp_f32 v11, v2, 1
	v_add_f32_e32 v5, v6, v8
	v_pk_add_f32 v[2:3], v[4:5], v[10:11]
	v_mov_b32_e32 v12, v5
	v_mov_b32_e32 v13, v3
	;; [unrolled: 1-line block ×3, first 2 shown]
	v_pk_add_f32 v[6:7], v[12:13], v[6:7] neg_lo:[0,1] neg_hi:[0,1]
	v_mov_b32_e32 v9, v5
	v_ldexp_f32 v1, v1, 1
	v_pk_add_f32 v[6:7], v[8:9], v[6:7] neg_lo:[0,1] neg_hi:[0,1]
	v_add_f32_e32 v1, v1, v6
	v_add_f32_e32 v5, v1, v7
	v_pk_add_f32 v[6:7], v[2:3], v[4:5] neg_lo:[0,1] neg_hi:[0,1]
	v_pk_add_f32 v[8:9], v[2:3], v[4:5]
	v_mov_b32_e32 v12, v6
	v_mov_b32_e32 v13, v9
	;; [unrolled: 1-line block ×3, first 2 shown]
	v_pk_add_f32 v[12:13], v[10:11], v[12:13]
	v_mov_b32_e32 v4, v13
	v_pk_add_f32 v[14:15], v[4:5], v[2:3] neg_lo:[0,1] neg_hi:[0,1]
	v_mov_b32_e32 v1, v14
	v_mov_b32_e32 v12, v9
	;; [unrolled: 1-line block ×4, first 2 shown]
	v_pk_add_f32 v[6:7], v[10:11], v[6:7] neg_lo:[0,1] neg_hi:[0,1]
	v_pk_add_f32 v[16:17], v[8:9], v[0:1] neg_lo:[0,1] neg_hi:[0,1]
	;; [unrolled: 1-line block ×3, first 2 shown]
	v_mov_b32_e32 v10, v5
	v_pk_add_f32 v[2:3], v[10:11], v[2:3] neg_lo:[0,1] neg_hi:[0,1]
	v_mov_b32_e32 v16, v6
	v_pk_add_f32 v[8:9], v[16:17], v[2:3]
	v_mov_b32_e32 v10, v9
	v_pk_add_f32 v[10:11], v[8:9], v[10:11]
	v_pk_add_f32 v[4:5], v[4:5], v[10:11]
	v_mov_b32_e32 v7, v13
	v_mov_b32_e32 v9, v4
	v_pk_add_f32 v[12:13], v[8:9], v[6:7] neg_lo:[0,1] neg_hi:[0,1]
	v_mov_b32_e32 v3, v10
	v_sub_f32_e32 v1, v8, v12
	v_pk_add_f32 v[2:3], v[2:3], v[12:13] neg_lo:[0,1] neg_hi:[0,1]
	v_sub_f32_e32 v1, v6, v1
	v_add_f32_e32 v1, v2, v1
	v_add_f32_e32 v1, v1, v3
	;; [unrolled: 1-line block ×3, first 2 shown]
	v_sub_f32_e32 v3, v2, v4
	v_sub_f32_e32 v1, v1, v3
	v_mul_f32_e32 v3, v19, v2
	v_fma_f32 v2, v19, v2, -v3
	v_fmac_f32_e32 v2, v19, v1
	v_add_f32_e32 v1, v3, v2
	v_cmp_class_f32_e64 s[6:7], v3, s10
	v_sub_f32_e32 v4, v1, v3
	v_cndmask_b32_e64 v1, v1, v3, s[6:7]
	s_mov_b32 s12, 0x42b17218
	v_mov_b32_e32 v3, 0x37000000
	v_cmp_eq_f32_e64 s[6:7], s12, v1
	v_cndmask_b32_e64 v3, 0, v3, s[6:7]
	v_sub_f32_e32 v2, v2, v4
	v_sub_f32_e32 v4, v1, v3
	s_mov_b32 s6, 0x3fb8aa3b
	v_mul_f32_e32 v5, 0x3fb8aa3b, v4
	v_fma_f32 v6, v4, s6, -v5
	v_rndne_f32_e32 v7, v5
	v_fmac_f32_e32 v6, 0x32a5705f, v4
	v_sub_f32_e32 v5, v5, v7
	v_add_f32_e32 v5, v5, v6
	v_exp_f32_e32 v5, v5
	v_cvt_i32_f32_e32 v6, v7
	s_mov_b32 s11, 0x7f800000
	v_cmp_neq_f32_e64 s[6:7], |v1|, s11
	v_cndmask_b32_e64 v1, 0, v2, s[6:7]
	s_mov_b32 s6, 0xc2ce8ed0
	v_ldexp_f32 v2, v5, v6
	v_cmp_ngt_f32_e64 s[6:7], s6, v4
	v_add_f32_e32 v1, v3, v1
	v_cndmask_b32_e64 v2, 0, v2, s[6:7]
	v_mov_b32_e32 v3, 0x7f800000
	v_cmp_nlt_f32_e64 s[6:7], s12, v4
	v_cndmask_b32_e64 v2, v3, v2, s[6:7]
	v_fma_f32 v1, v2, v1, v2
	v_cmp_class_f32_e64 s[6:7], v2, s10
	v_trunc_f32_e32 v4, v19
	v_cndmask_b32_e64 v1, v1, v2, s[6:7]
	v_cndmask_b32_e64 v2, v18, 1.0, vcc
	v_cmp_eq_f32_e32 vcc, v4, v19
	v_mul_f32_e32 v4, 0.5, v19
	v_trunc_f32_e32 v6, v4
	v_cmp_neq_f32_e64 s[6:7], v6, v4
	s_and_b64 s[6:7], vcc, s[6:7]
	v_cndmask_b32_e64 v4, 1.0, v2, s[6:7]
	s_brev_b32 s23, -2
	v_mov_b32_e32 v5, 0x7fc00000
	v_bfi_b32 v1, s23, v1, v4
	v_cndmask_b32_e32 v4, v5, v1, vcc
	v_cmp_gt_f32_e32 vcc, 0, v2
	v_cndmask_b32_e32 v1, v1, v4, vcc
	v_cmp_eq_f32_e32 vcc, s11, v20
	v_cmp_eq_f32_e64 s[10:11], 0, v2
	v_cmp_gt_f32_e64 s[12:13], 0, v19
	s_xor_b64 s[12:13], s[12:13], s[10:11]
	v_cndmask_b32_e64 v3, v3, 0, s[12:13]
	v_cndmask_b32_e64 v4, 0, v2, s[6:7]
	v_bfi_b32 v3, s23, v3, v4
	s_or_b64 vcc, vcc, s[10:11]
	v_cndmask_b32_e32 v1, v1, v3, vcc
	v_cmp_o_f32_e32 vcc, v2, v2
	v_cndmask_b32_e32 v29, v5, v1, vcc
.LBB65_4:
	s_load_dwordx4 s[52:55], s[4:5], 0x70
	v_bfe_u32 v32, v0, 10, 10
	v_lshl_add_u32 v1, s8, 2, v32
	s_ashr_i32 s35, s34, 31
	s_ashr_i32 s6, s15, 31
	s_waitcnt lgkmcnt(0)
	s_mul_i32 s7, s33, s54
	s_ashr_i32 s11, s7, 31
	v_mul_hi_u32 v2, s36, v1
	s_mul_i32 s10, s34, s53
	s_add_u32 s7, s16, s7
	v_add_u32_e32 v2, v1, v2
	s_addc_u32 s11, s17, s11
	s_ashr_i32 s12, s10, 31
	v_lshrrev_b32_e32 v2, s37, v2
	s_add_u32 s7, s7, s10
	v_mul_lo_u32 v2, v2, s38
	s_addc_u32 s12, s11, s12
	v_sub_u32_e32 v31, v1, v2
	s_ashr_i32 s13, s52, 31
	v_mov_b32_e32 v2, s52
	v_alignbit_b32 v2, s13, v2, 2
	v_mad_u64_u32 v[2:3], s[10:11], v2, v31, 0
	v_mov_b32_e32 v4, v3
	s_lshr_b32 s10, s13, 2
	v_mad_u64_u32 v[4:5], s[10:11], s10, v31, v[4:5]
	v_mov_b32_e32 v3, v4
	v_lshlrev_b64 v[2:3], 2, v[2:3]
	v_and_b32_e32 v0, 0x3ff, v0
	v_mov_b32_e32 v4, s12
	v_add_co_u32_e32 v2, vcc, s7, v2
	v_addc_co_u32_e32 v3, vcc, v4, v3, vcc
	v_lshlrev_b32_e32 v4, 3, v0
	v_add_co_u32_e32 v2, vcc, v2, v4
	v_addc_co_u32_e32 v3, vcc, 0, v3, vcc
	global_load_dwordx2 v[2:3], v[2:3], off
	v_lshlrev_b32_e32 v4, 5, v32
	v_mov_b32_e32 v26, 0
	v_add_lshl_u32 v4, v4, v0, 2
	s_cmp_eq_u64 s[26:27], 0
	s_waitcnt vmcnt(0)
	v_fma_mixlo_f16 v2, v2, s40, 0
	v_fma_mixhi_f16 v2, v3, s40, 0
	ds_write_b32 v4, v2 offset:9728
	s_waitcnt lgkmcnt(0)
	s_barrier
	s_cbranch_scc1 .LBB65_6
; %bb.5:
	s_load_dword s7, s[4:5], 0xd0
	s_mov_b32 s11, 0
	s_waitcnt lgkmcnt(0)
	s_mul_i32 s7, s7, s33
	s_add_i32 s10, s7, s8
	s_lshl_b64 s[10:11], s[10:11], 2
	s_add_u32 s10, s26, s10
	s_addc_u32 s11, s27, s11
	s_load_dword s14, s[10:11], 0x0
.LBB65_6:
	s_nop 0
	s_load_dwordx2 s[10:11], s[4:5], 0x8c
	s_load_dwordx4 s[40:43], s[4:5], 0x98
	s_load_dwordx2 s[26:27], s[4:5], 0xa8
	s_ashr_i32 s7, s33, 31
	s_ashr_i32 s15, s47, 1
	s_waitcnt lgkmcnt(0)
	s_ashr_i32 s12, s10, 2
	s_mul_i32 s10, s33, s41
	s_mul_hi_u32 s13, s33, s40
	s_add_i32 s10, s13, s10
	s_mul_i32 s13, s7, s40
	s_ashr_i32 s8, s42, 2
	s_add_i32 s10, s10, s13
	s_mul_i32 s13, s33, s40
	s_add_u32 s13, s18, s13
	s_mul_i32 s16, s22, s48
	s_addc_u32 s10, s19, s10
	s_sub_i32 s16, s49, s16
	s_xor_b32 s6, s35, s6
	s_add_i32 s17, s22, 1
	s_sub_i32 s18, s16, s48
	s_cmp_ge_u32 s16, s48
	s_cselect_b32 s17, s17, s22
	s_cselect_b32 s16, s18, s16
	s_add_i32 s18, s17, 1
	s_cmp_ge_u32 s16, s48
	s_cselect_b32 s16, s18, s17
	s_xor_b32 s16, s16, s6
	s_sub_i32 s6, s16, s6
	s_mul_i32 s11, s6, s11
	s_ashr_i32 s16, s11, 31
	s_add_u32 s13, s13, s11
	s_addc_u32 s16, s10, s16
	s_mul_i32 s10, s33, s27
	s_mul_hi_u32 s11, s33, s26
	s_add_i32 s10, s11, s10
	s_mul_i32 s7, s7, s26
	s_add_i32 s10, s10, s7
	s_mul_i32 s7, s33, s26
	s_add_u32 s7, s20, s7
	s_mul_i32 s6, s6, s43
	s_addc_u32 s10, s21, s10
	s_ashr_i32 s11, s6, 31
	s_add_u32 s20, s7, s6
	s_addc_u32 s21, s10, s11
	s_lshl_b32 s22, s9, 6
	s_sub_i32 s17, s14, 64
	s_cmp_ge_i32 s22, s17
	v_lshrrev_b32_e32 v33, 3, v0
	v_lshlrev_b32_e32 v28, 2, v0
	v_lshlrev_b32_e32 v27, 7, v32
	v_mbcnt_lo_u32_b32 v30, -1, 0
	s_cbranch_scc1 .LBB65_15
; %bb.7:
	v_and_b32_e32 v2, 28, v28
	v_lshl_add_u32 v3, v32, 2, v33
	v_lshlrev_b32_e32 v14, 2, v2
	s_movk_i32 s6, 0x90
	v_mad_u32_u24 v34, v3, s6, v14
	v_mul_lo_u32 v6, s12, v3
	s_lshl_b32 s6, s12, 4
	v_add_u32_e32 v8, s6, v6
	v_add_u32_e32 v10, s6, v8
	;; [unrolled: 1-line block ×3, first 2 shown]
	s_cmp_lg_u64 s[44:45], 0
	v_mad_u64_u32 v[4:5], s[6:7], v31, s15, v[0:1]
	v_lshl_or_b32 v40, v3, 7, v14
	v_mul_lo_u32 v14, s8, v3
	s_cselect_b64 s[6:7], -1, 0
	s_lshl_b32 s10, s8, 4
	v_add_u32_e32 v16, s10, v14
	v_add_u32_e32 v18, s10, v16
	;; [unrolled: 1-line block ×3, first 2 shown]
	s_add_u32 s10, s4, 0xd0
	s_addc_u32 s11, s5, 0
	v_ashrrev_i32_e32 v7, 31, v6
	v_ashrrev_i32_e32 v9, 31, v8
	;; [unrolled: 1-line block ×4, first 2 shown]
	v_add_u32_e32 v5, 0x2400, v27
	v_ashrrev_i32_e32 v15, 31, v14
	v_ashrrev_i32_e32 v17, 31, v16
	;; [unrolled: 1-line block ×4, first 2 shown]
	s_add_u32 s18, s44, 64
	v_lshlrev_b32_e32 v44, 2, v2
	v_cndmask_b32_e64 v2, 0, 1, s[6:7]
	v_mov_b32_e32 v26, 0
	v_add_u32_e32 v35, 0x900, v34
	v_add_u32_e32 v36, 0x1200, v34
	;; [unrolled: 1-line block ×3, first 2 shown]
	v_mul_u32_u24_e32 v38, 0x90, v0
	v_lshl_add_u32 v39, v0, 1, v5
	v_add_u32_e32 v41, 0x800, v40
	v_add_u32_e32 v42, 0x1000, v40
	v_add_u32_e32 v43, 0x1800, v40
	s_addc_u32 s19, s45, 0
	v_mov_b32_e32 v48, 0xfeffffff
	v_lshlrev_b64 v[6:7], 2, v[6:7]
	v_lshlrev_b64 v[8:9], 2, v[8:9]
	;; [unrolled: 1-line block ×4, first 2 shown]
	v_mbcnt_hi_u32_b32 v45, -1, v30
	s_mov_b32 s23, 0x3fb8aa3b
	s_mov_b32 s26, 0xc2ce8ed0
	;; [unrolled: 1-line block ×3, first 2 shown]
	v_lshlrev_b64 v[14:15], 2, v[14:15]
	v_lshlrev_b64 v[16:17], 2, v[16:17]
	;; [unrolled: 1-line block ×4, first 2 shown]
	v_cmp_ne_u32_e64 s[6:7], 1, v2
	v_mov_b32_e32 v46, 0x7f800000
	v_mov_b32_e32 v47, 0
.LBB65_8:                               ; =>This Inner Loop Header: Depth=1
	s_mul_hi_i32 s37, s22, s12
	s_mul_i32 s36, s22, s12
	s_lshl_b64 s[36:37], s[36:37], 2
	s_add_u32 s36, s13, s36
	s_addc_u32 s37, s16, s37
	v_mov_b32_e32 v2, s37
	v_add_co_u32_e32 v3, vcc, s36, v6
	v_addc_co_u32_e32 v22, vcc, v2, v7, vcc
	v_add_co_u32_e32 v2, vcc, v3, v44
	v_addc_co_u32_e32 v3, vcc, 0, v22, vcc
	v_mov_b32_e32 v22, s37
	v_add_co_u32_e32 v23, vcc, s36, v8
	v_addc_co_u32_e32 v22, vcc, v22, v9, vcc
	v_add_co_u32_e32 v54, vcc, v23, v44
	v_addc_co_u32_e32 v55, vcc, 0, v22, vcc
	global_load_dwordx4 v[22:25], v[2:3], off
	global_load_dwordx4 v[50:53], v[54:55], off
	v_mov_b32_e32 v2, s37
	v_add_co_u32_e32 v3, vcc, s36, v10
	v_addc_co_u32_e32 v49, vcc, v2, v11, vcc
	v_add_co_u32_e32 v2, vcc, v3, v44
	v_addc_co_u32_e32 v3, vcc, 0, v49, vcc
	v_mov_b32_e32 v49, s37
	v_add_co_u32_e32 v54, vcc, s36, v12
	v_addc_co_u32_e32 v49, vcc, v49, v13, vcc
	v_add_co_u32_e32 v62, vcc, v54, v44
	v_addc_co_u32_e32 v63, vcc, 0, v49, vcc
	global_load_dwordx4 v[54:57], v[2:3], off
	global_load_dwordx4 v[58:61], v[62:63], off
	v_mov_b32_e32 v2, 0
	v_mov_b32_e32 v3, 0
	s_and_b64 vcc, exec, s[6:7]
	s_waitcnt vmcnt(3)
	ds_write_b128 v34, v[22:25]
	s_waitcnt vmcnt(2)
	ds_write_b128 v35, v[50:53]
	;; [unrolled: 2-line block ×4, first 2 shown]
	s_waitcnt lgkmcnt(0)
	s_barrier
	ds_read_b128 v[22:25], v27 offset:9728
	ds_read_b128 v[50:53], v38
	ds_read_b128 v[54:57], v38 offset:4608
	s_waitcnt lgkmcnt(1)
	;;#ASMSTART
	v_dot2_f32_f16 v2, v50, v22, v2
	;;#ASMEND
	;;#ASMSTART
	v_dot2_f32_f16 v2, v51, v23, v2
	;;#ASMEND
	;;#ASMSTART
	v_dot2_f32_f16 v2, v52, v24, v2
	;;#ASMEND
	;;#ASMSTART
	v_dot2_f32_f16 v2, v53, v25, v2
	;;#ASMEND
	s_waitcnt lgkmcnt(0)
	;;#ASMSTART
	v_dot2_f32_f16 v3, v54, v22, v3
	;;#ASMEND
	;;#ASMSTART
	v_dot2_f32_f16 v3, v55, v23, v3
	;;#ASMEND
	;;#ASMSTART
	v_dot2_f32_f16 v3, v56, v24, v3
	;;#ASMEND
	;;#ASMSTART
	v_dot2_f32_f16 v3, v57, v25, v3
	;;#ASMEND
	ds_read_b128 v[22:25], v27 offset:9744
	ds_read_b128 v[50:53], v38 offset:16
	ds_read_b128 v[54:57], v38 offset:4624
	s_waitcnt lgkmcnt(1)
	;;#ASMSTART
	v_dot2_f32_f16 v2, v50, v22, v2
	;;#ASMEND
	;;#ASMSTART
	v_dot2_f32_f16 v2, v51, v23, v2
	;;#ASMEND
	;;#ASMSTART
	v_dot2_f32_f16 v2, v52, v24, v2
	;;#ASMEND
	;;#ASMSTART
	v_dot2_f32_f16 v2, v53, v25, v2
	;;#ASMEND
	s_waitcnt lgkmcnt(0)
	;;#ASMSTART
	v_dot2_f32_f16 v3, v54, v22, v3
	;;#ASMEND
	;;#ASMSTART
	v_dot2_f32_f16 v3, v55, v23, v3
	;;#ASMEND
	;;#ASMSTART
	v_dot2_f32_f16 v3, v56, v24, v3
	;;#ASMEND
	;;#ASMSTART
	v_dot2_f32_f16 v3, v57, v25, v3
	;;#ASMEND
	ds_read_b128 v[22:25], v27 offset:9760
	ds_read_b128 v[50:53], v38 offset:32
	;; [unrolled: 29-line block ×7, first 2 shown]
	ds_read_b128 v[58:61], v38 offset:4720
	s_waitcnt lgkmcnt(1)
	;;#ASMSTART
	v_dot2_f32_f16 v2, v54, v50, v2
	;;#ASMEND
	;;#ASMSTART
	v_dot2_f32_f16 v2, v55, v51, v2
	;;#ASMEND
	;; [unrolled: 3-line block ×4, first 2 shown]
	s_waitcnt lgkmcnt(0)
	;;#ASMSTART
	v_dot2_f32_f16 v3, v58, v50, v3
	;;#ASMEND
	v_add_u32_e32 v22, s22, v4
	;;#ASMSTART
	v_dot2_f32_f16 v3, v59, v51, v3
	;;#ASMEND
	v_ashrrev_i32_e32 v23, 31, v22
	;;#ASMSTART
	v_dot2_f32_f16 v3, v60, v52, v3
	;;#ASMEND
	v_mov_b32_e32 v24, 0
	;;#ASMSTART
	v_dot2_f32_f16 v3, v61, v53, v3
	;;#ASMEND
	s_cbranch_vccnz .LBB65_10
; %bb.9:                                ;   in Loop: Header=BB65_8 Depth=1
	v_lshlrev_b64 v[24:25], 1, v[22:23]
	v_mov_b32_e32 v49, s45
	v_add_co_u32_e32 v24, vcc, s44, v24
	v_addc_co_u32_e32 v25, vcc, v49, v25, vcc
	flat_load_ushort v24, v[24:25]
	s_waitcnt vmcnt(0) lgkmcnt(0)
	v_cvt_f32_f16_e32 v24, v24
	v_mul_f32_e32 v24, v29, v24
.LBB65_10:                              ;   in Loop: Header=BB65_8 Depth=1
	s_and_b64 vcc, exec, s[6:7]
	s_cbranch_vccnz .LBB65_12
; %bb.11:                               ;   in Loop: Header=BB65_8 Depth=1
	v_lshlrev_b64 v[22:23], 1, v[22:23]
	v_mov_b32_e32 v25, s19
	v_add_co_u32_e32 v22, vcc, s18, v22
	v_addc_co_u32_e32 v23, vcc, v25, v23, vcc
	flat_load_ushort v22, v[22:23]
	s_waitcnt vmcnt(0) lgkmcnt(0)
	v_cvt_f32_f16_e32 v22, v22
	v_mul_f32_e32 v25, v29, v22
	s_branch .LBB65_13
.LBB65_12:                              ;   in Loop: Header=BB65_8 Depth=1
	v_mov_b32_e32 v25, 0
.LBB65_13:                              ;   in Loop: Header=BB65_8 Depth=1
	v_pk_add_f32 v[22:23], v[2:3], v[24:25]
	v_add_f32_e32 v2, 0x40051340, v22
	v_add_f32_e32 v3, 0x40051340, v23
	v_max3_f32 v2, v48, v2, v3
	v_and_b32_e32 v3, 0x60, v45
	v_add_u32_e32 v49, 32, v3
	v_xor_b32_e32 v3, 16, v45
	v_cmp_lt_i32_e32 vcc, v3, v49
	v_cndmask_b32_e32 v3, v45, v3, vcc
	v_lshlrev_b32_e32 v3, 2, v3
	ds_bpermute_b32 v3, v3, v2
	s_mul_hi_i32 s37, s22, s8
	s_mul_i32 s36, s22, s8
	s_lshl_b64 s[36:37], s[36:37], 2
	s_add_u32 s36, s20, s36
	s_waitcnt lgkmcnt(0)
	v_max_f32_e32 v3, v3, v3
	v_max_f32_e32 v2, v2, v3
	v_xor_b32_e32 v3, 8, v45
	v_cmp_lt_i32_e32 vcc, v3, v49
	v_cndmask_b32_e32 v3, v45, v3, vcc
	v_lshlrev_b32_e32 v3, 2, v3
	ds_bpermute_b32 v3, v3, v2
	s_addc_u32 s37, s21, s37
	s_waitcnt lgkmcnt(0)
	s_barrier
	v_max_f32_e32 v3, v3, v3
	v_max_f32_e32 v66, v2, v3
	v_xor_b32_e32 v2, 4, v45
	v_cmp_lt_i32_e32 vcc, v2, v49
	v_cndmask_b32_e32 v2, v45, v2, vcc
	v_lshlrev_b32_e32 v2, 2, v2
	ds_bpermute_b32 v67, v2, v66
	v_mov_b32_e32 v2, s37
	v_add_co_u32_e32 v3, vcc, s36, v14
	v_addc_co_u32_e32 v24, vcc, v2, v15, vcc
	v_add_co_u32_e32 v2, vcc, v3, v44
	v_addc_co_u32_e32 v3, vcc, 0, v24, vcc
	v_mov_b32_e32 v24, s37
	v_add_co_u32_e32 v25, vcc, s36, v16
	v_addc_co_u32_e32 v50, vcc, v24, v17, vcc
	v_add_co_u32_e32 v24, vcc, v25, v44
	v_addc_co_u32_e32 v25, vcc, 0, v50, vcc
	global_load_dwordx4 v[50:53], v[2:3], off
	global_load_dwordx4 v[54:57], v[24:25], off
	v_mov_b32_e32 v2, s37
	v_add_co_u32_e32 v3, vcc, s36, v18
	v_addc_co_u32_e32 v24, vcc, v2, v19, vcc
	v_add_co_u32_e32 v2, vcc, v3, v44
	v_addc_co_u32_e32 v3, vcc, 0, v24, vcc
	v_mov_b32_e32 v24, s37
	v_add_co_u32_e32 v25, vcc, s36, v20
	v_addc_co_u32_e32 v58, vcc, v24, v21, vcc
	v_add_co_u32_e32 v24, vcc, v25, v44
	v_addc_co_u32_e32 v25, vcc, 0, v58, vcc
	global_load_dwordx4 v[58:61], v[2:3], off
	global_load_dwordx4 v[62:65], v[24:25], off
	v_xor_b32_e32 v3, 2, v45
	v_cmp_lt_i32_e32 vcc, v3, v49
	s_waitcnt lgkmcnt(0)
	v_max_f32_e32 v2, v67, v67
	v_cndmask_b32_e32 v3, v45, v3, vcc
	v_max_f32_e32 v2, v66, v2
	v_lshlrev_b32_e32 v3, 2, v3
	ds_bpermute_b32 v3, v3, v2
	s_waitcnt lgkmcnt(0)
	v_max_f32_e32 v3, v3, v3
	v_max_f32_e32 v2, v2, v3
	v_xor_b32_e32 v3, 1, v45
	v_cmp_lt_i32_e32 vcc, v3, v49
	v_cndmask_b32_e32 v3, v45, v3, vcc
	v_lshlrev_b32_e32 v3, 2, v3
	ds_bpermute_b32 v3, v3, v2
	s_waitcnt lgkmcnt(0)
	v_max_f32_e32 v3, v3, v3
	v_max_f32_e32 v2, v2, v3
	v_pk_add_f32 v[22:23], v[22:23], v[2:3] op_sel_hi:[1,0] neg_lo:[0,1] neg_hi:[0,1]
	v_mul_f32_e32 v3, 0x3fb8aa3b, v23
	v_fma_f32 v24, v23, s23, -v3
	v_rndne_f32_e32 v25, v3
	v_fmac_f32_e32 v24, 0x32a5705f, v23
	v_sub_f32_e32 v3, v3, v25
	v_add_f32_e32 v3, v3, v24
	v_exp_f32_e32 v3, v3
	v_cvt_i32_f32_e32 v24, v25
	v_sub_f32_e32 v25, v48, v2
	v_cmp_ngt_f32_e32 vcc, s26, v23
	v_ldexp_f32 v3, v3, v24
	v_mul_f32_e32 v24, 0x3fb8aa3b, v22
	v_fma_f32 v48, v22, s23, -v24
	v_rndne_f32_e32 v49, v24
	v_fmac_f32_e32 v48, 0x32a5705f, v22
	v_sub_f32_e32 v24, v24, v49
	v_add_f32_e32 v24, v24, v48
	v_exp_f32_e32 v24, v24
	v_cvt_i32_f32_e32 v48, v49
	v_cndmask_b32_e32 v3, 0, v3, vcc
	v_cmp_nlt_f32_e32 vcc, s27, v23
	v_cndmask_b32_e32 v3, v46, v3, vcc
	v_ldexp_f32 v23, v24, v48
	v_cmp_ngt_f32_e32 vcc, s26, v22
	v_cndmask_b32_e32 v23, 0, v23, vcc
	v_cmp_nlt_f32_e32 vcc, s27, v22
	v_cndmask_b32_e32 v22, v46, v23, vcc
	v_mul_f32_e32 v23, 0x3fb8aa3b, v25
	v_fma_f32 v24, v25, s23, -v23
	v_rndne_f32_e32 v48, v23
	v_fmac_f32_e32 v24, 0x32a5705f, v25
	v_sub_f32_e32 v23, v23, v48
	v_add_f32_e32 v23, v23, v24
	v_exp_f32_e32 v23, v23
	v_cvt_i32_f32_e32 v24, v48
	v_cvt_f16_f32_e32 v48, v22
	v_cmp_ngt_f32_e32 vcc, s26, v25
	v_add_f32_e32 v22, v22, v3
	v_ldexp_f32 v23, v23, v24
	v_cvt_f16_f32_e32 v3, v3
	v_cndmask_b32_e32 v23, 0, v23, vcc
	v_cmp_nlt_f32_e32 vcc, s27, v25
	v_cndmask_b32_e32 v23, v46, v23, vcc
	v_fmac_f32_e32 v22, v47, v23
	v_cvt_f16_f32_e32 v23, v23
	ds_write_b16 v39, v48
	ds_write_b16 v39, v3 offset:64
	s_waitcnt vmcnt(3)
	ds_write_b128 v40, v[50:53]
	s_waitcnt vmcnt(2)
	ds_write_b128 v41, v[54:57]
	;; [unrolled: 2-line block ×4, first 2 shown]
	s_waitcnt lgkmcnt(0)
	s_barrier
	ds_read2_b32 v[24:25], v28 offset1:32
	ds_read_b128 v[48:51], v5
	ds_read_b128 v[52:55], v5 offset:16
	ds_read_b128 v[56:59], v5 offset:32
	;; [unrolled: 1-line block ×3, first 2 shown]
	ds_read2_b32 v[64:65], v28 offset0:64 offset1:96
	s_waitcnt lgkmcnt(4)
	v_pk_mul_f16 v3, v24, v48 op_sel_hi:[1,0]
	ds_read2_b32 v[66:67], v28 offset0:128 offset1:160
	v_pk_fma_f16 v3, v26, v23, v3 op_sel_hi:[1,0,1]
	v_pk_fma_f16 v3, v25, v48, v3 op_sel:[0,1,0]
	ds_read2_b32 v[24:25], v28 offset0:192 offset1:224
	s_waitcnt lgkmcnt(2)
	v_pk_fma_f16 v3, v64, v49, v3 op_sel_hi:[1,0,1]
	v_add_u32_e32 v23, 0x400, v28
	v_pk_fma_f16 v3, v65, v49, v3 op_sel:[0,1,0]
	ds_read2_b32 v[48:49], v23 offset1:32
	s_waitcnt lgkmcnt(2)
	v_pk_fma_f16 v3, v66, v50, v3 op_sel_hi:[1,0,1]
	v_pk_fma_f16 v3, v67, v50, v3 op_sel:[0,1,0]
	ds_read2_b32 v[64:65], v23 offset0:64 offset1:96
	s_waitcnt lgkmcnt(2)
	v_pk_fma_f16 v3, v24, v51, v3 op_sel_hi:[1,0,1]
	v_pk_fma_f16 v3, v25, v51, v3 op_sel:[0,1,0]
	ds_read2_b32 v[24:25], v23 offset0:128 offset1:160
	;; [unrolled: 4-line block ×3, first 2 shown]
	s_waitcnt lgkmcnt(2)
	v_pk_fma_f16 v3, v64, v53, v3 op_sel_hi:[1,0,1]
	v_add_u32_e32 v23, 0x800, v28
	v_pk_fma_f16 v3, v65, v53, v3 op_sel:[0,1,0]
	ds_read2_b32 v[50:51], v23 offset1:32
	s_waitcnt lgkmcnt(2)
	v_pk_fma_f16 v3, v24, v54, v3 op_sel_hi:[1,0,1]
	v_pk_fma_f16 v3, v25, v54, v3 op_sel:[0,1,0]
	ds_read2_b32 v[24:25], v23 offset0:64 offset1:96
	s_waitcnt lgkmcnt(2)
	v_pk_fma_f16 v3, v48, v55, v3 op_sel_hi:[1,0,1]
	v_pk_fma_f16 v3, v49, v55, v3 op_sel:[0,1,0]
	ds_read2_b32 v[48:49], v23 offset0:128 offset1:160
	s_waitcnt lgkmcnt(2)
	v_pk_fma_f16 v3, v50, v56, v3 op_sel_hi:[1,0,1]
	v_pk_fma_f16 v3, v51, v56, v3 op_sel:[0,1,0]
	s_waitcnt lgkmcnt(1)
	v_pk_fma_f16 v3, v24, v57, v3 op_sel_hi:[1,0,1]
	v_pk_fma_f16 v3, v25, v57, v3 op_sel:[0,1,0]
	ds_read2_b32 v[24:25], v23 offset0:192 offset1:224
	s_waitcnt lgkmcnt(1)
	v_pk_fma_f16 v3, v48, v58, v3 op_sel_hi:[1,0,1]
	v_add_u32_e32 v23, 0xc00, v28
	v_pk_fma_f16 v3, v49, v58, v3 op_sel:[0,1,0]
	ds_read2_b32 v[48:49], v23 offset1:32
	ds_read2_b32 v[50:51], v23 offset0:64 offset1:96
	s_waitcnt lgkmcnt(2)
	v_pk_fma_f16 v3, v24, v59, v3 op_sel_hi:[1,0,1]
	v_pk_fma_f16 v3, v25, v59, v3 op_sel:[0,1,0]
	ds_read2_b32 v[24:25], v23 offset0:128 offset1:160
	s_waitcnt lgkmcnt(2)
	v_pk_fma_f16 v3, v48, v60, v3 op_sel_hi:[1,0,1]
	v_pk_fma_f16 v3, v49, v60, v3 op_sel:[0,1,0]
	s_waitcnt lgkmcnt(1)
	v_pk_fma_f16 v3, v50, v61, v3 op_sel_hi:[1,0,1]
	ds_read2_b32 v[52:53], v23 offset0:192 offset1:224
	v_pk_fma_f16 v3, v51, v61, v3 op_sel:[0,1,0]
	s_waitcnt lgkmcnt(1)
	v_pk_fma_f16 v3, v24, v62, v3 op_sel_hi:[1,0,1]
	v_add_u32_e32 v23, 0x1000, v28
	v_pk_fma_f16 v3, v25, v62, v3 op_sel:[0,1,0]
	ds_read2_b32 v[24:25], v23 offset1:32
	ds_read_b128 v[48:51], v5 offset:64
	s_waitcnt lgkmcnt(2)
	v_pk_fma_f16 v3, v52, v63, v3 op_sel_hi:[1,0,1]
	v_pk_fma_f16 v3, v53, v63, v3 op_sel:[0,1,0]
	ds_read2_b32 v[56:57], v23 offset0:64 offset1:96
	ds_read_b128 v[52:55], v5 offset:80
	ds_read2_b32 v[58:59], v23 offset0:128 offset1:160
	s_waitcnt lgkmcnt(3)
	v_pk_fma_f16 v3, v24, v48, v3 op_sel_hi:[1,0,1]
	v_pk_fma_f16 v3, v25, v48, v3 op_sel:[0,1,0]
	ds_read2_b32 v[24:25], v23 offset0:192 offset1:224
	s_waitcnt lgkmcnt(3)
	v_pk_fma_f16 v3, v56, v49, v3 op_sel_hi:[1,0,1]
	v_pk_fma_f16 v3, v57, v49, v3 op_sel:[0,1,0]
	s_waitcnt lgkmcnt(1)
	v_pk_fma_f16 v3, v58, v50, v3 op_sel_hi:[1,0,1]
	v_add_u32_e32 v23, 0x1400, v28
	ds_read2_b32 v[48:49], v23 offset1:32
	v_pk_fma_f16 v3, v59, v50, v3 op_sel:[0,1,0]
	s_waitcnt lgkmcnt(1)
	v_pk_fma_f16 v3, v24, v51, v3 op_sel_hi:[1,0,1]
	v_pk_fma_f16 v3, v25, v51, v3 op_sel:[0,1,0]
	ds_read2_b32 v[24:25], v23 offset0:64 offset1:96
	ds_read2_b32 v[50:51], v23 offset0:128 offset1:160
	s_waitcnt lgkmcnt(2)
	v_pk_fma_f16 v3, v48, v52, v3 op_sel_hi:[1,0,1]
	v_pk_fma_f16 v3, v49, v52, v3 op_sel:[0,1,0]
	ds_read2_b32 v[56:57], v23 offset0:192 offset1:224
	s_waitcnt lgkmcnt(2)
	v_pk_fma_f16 v3, v24, v53, v3 op_sel_hi:[1,0,1]
	v_pk_fma_f16 v3, v25, v53, v3 op_sel:[0,1,0]
	s_waitcnt lgkmcnt(1)
	v_pk_fma_f16 v3, v50, v54, v3 op_sel_hi:[1,0,1]
	v_add_u32_e32 v23, 0x1800, v28
	v_pk_fma_f16 v3, v51, v54, v3 op_sel:[0,1,0]
	ds_read2_b32 v[24:25], v23 offset1:32
	ds_read_b128 v[48:51], v5 offset:96
	s_waitcnt lgkmcnt(2)
	v_pk_fma_f16 v3, v56, v55, v3 op_sel_hi:[1,0,1]
	v_pk_fma_f16 v3, v57, v55, v3 op_sel:[0,1,0]
	ds_read2_b32 v[56:57], v23 offset0:64 offset1:96
	ds_read2_b32 v[58:59], v23 offset0:128 offset1:160
	ds_read_b128 v[52:55], v5 offset:112
	s_waitcnt lgkmcnt(3)
	v_pk_fma_f16 v3, v24, v48, v3 op_sel_hi:[1,0,1]
	v_pk_fma_f16 v3, v25, v48, v3 op_sel:[0,1,0]
	ds_read2_b32 v[24:25], v23 offset0:192 offset1:224
	s_waitcnt lgkmcnt(3)
	v_pk_fma_f16 v3, v56, v49, v3 op_sel_hi:[1,0,1]
	v_add_u32_e32 v23, 0x1c00, v28
	v_pk_fma_f16 v3, v57, v49, v3 op_sel:[0,1,0]
	ds_read2_b32 v[48:49], v23 offset1:32
	s_waitcnt lgkmcnt(3)
	v_pk_fma_f16 v3, v58, v50, v3 op_sel_hi:[1,0,1]
	v_pk_fma_f16 v3, v59, v50, v3 op_sel:[0,1,0]
	ds_read2_b32 v[56:57], v23 offset0:64 offset1:96
	s_waitcnt lgkmcnt(2)
	v_pk_fma_f16 v3, v24, v51, v3 op_sel_hi:[1,0,1]
	v_pk_fma_f16 v3, v25, v51, v3 op_sel:[0,1,0]
	s_waitcnt lgkmcnt(1)
	v_pk_fma_f16 v3, v48, v52, v3 op_sel_hi:[1,0,1]
	v_pk_fma_f16 v3, v49, v52, v3 op_sel:[0,1,0]
	ds_read2_b32 v[24:25], v23 offset0:128 offset1:160
	ds_read2_b32 v[48:49], v23 offset0:192 offset1:224
	s_waitcnt lgkmcnt(0)
	s_barrier
	s_load_dword s36, s[10:11], 0x4
	v_pk_fma_f16 v3, v56, v53, v3 op_sel_hi:[1,0,1]
	v_pk_fma_f16 v3, v57, v53, v3 op_sel:[0,1,0]
	v_pk_fma_f16 v3, v24, v54, v3 op_sel_hi:[1,0,1]
	v_pk_fma_f16 v3, v25, v54, v3 op_sel:[0,1,0]
	s_waitcnt lgkmcnt(0)
	s_lshl_b32 s36, s36, 6
	v_pk_fma_f16 v3, v48, v55, v3 op_sel_hi:[1,0,1]
	s_add_i32 s22, s36, s22
	s_cmp_lt_i32 s22, s17
	v_pk_fma_f16 v26, v49, v55, v3 op_sel:[0,1,0]
	s_cbranch_scc0 .LBB65_16
; %bb.14:                               ;   in Loop: Header=BB65_8 Depth=1
	v_mov_b32_e32 v48, v2
	v_mov_b32_e32 v47, v22
	s_branch .LBB65_8
.LBB65_15:
	v_mov_b32_e32 v2, 0xfeffffff
	v_mov_b32_e32 v22, 0
.LBB65_16:
	v_lshlrev_b32_e32 v3, 1, v0
	s_cmp_gt_i32 s14, s22
	s_cbranch_scc1 .LBB65_18
; %bb.17:
	v_mbcnt_hi_u32_b32 v12, -1, v30
	v_and_b32_e32 v4, 0x60, v12
	v_add_u32_e32 v13, 32, v4
	v_xor_b32_e32 v14, 16, v12
	v_xor_b32_e32 v15, 8, v12
	;; [unrolled: 1-line block ×5, first 2 shown]
	v_pk_mov_b32 v[4:5], v[2:3], v[2:3] op_sel:[0,1]
	s_cbranch_execz .LBB65_19
	s_branch .LBB65_29
.LBB65_18:
                                        ; implicit-def: $vgpr12
                                        ; implicit-def: $vgpr13
                                        ; implicit-def: $vgpr14
                                        ; implicit-def: $vgpr15
                                        ; implicit-def: $vgpr16
                                        ; implicit-def: $vgpr17
                                        ; implicit-def: $vgpr18
                                        ; implicit-def: $vgpr4_vgpr5
.LBB65_19:
	s_mul_hi_i32 s7, s22, s12
	s_mul_i32 s6, s22, s12
	v_lshl_add_u32 v8, v32, 2, v33
	s_sub_i32 s23, s14, s22
	s_lshl_b64 s[6:7], s[6:7], 2
	v_mul_lo_u32 v6, s12, v8
	s_add_u32 s13, s13, s6
	v_ashrrev_i32_e32 v7, 31, v6
	s_addc_u32 s14, s16, s7
	v_lshlrev_b64 v[10:11], 2, v[6:7]
	v_and_b32_e32 v4, 28, v28
	v_mov_b32_e32 v7, s14
	v_add_co_u32_e32 v9, vcc, s13, v10
	v_lshlrev_b32_e32 v5, 2, v4
	v_addc_co_u32_e32 v7, vcc, v7, v11, vcc
	s_mov_b64 s[6:7], src_private_base
	v_add_co_u32_e32 v9, vcc, v9, v5
	v_mov_b32_e32 v4, 0
	v_addc_co_u32_e32 v7, vcc, 0, v7, vcc
	v_mov_b32_e32 v18, s7
	v_cmp_gt_i32_e64 s[6:7], s23, v8
	v_mov_b32_e32 v19, 0
	buffer_store_dword v4, off, s[0:3], 0
	buffer_store_dword v4, off, s[0:3], 0 offset:8
	buffer_store_dword v4, off, s[0:3], 0 offset:4
	;; [unrolled: 1-line block ×3, first 2 shown]
	v_cndmask_b32_e64 v11, v18, v7, s[6:7]
	v_cndmask_b32_e64 v10, v19, v9, s[6:7]
	flat_load_dwordx4 v[10:13], v[10:11]
	s_lshl_b32 s12, s12, 4
	v_add_u32_e32 v6, s12, v6
	v_ashrrev_i32_e32 v7, 31, v6
	v_lshlrev_b64 v[14:15], 2, v[6:7]
	v_mov_b32_e32 v16, s14
	v_add_co_u32_e32 v7, vcc, s13, v14
	v_addc_co_u32_e32 v14, vcc, v16, v15, vcc
	s_movk_i32 s10, 0x90
	v_add_u32_e32 v9, 16, v8
	v_add_co_u32_e32 v7, vcc, v7, v5
	v_mad_u32_u24 v20, v8, s10, v5
	v_addc_co_u32_e32 v14, vcc, 0, v14, vcc
	v_cmp_gt_i32_e64 s[10:11], s23, v9
	buffer_store_dword v4, off, s[0:3], 0
	buffer_store_dword v4, off, s[0:3], 0 offset:8
	buffer_store_dword v4, off, s[0:3], 0 offset:4
	;; [unrolled: 1-line block ×3, first 2 shown]
	v_cndmask_b32_e64 v15, v18, v14, s[10:11]
	v_cndmask_b32_e64 v14, v19, v7, s[10:11]
	v_add_u32_e32 v6, s12, v6
	v_ashrrev_i32_e32 v7, 31, v6
	v_lshlrev_b64 v[16:17], 2, v[6:7]
	v_add_co_u32_e32 v7, vcc, s13, v16
	v_add_u32_e32 v6, s12, v6
	v_mul_u32_u24_e32 v23, 0x90, v0
	s_cmp_lg_u64 s[44:45], 0
	v_mul_lo_u32 v24, v31, s15
	s_waitcnt vmcnt(0) lgkmcnt(0)
	ds_write_b128 v20, v[10:13]
	flat_load_dwordx4 v[12:15], v[14:15]
	v_mov_b32_e32 v11, s14
	v_addc_co_u32_e32 v11, vcc, v11, v17, vcc
	v_add_u32_e32 v10, 32, v8
	v_add_co_u32_e32 v7, vcc, v7, v5
	v_addc_co_u32_e32 v11, vcc, 0, v11, vcc
	v_cmp_gt_i32_e64 s[16:17], s23, v10
	v_cndmask_b32_e64 v17, v18, v11, s[16:17]
	v_cndmask_b32_e64 v16, v19, v7, s[16:17]
	buffer_store_dword v4, off, s[0:3], 0
	buffer_store_dword v4, off, s[0:3], 0 offset:8
	buffer_store_dword v4, off, s[0:3], 0 offset:4
	buffer_store_dword v4, off, s[0:3], 0 offset:12
	v_ashrrev_i32_e32 v7, 31, v6
	v_lshlrev_b64 v[6:7], 2, v[6:7]
	v_add_co_u32_e32 v6, vcc, s13, v6
	v_add_u32_e32 v11, 48, v8
	v_cmp_gt_i32_e64 s[12:13], s23, v11
	s_waitcnt vmcnt(0) lgkmcnt(0)
	ds_write_b128 v20, v[12:15] offset:2304
	flat_load_dwordx4 v[12:15], v[16:17]
	v_mov_b32_e32 v16, s14
	v_addc_co_u32_e32 v7, vcc, v16, v7, vcc
	v_add_co_u32_e32 v6, vcc, v6, v5
	v_addc_co_u32_e32 v7, vcc, 0, v7, vcc
	v_cndmask_b32_e64 v7, v18, v7, s[12:13]
	v_cndmask_b32_e64 v6, v19, v6, s[12:13]
	buffer_store_dword v4, off, s[0:3], 0
	buffer_store_dword v4, off, s[0:3], 0 offset:8
	buffer_store_dword v4, off, s[0:3], 0 offset:4
	;; [unrolled: 1-line block ×3, first 2 shown]
	s_cselect_b64 s[14:15], -1, 0
	v_cmp_gt_i32_e32 vcc, s23, v0
	s_waitcnt vmcnt(0) lgkmcnt(0)
	ds_write_b128 v20, v[12:15] offset:4608
	flat_load_dwordx4 v[12:15], v[6:7]
	v_mov_b32_e32 v6, 0
	v_mov_b32_e32 v7, 0
	s_waitcnt vmcnt(0) lgkmcnt(0)
	ds_write_b128 v20, v[12:15] offset:6912
	s_waitcnt lgkmcnt(0)
	s_barrier
	ds_read_b128 v[12:15], v27 offset:9728
	ds_read_b128 v[16:19], v23
	ds_read_b128 v[32:35], v23 offset:4608
	s_waitcnt lgkmcnt(1)
	;;#ASMSTART
	v_dot2_f32_f16 v6, v16, v12, v6
	;;#ASMEND
	;;#ASMSTART
	v_dot2_f32_f16 v6, v17, v13, v6
	;;#ASMEND
	;;#ASMSTART
	v_dot2_f32_f16 v6, v18, v14, v6
	;;#ASMEND
	;;#ASMSTART
	v_dot2_f32_f16 v6, v19, v15, v6
	;;#ASMEND
	s_waitcnt lgkmcnt(0)
	;;#ASMSTART
	v_dot2_f32_f16 v7, v32, v12, v7
	;;#ASMEND
	;;#ASMSTART
	v_dot2_f32_f16 v7, v33, v13, v7
	;;#ASMEND
	;;#ASMSTART
	v_dot2_f32_f16 v7, v34, v14, v7
	;;#ASMEND
	;;#ASMSTART
	v_dot2_f32_f16 v7, v35, v15, v7
	;;#ASMEND
	ds_read_b128 v[12:15], v27 offset:9744
	ds_read_b128 v[16:19], v23 offset:16
	ds_read_b128 v[32:35], v23 offset:4624
	s_waitcnt lgkmcnt(1)
	;;#ASMSTART
	v_dot2_f32_f16 v6, v16, v12, v6
	;;#ASMEND
	;;#ASMSTART
	v_dot2_f32_f16 v6, v17, v13, v6
	;;#ASMEND
	;;#ASMSTART
	v_dot2_f32_f16 v6, v18, v14, v6
	;;#ASMEND
	;;#ASMSTART
	v_dot2_f32_f16 v6, v19, v15, v6
	;;#ASMEND
	s_waitcnt lgkmcnt(0)
	;;#ASMSTART
	v_dot2_f32_f16 v7, v32, v12, v7
	;;#ASMEND
	;;#ASMSTART
	v_dot2_f32_f16 v7, v33, v13, v7
	;;#ASMEND
	;;#ASMSTART
	v_dot2_f32_f16 v7, v34, v14, v7
	;;#ASMEND
	;;#ASMSTART
	v_dot2_f32_f16 v7, v35, v15, v7
	;;#ASMEND
	ds_read_b128 v[12:15], v27 offset:9760
	ds_read_b128 v[16:19], v23 offset:32
	;; [unrolled: 29-line block ×7, first 2 shown]
	ds_read_b128 v[32:35], v23 offset:4720
	s_waitcnt lgkmcnt(1)
	;;#ASMSTART
	v_dot2_f32_f16 v6, v14, v18, v6
	;;#ASMEND
	;;#ASMSTART
	v_dot2_f32_f16 v6, v15, v19, v6
	;;#ASMEND
	;; [unrolled: 3-line block ×4, first 2 shown]
	s_waitcnt lgkmcnt(0)
	;;#ASMSTART
	v_dot2_f32_f16 v7, v32, v18, v7
	;;#ASMEND
	v_cndmask_b32_e64 v13, 0, 1, s[14:15]
	;;#ASMSTART
	v_dot2_f32_f16 v7, v33, v19, v7
	;;#ASMEND
	v_add_u32_e32 v12, s22, v24
	v_cmp_ne_u32_e64 s[14:15], 1, v13
	;;#ASMSTART
	v_dot2_f32_f16 v7, v34, v20, v7
	;;#ASMEND
	v_mov_b32_e32 v15, v2
	;;#ASMSTART
	v_dot2_f32_f16 v7, v35, v21, v7
	;;#ASMEND
	s_and_saveexec_b64 s[18:19], vcc
	s_cbranch_execz .LBB65_23
; %bb.20:
	s_and_b64 vcc, exec, s[14:15]
	s_cbranch_vccnz .LBB65_22
; %bb.21:
	v_add_u32_e32 v14, v12, v0
	v_ashrrev_i32_e32 v15, 31, v14
	v_lshlrev_b64 v[14:15], 1, v[14:15]
	v_mov_b32_e32 v4, s45
	v_add_co_u32_e32 v14, vcc, s44, v14
	v_addc_co_u32_e32 v15, vcc, v4, v15, vcc
	flat_load_ushort v4, v[14:15]
	s_waitcnt vmcnt(0) lgkmcnt(0)
	v_cvt_f32_f16_e32 v4, v4
	v_mul_f32_e32 v4, v29, v4
.LBB65_22:
	v_add_f32_e32 v6, v6, v4
	v_add_f32_e32 v4, 0x40051340, v6
	v_max_f32_e32 v13, v2, v2
	v_max_f32_e32 v15, v13, v4
.LBB65_23:
	s_or_b64 exec, exec, s[18:19]
	v_add_u32_e32 v19, 32, v0
	v_cmp_gt_i32_e32 vcc, s23, v19
	s_and_saveexec_b64 s[18:19], vcc
	s_cbranch_execz .LBB65_28
; %bb.24:
	s_and_b64 vcc, exec, s[14:15]
	s_cbranch_vccnz .LBB65_26
; %bb.25:
	v_ashrrev_i32_e32 v4, 31, v12
	v_add_co_u32_e32 v12, vcc, v12, v0
	v_addc_co_u32_e32 v13, vcc, 0, v4, vcc
	v_lshlrev_b64 v[12:13], 1, v[12:13]
	v_mov_b32_e32 v4, s45
	v_add_co_u32_e32 v12, vcc, s44, v12
	v_addc_co_u32_e32 v13, vcc, v4, v13, vcc
	flat_load_ushort v4, v[12:13] offset:64
	s_waitcnt vmcnt(0) lgkmcnt(0)
	v_cvt_f32_f16_e32 v4, v4
	v_mul_f32_e32 v4, v29, v4
	s_branch .LBB65_27
.LBB65_26:
	v_mov_b32_e32 v4, 0
.LBB65_27:
	v_add_f32_e32 v7, v7, v4
	v_add_f32_e32 v4, 0x40051340, v7
	v_max_f32_e32 v12, v15, v15
	v_max_f32_e32 v15, v12, v4
.LBB65_28:
	s_or_b64 exec, exec, s[18:19]
	v_mbcnt_hi_u32_b32 v12, -1, v30
	v_and_b32_e32 v4, 0x60, v12
	v_add_u32_e32 v13, 32, v4
	v_xor_b32_e32 v14, 16, v12
	v_cmp_lt_i32_e32 vcc, v14, v13
	v_cndmask_b32_e32 v4, v12, v14, vcc
	v_lshlrev_b32_e32 v4, 2, v4
	ds_bpermute_b32 v4, v4, v15
	v_max_f32_e32 v16, v15, v15
	v_xor_b32_e32 v15, 8, v12
	v_cmp_lt_i32_e32 vcc, v15, v13
	s_mov_b32 s18, 0x3fb8aa3b
	s_waitcnt lgkmcnt(0)
	v_max_f32_e32 v4, v4, v4
	v_max_f32_e32 v4, v16, v4
	v_cndmask_b32_e32 v16, v12, v15, vcc
	v_lshlrev_b32_e32 v16, 2, v16
	ds_bpermute_b32 v17, v16, v4
	v_xor_b32_e32 v16, 4, v12
	v_cmp_lt_i32_e32 vcc, v16, v13
	s_mov_b32 s14, 0xc2ce8ed0
	s_mov_b32 s15, 0x42b17218
	s_waitcnt lgkmcnt(0)
	v_max_f32_e32 v17, v17, v17
	v_max_f32_e32 v4, v4, v17
	v_cndmask_b32_e32 v17, v12, v16, vcc
	v_lshlrev_b32_e32 v17, 2, v17
	ds_bpermute_b32 v18, v17, v4
	v_xor_b32_e32 v17, 2, v12
	v_cmp_lt_i32_e32 vcc, v17, v13
	s_movk_i32 s19, 0x2400
	s_waitcnt lgkmcnt(0)
	v_max_f32_e32 v18, v18, v18
	v_max_f32_e32 v4, v4, v18
	v_cndmask_b32_e32 v18, v12, v17, vcc
	v_lshlrev_b32_e32 v18, 2, v18
	ds_bpermute_b32 v20, v18, v4
	v_xor_b32_e32 v18, 1, v12
	v_cmp_lt_i32_e32 vcc, v18, v13
	s_barrier
	s_waitcnt lgkmcnt(0)
	v_max_f32_e32 v20, v20, v20
	v_max_f32_e32 v4, v4, v20
	v_cndmask_b32_e32 v20, v12, v18, vcc
	v_lshlrev_b32_e32 v20, 2, v20
	ds_bpermute_b32 v20, v20, v4
	v_mov_b32_e32 v23, 0
	v_mov_b32_e32 v34, 0
	v_lshl_or_b32 v10, v10, 7, v5
	v_add_u32_e32 v38, 0x400, v28
	s_waitcnt lgkmcnt(0)
	v_max_f32_e32 v20, v20, v20
	v_max_f32_e32 v4, v4, v20
	v_pk_add_f32 v[6:7], v[6:7], v[4:5] op_sel_hi:[1,0] neg_lo:[0,1] neg_hi:[0,1]
	v_mul_f32_e32 v20, 0x3fb8aa3b, v6
	v_fma_f32 v21, v6, s18, -v20
	v_rndne_f32_e32 v24, v20
	v_fmac_f32_e32 v21, 0x32a5705f, v6
	v_sub_f32_e32 v20, v20, v24
	v_add_f32_e32 v20, v20, v21
	v_exp_f32_e32 v20, v20
	v_cvt_i32_f32_e32 v21, v24
	v_cmp_ngt_f32_e32 vcc, s14, v6
	v_add_u32_e32 v39, 0x800, v28
	v_add_u32_e32 v40, 0xc00, v28
	v_ldexp_f32 v20, v20, v21
	v_mul_f32_e32 v21, 0x3fb8aa3b, v7
	v_fma_f32 v24, v7, s18, -v21
	v_rndne_f32_e32 v25, v21
	v_fmac_f32_e32 v24, 0x32a5705f, v7
	v_sub_f32_e32 v21, v21, v25
	v_add_f32_e32 v21, v21, v24
	v_exp_f32_e32 v21, v21
	v_cvt_i32_f32_e32 v24, v25
	v_cndmask_b32_e32 v20, 0, v20, vcc
	v_mov_b32_e32 v25, 0x7f800000
	v_cmp_nlt_f32_e32 vcc, s15, v6
	v_cndmask_b32_e32 v6, v25, v20, vcc
	v_ldexp_f32 v20, v21, v24
	v_cmp_ngt_f32_e32 vcc, s14, v7
	v_cndmask_b32_e32 v20, 0, v20, vcc
	v_cmp_nlt_f32_e32 vcc, s15, v7
	v_cndmask_b32_e32 v7, v25, v20, vcc
	v_cmp_gt_u32_e32 vcc, s23, v19
	v_cndmask_b32_e32 v19, 0, v7, vcc
	v_cmp_gt_u32_e32 vcc, s23, v0
	v_cndmask_b32_e32 v24, 0, v6, vcc
	v_cvt_f16_f32_e32 v6, v24
	v_cvt_f16_f32_e32 v7, v19
	v_add3_u32 v20, v27, s19, v3
	s_mul_hi_i32 s23, s22, s8
	s_mul_i32 s22, s22, s8
	ds_write_b16 v20, v6
	ds_write_b16 v20, v7 offset:64
	s_lshl_b64 s[22:23], s[22:23], 2
	v_mul_lo_u32 v6, s8, v8
	s_add_u32 s19, s20, s22
	v_ashrrev_i32_e32 v7, 31, v6
	s_addc_u32 s22, s21, s23
	v_lshlrev_b64 v[20:21], 2, v[6:7]
	v_mov_b32_e32 v7, s22
	v_add_co_u32_e32 v20, vcc, s19, v20
	v_addc_co_u32_e32 v7, vcc, v7, v21, vcc
	s_mov_b64 s[20:21], src_private_base
	v_add_co_u32_e32 v20, vcc, v20, v5
	v_addc_co_u32_e32 v7, vcc, 0, v7, vcc
	v_mov_b32_e32 v29, s21
	buffer_store_dword v23, off, s[0:3], 0
	buffer_store_dword v23, off, s[0:3], 0 offset:8
	buffer_store_dword v23, off, s[0:3], 0 offset:4
	;; [unrolled: 1-line block ×3, first 2 shown]
	v_cndmask_b32_e64 v21, v29, v7, s[6:7]
	v_cndmask_b32_e64 v20, v34, v20, s[6:7]
	flat_load_dwordx4 v[30:33], v[20:21]
	s_lshl_b32 s6, s8, 4
	v_add_u32_e32 v6, s6, v6
	v_ashrrev_i32_e32 v7, 31, v6
	v_lshlrev_b64 v[20:21], 2, v[6:7]
	v_mov_b32_e32 v35, s22
	v_add_co_u32_e32 v7, vcc, s19, v20
	v_addc_co_u32_e32 v20, vcc, v35, v21, vcc
	v_add_co_u32_e32 v7, vcc, v7, v5
	v_lshl_or_b32 v8, v8, 7, v5
	v_addc_co_u32_e32 v20, vcc, 0, v20, vcc
	v_cndmask_b32_e64 v21, v29, v20, s[10:11]
	v_cndmask_b32_e64 v20, v34, v7, s[10:11]
	buffer_store_dword v23, off, s[0:3], 0
	buffer_store_dword v23, off, s[0:3], 0 offset:8
	buffer_store_dword v23, off, s[0:3], 0 offset:4
	;; [unrolled: 1-line block ×3, first 2 shown]
	v_add_u32_e32 v41, 0x1000, v28
	v_add_u32_e32 v46, 0x1400, v28
	;; [unrolled: 1-line block ×4, first 2 shown]
	v_add_f32_e32 v19, v24, v19
	s_waitcnt vmcnt(0) lgkmcnt(0)
	ds_write_b128 v8, v[30:33]
	flat_load_dwordx4 v[30:33], v[20:21]
	v_add_u32_e32 v20, s6, v6
	v_ashrrev_i32_e32 v21, 31, v20
	v_lshlrev_b64 v[6:7], 2, v[20:21]
	v_lshl_or_b32 v8, v9, 7, v5
	v_mov_b32_e32 v9, s22
	v_add_co_u32_e32 v6, vcc, s19, v6
	v_addc_co_u32_e32 v7, vcc, v9, v7, vcc
	v_add_co_u32_e32 v6, vcc, v6, v5
	v_addc_co_u32_e32 v7, vcc, 0, v7, vcc
	v_cndmask_b32_e64 v7, v29, v7, s[16:17]
	v_cndmask_b32_e64 v6, v34, v6, s[16:17]
	buffer_store_dword v23, off, s[0:3], 0
	buffer_store_dword v23, off, s[0:3], 0 offset:8
	buffer_store_dword v23, off, s[0:3], 0 offset:4
	;; [unrolled: 1-line block ×3, first 2 shown]
	v_add_u32_e32 v20, s6, v20
	v_ashrrev_i32_e32 v21, 31, v20
	v_lshlrev_b64 v[20:21], 2, v[20:21]
	v_add_co_u32_e32 v20, vcc, s19, v20
	s_waitcnt vmcnt(0) lgkmcnt(0)
	ds_write_b128 v8, v[30:33]
	flat_load_dwordx4 v[6:9], v[6:7]
	v_mov_b32_e32 v30, s22
	v_addc_co_u32_e32 v21, vcc, v30, v21, vcc
	v_add_co_u32_e32 v20, vcc, v20, v5
	v_addc_co_u32_e32 v21, vcc, 0, v21, vcc
	v_cndmask_b32_e64 v21, v29, v21, s[12:13]
	v_cndmask_b32_e64 v20, v34, v20, s[12:13]
	buffer_store_dword v23, off, s[0:3], 0
	buffer_store_dword v23, off, s[0:3], 0 offset:8
	buffer_store_dword v23, off, s[0:3], 0 offset:4
	;; [unrolled: 1-line block ×3, first 2 shown]
	v_lshl_or_b32 v5, v11, 7, v5
	s_waitcnt vmcnt(0) lgkmcnt(0)
	ds_write_b128 v10, v[6:9]
	flat_load_dwordx4 v[6:9], v[20:21]
	v_sub_f32_e32 v10, v2, v4
	v_mul_f32_e32 v2, 0x3fb8aa3b, v10
	v_fma_f32 v11, v10, s18, -v2
	v_rndne_f32_e32 v20, v2
	v_fmac_f32_e32 v11, 0x32a5705f, v10
	v_sub_f32_e32 v2, v2, v20
	v_add_f32_e32 v2, v2, v11
	v_cvt_i32_f32_e32 v20, v20
	v_exp_f32_e32 v11, v2
	v_cmp_ngt_f32_e32 vcc, s14, v10
	v_mov_b32_e32 v2, v4
	v_ldexp_f32 v11, v11, v20
	v_cndmask_b32_e32 v11, 0, v11, vcc
	v_cmp_nlt_f32_e32 vcc, s15, v10
	v_cndmask_b32_e32 v10, v25, v11, vcc
	v_cvt_f16_f32_e32 v112, v10
	v_fmac_f32_e32 v19, v22, v10
	s_waitcnt vmcnt(0) lgkmcnt(0)
	ds_write_b128 v5, v[6:9]
	s_waitcnt lgkmcnt(0)
	s_barrier
	ds_read2_b32 v[10:11], v28 offset1:32
	ds_read_b128 v[6:9], v27 offset:9216
	ds_read_b128 v[20:23], v27 offset:9232
	;; [unrolled: 1-line block ×4, first 2 shown]
	ds_read2_b32 v[24:25], v28 offset0:64 offset1:96
	ds_read2_b32 v[54:55], v28 offset0:128 offset1:160
	ds_read2_b32 v[28:29], v28 offset0:192 offset1:224
	ds_read2_b32 v[56:57], v38 offset1:32
	ds_read2_b32 v[58:59], v38 offset0:64 offset1:96
	ds_read2_b32 v[60:61], v38 offset0:128 offset1:160
	ds_read2_b32 v[62:63], v38 offset0:192 offset1:224
	ds_read2_b32 v[64:65], v39 offset1:32
	;; [unrolled: 4-line block ×5, first 2 shown]
	ds_read_b128 v[38:41], v27 offset:9280
	ds_read_b128 v[42:45], v27 offset:9296
	ds_read2_b32 v[90:91], v46 offset0:64 offset1:96
	ds_read2_b32 v[92:93], v46 offset0:128 offset1:160
	;; [unrolled: 1-line block ×3, first 2 shown]
	ds_read2_b32 v[96:97], v47 offset1:32
	ds_read2_b32 v[98:99], v47 offset0:64 offset1:96
	ds_read2_b32 v[100:101], v47 offset0:128 offset1:160
	;; [unrolled: 1-line block ×3, first 2 shown]
	ds_read2_b32 v[104:105], v110 offset1:32
	ds_read_b128 v[46:49], v27 offset:9312
	ds_read_b128 v[50:53], v27 offset:9328
	ds_read2_b32 v[106:107], v110 offset0:64 offset1:96
	ds_read2_b32 v[108:109], v110 offset0:128 offset1:160
	;; [unrolled: 1-line block ×3, first 2 shown]
	s_waitcnt lgkmcnt(14)
	v_pk_mul_f16 v5, v10, v6 op_sel_hi:[1,0]
	v_pk_fma_f16 v5, v26, v112, v5 op_sel_hi:[1,0,1]
	v_pk_fma_f16 v5, v11, v6, v5 op_sel:[0,1,0]
	v_pk_fma_f16 v5, v24, v7, v5 op_sel_hi:[1,0,1]
	v_pk_fma_f16 v5, v25, v7, v5 op_sel:[0,1,0]
	;; [unrolled: 2-line block ×20, first 2 shown]
	s_waitcnt lgkmcnt(13)
	v_pk_fma_f16 v5, v88, v42, v5 op_sel_hi:[1,0,1]
	v_pk_fma_f16 v5, v89, v42, v5 op_sel:[0,1,0]
	s_waitcnt lgkmcnt(12)
	v_pk_fma_f16 v5, v90, v43, v5 op_sel_hi:[1,0,1]
	v_pk_fma_f16 v5, v91, v43, v5 op_sel:[0,1,0]
	s_waitcnt lgkmcnt(11)
	v_pk_fma_f16 v5, v92, v44, v5 op_sel_hi:[1,0,1]
	v_pk_fma_f16 v5, v93, v44, v5 op_sel:[0,1,0]
	s_waitcnt lgkmcnt(10)
	v_pk_fma_f16 v5, v94, v45, v5 op_sel_hi:[1,0,1]
	v_pk_fma_f16 v5, v95, v45, v5 op_sel:[0,1,0]
	s_waitcnt lgkmcnt(4)
	v_pk_fma_f16 v5, v96, v46, v5 op_sel_hi:[1,0,1]
	v_pk_fma_f16 v5, v97, v46, v5 op_sel:[0,1,0]
	v_pk_fma_f16 v5, v98, v47, v5 op_sel_hi:[1,0,1]
	v_pk_fma_f16 v5, v99, v47, v5 op_sel:[0,1,0]
	v_pk_fma_f16 v5, v100, v48, v5 op_sel_hi:[1,0,1]
	v_pk_fma_f16 v5, v101, v48, v5 op_sel:[0,1,0]
	;; [unrolled: 2-line block ×3, first 2 shown]
	s_waitcnt lgkmcnt(3)
	v_pk_fma_f16 v5, v104, v50, v5 op_sel_hi:[1,0,1]
	v_pk_fma_f16 v5, v105, v50, v5 op_sel:[0,1,0]
	s_waitcnt lgkmcnt(2)
	v_pk_fma_f16 v5, v106, v51, v5 op_sel_hi:[1,0,1]
	v_pk_fma_f16 v5, v107, v51, v5 op_sel:[0,1,0]
	;; [unrolled: 3-line block ×4, first 2 shown]
	v_mov_b32_e32 v22, v19
	s_barrier
.LBB65_29:
	v_cmp_lt_i32_e32 vcc, v14, v13
	v_cndmask_b32_e32 v5, v12, v14, vcc
	v_lshlrev_b32_e32 v5, 2, v5
	ds_bpermute_b32 v5, v5, v22
	v_cmp_lt_i32_e32 vcc, v15, v13
	v_cndmask_b32_e32 v6, v12, v15, vcc
	v_lshlrev_b32_e32 v6, 2, v6
	v_cmp_lt_i32_e32 vcc, v16, v13
	s_waitcnt lgkmcnt(0)
	v_add_f32_e32 v5, v22, v5
	ds_bpermute_b32 v6, v6, v5
	v_cndmask_b32_e32 v7, v12, v16, vcc
	v_lshlrev_b32_e32 v7, 2, v7
	v_cmp_lt_i32_e32 vcc, v17, v13
	s_cmp_eq_u64 s[24:25], 0
	s_waitcnt lgkmcnt(0)
	v_add_f32_e32 v5, v5, v6
	ds_bpermute_b32 v6, v7, v5
	v_cndmask_b32_e32 v7, v12, v17, vcc
	v_lshlrev_b32_e32 v7, 2, v7
	v_cmp_lt_i32_e32 vcc, v18, v13
	s_cselect_b64 s[6:7], -1, 0
	s_waitcnt lgkmcnt(0)
	v_add_f32_e32 v5, v5, v6
	ds_bpermute_b32 v6, v7, v5
	v_cndmask_b32_e32 v7, v12, v18, vcc
	v_lshlrev_b32_e32 v7, 2, v7
	s_cmp_lg_u32 s9, 0
	s_cselect_b64 s[10:11], -1, 0
	s_waitcnt lgkmcnt(0)
	v_add_f32_e32 v5, v5, v6
	ds_bpermute_b32 v6, v7, v5
	s_or_b64 s[6:7], s[10:11], s[6:7]
	s_and_b64 vcc, exec, s[6:7]
	s_waitcnt lgkmcnt(0)
	v_add_f32_e32 v5, v5, v6
	s_cbranch_vccnz .LBB65_32
; %bb.30:
	s_lshl_b64 s[6:7], s[34:35], 2
	s_add_u32 s6, s24, s6
	s_addc_u32 s7, s25, s7
	v_mov_b32_e32 v4, 0
	global_load_dword v4, v4, s[6:7]
	v_max_f32_e32 v6, v2, v2
	s_mov_b32 s6, 0x3fb8aa3b
	s_mov_b32 s7, 0xc2ce8ed0
	s_waitcnt vmcnt(0)
	v_max_f32_e32 v7, v4, v4
	v_max_f32_e32 v6, v6, v7
	v_sub_f32_e32 v2, v2, v6
	v_sub_f32_e32 v4, v4, v6
	v_mul_f32_e32 v7, 0x3fb8aa3b, v2
	v_mul_f32_e32 v8, 0x3fb8aa3b, v4
	v_fma_f32 v9, v2, s6, -v7
	v_rndne_f32_e32 v10, v7
	v_fma_f32 v11, v4, s6, -v8
	v_rndne_f32_e32 v12, v8
	v_fmac_f32_e32 v9, 0x32a5705f, v2
	v_sub_f32_e32 v7, v7, v10
	v_fmac_f32_e32 v11, 0x32a5705f, v4
	v_sub_f32_e32 v8, v8, v12
	v_add_f32_e32 v7, v7, v9
	v_cvt_i32_f32_e32 v10, v10
	v_add_f32_e32 v8, v8, v11
	v_exp_f32_e32 v7, v7
	v_cvt_i32_f32_e32 v12, v12
	v_exp_f32_e32 v8, v8
	v_cmp_ngt_f32_e32 vcc, s7, v2
	v_ldexp_f32 v7, v7, v10
	s_mov_b32 s6, 0x42b17218
	v_ldexp_f32 v8, v8, v12
	v_cndmask_b32_e32 v7, 0, v7, vcc
	v_cmp_ngt_f32_e32 vcc, s7, v4
	v_mov_b32_e32 v9, 0x7f800000
	v_cndmask_b32_e32 v8, 0, v8, vcc
	v_cmp_nlt_f32_e32 vcc, s6, v2
	v_cndmask_b32_e32 v2, v9, v7, vcc
	v_cvt_f16_f32_e32 v10, v2
	v_cmp_nlt_f32_e32 vcc, s6, v4
	v_cndmask_b32_e32 v7, v9, v8, vcc
	v_fmac_f32_e32 v7, v5, v2
	v_pk_mul_f16 v26, v26, v10 op_sel_hi:[1,0]
	v_mov_b32_e32 v5, v7
	v_cmp_gt_i32_e32 vcc, s38, v1
	s_and_saveexec_b64 s[6:7], vcc
	s_cbranch_execnz .LBB65_33
.LBB65_31:
	s_endpgm
.LBB65_32:
	v_pk_mov_b32 v[6:7], v[4:5], v[4:5] op_sel:[0,1]
	v_cmp_gt_i32_e32 vcc, s38, v1
	s_and_saveexec_b64 s[6:7], vcc
	s_cbranch_execz .LBB65_31
.LBB65_33:
	s_load_dword s6, s[4:5], 0xd4
	v_div_scale_f32 v2, s[4:5], v5, v5, 1.0
	v_rcp_f32_e32 v4, v2
	s_mul_i32 s33, s33, s38
	v_add_u32_e32 v1, s33, v1
	v_mul_lo_u32 v1, v1, s39
	v_fma_f32 v8, -v2, v4, 1.0
	v_fmac_f32_e32 v4, v8, v4
	v_div_scale_f32 v8, vcc, 1.0, v5, 1.0
	v_mul_f32_e32 v9, v8, v4
	v_fma_f32 v10, -v2, v9, v8
	v_fmac_f32_e32 v9, v10, v4
	v_fma_f32 v2, -v2, v9, v8
	s_waitcnt lgkmcnt(0)
	s_cmp_lg_u32 s6, 1
	v_div_fmas_f32 v2, v2, v4, v9
	v_add_u32_e32 v1, s34, v1
	v_div_fixup_f32 v2, v2, v5, 1.0
	s_cselect_b64 s[4:5], -1, 0
	v_mul_lo_u32 v1, s6, v1
	v_cndmask_b32_e64 v4, v2, 1.0, s[4:5]
	v_add_u32_e32 v2, s9, v1
	v_lshl_add_u32 v8, v2, 6, v3
	v_mov_b32_e32 v9, 0
	v_lshlrev_b64 v[8:9], 2, v[8:9]
	v_cvt_f32_f16_sdwa v11, v26 dst_sel:DWORD dst_unused:UNUSED_PAD src0_sel:WORD_1
	v_cvt_f32_f16_e32 v10, v26
	v_mov_b32_e32 v1, s29
	v_add_co_u32_e32 v8, vcc, s28, v8
	v_addc_co_u32_e32 v9, vcc, v1, v9, vcc
	v_cmp_eq_u32_e32 vcc, 0, v0
	v_pk_mul_f32 v[4:5], v[4:5], v[10:11] op_sel_hi:[0,1]
	s_and_b64 s[4:5], vcc, s[4:5]
	global_store_dwordx2 v[8:9], v[4:5], off
	s_and_b64 exec, exec, s[4:5]
	s_cbranch_execz .LBB65_31
; %bb.34:
	v_ashrrev_i32_e32 v3, 31, v2
	v_lshlrev_b64 v[0:1], 3, v[2:3]
	v_mov_b32_e32 v2, s31
	v_add_co_u32_e32 v0, vcc, s30, v0
	v_addc_co_u32_e32 v1, vcc, v2, v1, vcc
	global_store_dwordx2 v[0:1], v[6:7], off
	s_endpgm
	.section	.rodata,"a",@progbits
	.p2align	6, 0x0
	.amdhsa_kernel _ZL15flash_attn_tileILi64ELi64ELi4ELi1ELb0EEvPKcS1_S1_S1_S1_PKiPfP15HIP_vector_typeIfLj2EEffffjfiS5_IjLj3EEiiiiiiiiiiiliiliiiiil
		.amdhsa_group_segment_fixed_size 10240
		.amdhsa_private_segment_fixed_size 32
		.amdhsa_kernarg_size 464
		.amdhsa_user_sgpr_count 8
		.amdhsa_user_sgpr_private_segment_buffer 1
		.amdhsa_user_sgpr_dispatch_ptr 0
		.amdhsa_user_sgpr_queue_ptr 0
		.amdhsa_user_sgpr_kernarg_segment_ptr 1
		.amdhsa_user_sgpr_dispatch_id 0
		.amdhsa_user_sgpr_flat_scratch_init 1
		.amdhsa_user_sgpr_kernarg_preload_length 0
		.amdhsa_user_sgpr_kernarg_preload_offset 0
		.amdhsa_user_sgpr_private_segment_size 0
		.amdhsa_uses_dynamic_stack 0
		.amdhsa_system_sgpr_private_segment_wavefront_offset 1
		.amdhsa_system_sgpr_workgroup_id_x 1
		.amdhsa_system_sgpr_workgroup_id_y 1
		.amdhsa_system_sgpr_workgroup_id_z 1
		.amdhsa_system_sgpr_workgroup_info 0
		.amdhsa_system_vgpr_workitem_id 1
		.amdhsa_next_free_vgpr 113
		.amdhsa_next_free_sgpr 56
		.amdhsa_accum_offset 116
		.amdhsa_reserve_vcc 1
		.amdhsa_reserve_flat_scratch 1
		.amdhsa_float_round_mode_32 0
		.amdhsa_float_round_mode_16_64 0
		.amdhsa_float_denorm_mode_32 3
		.amdhsa_float_denorm_mode_16_64 3
		.amdhsa_dx10_clamp 1
		.amdhsa_ieee_mode 1
		.amdhsa_fp16_overflow 0
		.amdhsa_tg_split 0
		.amdhsa_exception_fp_ieee_invalid_op 0
		.amdhsa_exception_fp_denorm_src 0
		.amdhsa_exception_fp_ieee_div_zero 0
		.amdhsa_exception_fp_ieee_overflow 0
		.amdhsa_exception_fp_ieee_underflow 0
		.amdhsa_exception_fp_ieee_inexact 0
		.amdhsa_exception_int_div_zero 0
	.end_amdhsa_kernel
	.section	.text._ZL15flash_attn_tileILi64ELi64ELi4ELi1ELb0EEvPKcS1_S1_S1_S1_PKiPfP15HIP_vector_typeIfLj2EEffffjfiS5_IjLj3EEiiiiiiiiiiiliiliiiiil,"axG",@progbits,_ZL15flash_attn_tileILi64ELi64ELi4ELi1ELb0EEvPKcS1_S1_S1_S1_PKiPfP15HIP_vector_typeIfLj2EEffffjfiS5_IjLj3EEiiiiiiiiiiiliiliiiiil,comdat
.Lfunc_end65:
	.size	_ZL15flash_attn_tileILi64ELi64ELi4ELi1ELb0EEvPKcS1_S1_S1_S1_PKiPfP15HIP_vector_typeIfLj2EEffffjfiS5_IjLj3EEiiiiiiiiiiiliiliiiiil, .Lfunc_end65-_ZL15flash_attn_tileILi64ELi64ELi4ELi1ELb0EEvPKcS1_S1_S1_S1_PKiPfP15HIP_vector_typeIfLj2EEffffjfiS5_IjLj3EEiiiiiiiiiiiliiliiiiil
                                        ; -- End function
	.section	.AMDGPU.csdata,"",@progbits
; Kernel info:
; codeLenInByte = 9588
; NumSgprs: 62
; NumVgprs: 113
; NumAgprs: 0
; TotalNumVgprs: 113
; ScratchSize: 32
; MemoryBound: 0
; FloatMode: 240
; IeeeMode: 1
; LDSByteSize: 10240 bytes/workgroup (compile time only)
; SGPRBlocks: 7
; VGPRBlocks: 14
; NumSGPRsForWavesPerEU: 62
; NumVGPRsForWavesPerEU: 113
; AccumOffset: 116
; Occupancy: 3
; WaveLimiterHint : 1
; COMPUTE_PGM_RSRC2:SCRATCH_EN: 1
; COMPUTE_PGM_RSRC2:USER_SGPR: 8
; COMPUTE_PGM_RSRC2:TRAP_HANDLER: 0
; COMPUTE_PGM_RSRC2:TGID_X_EN: 1
; COMPUTE_PGM_RSRC2:TGID_Y_EN: 1
; COMPUTE_PGM_RSRC2:TGID_Z_EN: 1
; COMPUTE_PGM_RSRC2:TIDIG_COMP_CNT: 1
; COMPUTE_PGM_RSRC3_GFX90A:ACCUM_OFFSET: 28
; COMPUTE_PGM_RSRC3_GFX90A:TG_SPLIT: 0
	.section	.text._ZL33flash_attn_stream_k_fixup_uniformILi64ELi4ELi1EEvPfPK15HIP_vector_typeIfLj2EEiiiiiiS1_IjLj3EES5_S5_,"axG",@progbits,_ZL33flash_attn_stream_k_fixup_uniformILi64ELi4ELi1EEvPfPK15HIP_vector_typeIfLj2EEiiiiiiS1_IjLj3EES5_S5_,comdat
	.globl	_ZL33flash_attn_stream_k_fixup_uniformILi64ELi4ELi1EEvPfPK15HIP_vector_typeIfLj2EEiiiiiiS1_IjLj3EES5_S5_ ; -- Begin function _ZL33flash_attn_stream_k_fixup_uniformILi64ELi4ELi1EEvPfPK15HIP_vector_typeIfLj2EEiiiiiiS1_IjLj3EES5_S5_
	.p2align	8
	.type	_ZL33flash_attn_stream_k_fixup_uniformILi64ELi4ELi1EEvPfPK15HIP_vector_typeIfLj2EEiiiiiiS1_IjLj3EES5_S5_,@function
_ZL33flash_attn_stream_k_fixup_uniformILi64ELi4ELi1EEvPfPK15HIP_vector_typeIfLj2EEiiiiiiS1_IjLj3EES5_S5_: ; @_ZL33flash_attn_stream_k_fixup_uniformILi64ELi4ELi1EEvPfPK15HIP_vector_typeIfLj2EEiiiiiiS1_IjLj3EES5_S5_
; %bb.0:
	s_load_dwordx8 s[12:19], s[4:5], 0x1c
	s_load_dwordx2 s[10:11], s[4:5], 0x10
	s_load_dwordx4 s[0:3], s[4:5], 0x3c
	s_waitcnt lgkmcnt(0)
	s_mul_hi_u32 s9, s15, s6
	s_add_i32 s9, s6, s9
	s_lshr_b32 s9, s9, s16
	s_mul_i32 s15, s9, s17
	s_sub_i32 s15, s6, s15
	s_mul_hi_u32 s16, s15, s18
	s_add_i32 s16, s15, s16
	s_lshr_b32 s16, s16, s19
	s_mul_i32 s0, s16, s0
	s_sub_i32 s0, s15, s0
	s_mul_hi_u32 s1, s0, s1
	s_add_i32 s1, s0, s1
	s_lshr_b32 s15, s1, s2
	s_mul_i32 s1, s15, s3
	s_sub_i32 s17, s0, s1
	s_lshl_b32 s0, s17, 2
	s_add_i32 s0, s0, s7
	s_cmp_lt_i32 s0, s10
	s_cselect_b64 s[0:1], -1, 0
	s_add_i32 s2, s15, s8
	s_cmp_lt_i32 s2, s13
	s_cselect_b64 s[2:3], -1, 0
	s_and_b64 s[0:1], s[0:1], s[2:3]
	s_andn2_b64 vcc, exec, s[0:1]
	s_cbranch_vccnz .LBB66_6
; %bb.1:
	s_load_dwordx4 s[0:3], s[4:5], 0x0
	s_mul_i32 s4, s9, s10
	s_add_i32 s4, s4, s7
	s_mul_i32 s4, s4, s11
	s_mul_i32 s16, s16, s13
	s_add_i32 s4, s4, s8
	s_add_i32 s4, s4, s16
	s_mul_i32 s5, s11, s17
	s_add_i32 s4, s4, s15
	s_lshl_b32 s5, s5, 8
	s_lshl_b32 s4, s4, 6
	s_add_i32 s5, s5, s4
	v_or_b32_e32 v2, s5, v0
	v_ashrrev_i32_e32 v3, 31, v2
	v_lshlrev_b64 v[2:3], 2, v[2:3]
	s_waitcnt lgkmcnt(0)
	v_mov_b32_e32 v1, s1
	v_add_co_u32_e32 v2, vcc, s0, v2
	v_addc_co_u32_e32 v3, vcc, v1, v3, vcc
	global_load_dword v8, v[2:3], off
	s_add_i32 s4, s7, s8
	s_mul_i32 s7, s6, s14
	s_add_i32 s5, s7, s14
	s_lshl_b32 s0, s5, 2
	s_add_i32 s0, s4, s0
	s_add_i32 s0, s0, -4
	s_ashr_i32 s1, s0, 31
	s_lshl_b64 s[0:1], s[0:1], 3
	s_add_u32 s0, s2, s0
	s_addc_u32 s1, s3, s1
	s_load_dword s10, s[0:1], 0x4
	s_add_i32 s8, s5, -2
	s_cmp_lt_i32 s8, s7
	s_cbranch_scc1 .LBB66_4
; %bb.2:
	s_lshl_b32 s8, s12, 4
	s_ashr_i32 s9, s8, 31
	s_lshl_b64 s[8:9], s[8:9], 2
	s_add_u32 s8, s2, s8
	s_addc_u32 s11, s3, s9
	s_add_i32 s6, s6, 1
	s_add_i32 s9, s5, -1
	s_mul_i32 s5, s14, s6
	s_load_dword s0, s[0:1], 0x0
	s_lshl_b32 s1, s4, 6
	s_lshl_b32 s6, s5, 8
	s_add_i32 s1, s1, s6
	v_or_b32_e32 v0, s1, v0
	s_lshl_b32 s1, s5, 2
	s_add_i32 s1, s4, s1
	s_lshl_b32 s4, s12, 2
	s_add_i32 s1, s1, s4
	v_add_u32_e32 v0, 0xfffffe00, v0
	s_add_i32 s4, s1, -8
	s_waitcnt lgkmcnt(0)
	v_mov_b32_e32 v7, s10
	v_mov_b32_e32 v6, s0
	;; [unrolled: 1-line block ×3, first 2 shown]
	s_mov_b32 s6, 0x3fb8aa3b
	s_mov_b32 s10, 0xc2ce8ed0
	;; [unrolled: 1-line block ×3, first 2 shown]
	v_mov_b32_e32 v5, 0x7f800000
	s_mov_b32 s12, 0xc1a00000
.LBB66_3:                               ; =>This Inner Loop Header: Depth=1
	v_ashrrev_i32_e32 v1, 31, v0
	v_lshlrev_b64 v[10:11], 2, v[0:1]
	v_add_co_u32_e32 v10, vcc, s8, v10
	v_addc_co_u32_e32 v11, vcc, v4, v11, vcc
	global_load_dword v1, v[10:11], off
	s_ashr_i32 s5, s4, 31
	s_lshl_b64 s[0:1], s[4:5], 3
	s_add_u32 s0, s2, s0
	s_addc_u32 s1, s3, s1
	s_load_dwordx2 s[14:15], s[0:1], 0x0
	s_waitcnt vmcnt(1)
	v_mov_b32_e32 v9, v8
	v_max_f32_e32 v8, v6, v6
	v_mov_b32_e32 v10, v7
	s_add_i32 s9, s9, -1
	s_waitcnt lgkmcnt(0)
	v_max_f32_e64 v7, s14, s14
	v_max_f32_e32 v7, v8, v7
	v_sub_f32_e32 v11, s14, v7
	v_sub_f32_e32 v8, v6, v7
	v_mul_f32_e32 v12, 0x3fb8aa3b, v11
	v_mov_b32_e32 v6, v7
	v_mul_f32_e32 v7, 0x3fb8aa3b, v8
	v_fma_f32 v15, v11, s6, -v12
	v_rndne_f32_e32 v16, v12
	v_fma_f32 v13, v8, s6, -v7
	v_rndne_f32_e32 v14, v7
	v_fmac_f32_e32 v15, 0x32a5705f, v11
	v_sub_f32_e32 v12, v12, v16
	v_fmac_f32_e32 v13, 0x32a5705f, v8
	v_sub_f32_e32 v7, v7, v14
	v_add_f32_e32 v12, v12, v15
	v_cvt_i32_f32_e32 v16, v16
	v_add_f32_e32 v7, v7, v13
	v_exp_f32_e32 v12, v12
	v_cvt_i32_f32_e32 v14, v14
	v_exp_f32_e32 v7, v7
	v_cmp_ngt_f32_e32 vcc, s10, v11
	v_ldexp_f32 v12, v12, v16
	v_cmp_ngt_f32_e64 s[0:1], s10, v8
	v_ldexp_f32 v7, v7, v14
	v_cndmask_b32_e32 v12, 0, v12, vcc
	v_cmp_nlt_f32_e32 vcc, s11, v11
	v_cndmask_b32_e64 v7, 0, v7, s[0:1]
	v_cmp_nlt_f32_e64 s[0:1], s11, v8
	v_cndmask_b32_e32 v12, v5, v12, vcc
	v_cmp_le_f32_e32 vcc, s12, v11
	v_cndmask_b32_e64 v7, v5, v7, s[0:1]
	v_cmp_le_f32_e64 s[0:1], s12, v8
	v_cndmask_b32_e32 v8, 0, v12, vcc
	s_add_i32 s4, s4, -4
	v_cndmask_b32_e64 v11, 0, v7, s[0:1]
	v_mul_f32_e32 v7, s15, v8
	v_add_u32_e32 v0, 0xffffff00, v0
	s_cmp_le_i32 s9, s7
	v_fmac_f32_e32 v7, v10, v11
	s_waitcnt vmcnt(0)
	v_mul_f32_e32 v8, v1, v8
	v_fmac_f32_e32 v8, v9, v11
	s_cbranch_scc0 .LBB66_3
	s_branch .LBB66_5
.LBB66_4:
	s_waitcnt lgkmcnt(0)
	v_mov_b32_e32 v7, s10
.LBB66_5:
	s_waitcnt vmcnt(0)
	v_div_scale_f32 v0, s[0:1], v7, v7, v8
	v_rcp_f32_e32 v1, v0
	v_div_scale_f32 v4, vcc, v8, v7, v8
	v_fma_f32 v5, -v0, v1, 1.0
	v_fmac_f32_e32 v1, v5, v1
	v_mul_f32_e32 v5, v4, v1
	v_fma_f32 v6, -v0, v5, v4
	v_fmac_f32_e32 v5, v6, v1
	v_fma_f32 v0, -v0, v5, v4
	v_div_fmas_f32 v0, v0, v1, v5
	v_div_fixup_f32 v0, v0, v7, v8
	global_store_dword v[2:3], v0, off
.LBB66_6:
	s_endpgm
	.section	.rodata,"a",@progbits
	.p2align	6, 0x0
	.amdhsa_kernel _ZL33flash_attn_stream_k_fixup_uniformILi64ELi4ELi1EEvPfPK15HIP_vector_typeIfLj2EEiiiiiiS1_IjLj3EES5_S5_
		.amdhsa_group_segment_fixed_size 0
		.amdhsa_private_segment_fixed_size 0
		.amdhsa_kernarg_size 76
		.amdhsa_user_sgpr_count 6
		.amdhsa_user_sgpr_private_segment_buffer 1
		.amdhsa_user_sgpr_dispatch_ptr 0
		.amdhsa_user_sgpr_queue_ptr 0
		.amdhsa_user_sgpr_kernarg_segment_ptr 1
		.amdhsa_user_sgpr_dispatch_id 0
		.amdhsa_user_sgpr_flat_scratch_init 0
		.amdhsa_user_sgpr_kernarg_preload_length 0
		.amdhsa_user_sgpr_kernarg_preload_offset 0
		.amdhsa_user_sgpr_private_segment_size 0
		.amdhsa_uses_dynamic_stack 0
		.amdhsa_system_sgpr_private_segment_wavefront_offset 0
		.amdhsa_system_sgpr_workgroup_id_x 1
		.amdhsa_system_sgpr_workgroup_id_y 1
		.amdhsa_system_sgpr_workgroup_id_z 1
		.amdhsa_system_sgpr_workgroup_info 0
		.amdhsa_system_vgpr_workitem_id 0
		.amdhsa_next_free_vgpr 17
		.amdhsa_next_free_sgpr 20
		.amdhsa_accum_offset 20
		.amdhsa_reserve_vcc 1
		.amdhsa_reserve_flat_scratch 0
		.amdhsa_float_round_mode_32 0
		.amdhsa_float_round_mode_16_64 0
		.amdhsa_float_denorm_mode_32 3
		.amdhsa_float_denorm_mode_16_64 3
		.amdhsa_dx10_clamp 1
		.amdhsa_ieee_mode 1
		.amdhsa_fp16_overflow 0
		.amdhsa_tg_split 0
		.amdhsa_exception_fp_ieee_invalid_op 0
		.amdhsa_exception_fp_denorm_src 0
		.amdhsa_exception_fp_ieee_div_zero 0
		.amdhsa_exception_fp_ieee_overflow 0
		.amdhsa_exception_fp_ieee_underflow 0
		.amdhsa_exception_fp_ieee_inexact 0
		.amdhsa_exception_int_div_zero 0
	.end_amdhsa_kernel
	.section	.text._ZL33flash_attn_stream_k_fixup_uniformILi64ELi4ELi1EEvPfPK15HIP_vector_typeIfLj2EEiiiiiiS1_IjLj3EES5_S5_,"axG",@progbits,_ZL33flash_attn_stream_k_fixup_uniformILi64ELi4ELi1EEvPfPK15HIP_vector_typeIfLj2EEiiiiiiS1_IjLj3EES5_S5_,comdat
.Lfunc_end66:
	.size	_ZL33flash_attn_stream_k_fixup_uniformILi64ELi4ELi1EEvPfPK15HIP_vector_typeIfLj2EEiiiiiiS1_IjLj3EES5_S5_, .Lfunc_end66-_ZL33flash_attn_stream_k_fixup_uniformILi64ELi4ELi1EEvPfPK15HIP_vector_typeIfLj2EEiiiiiiS1_IjLj3EES5_S5_
                                        ; -- End function
	.section	.AMDGPU.csdata,"",@progbits
; Kernel info:
; codeLenInByte = 836
; NumSgprs: 24
; NumVgprs: 17
; NumAgprs: 0
; TotalNumVgprs: 17
; ScratchSize: 0
; MemoryBound: 0
; FloatMode: 240
; IeeeMode: 1
; LDSByteSize: 0 bytes/workgroup (compile time only)
; SGPRBlocks: 2
; VGPRBlocks: 2
; NumSGPRsForWavesPerEU: 24
; NumVGPRsForWavesPerEU: 17
; AccumOffset: 20
; Occupancy: 8
; WaveLimiterHint : 0
; COMPUTE_PGM_RSRC2:SCRATCH_EN: 0
; COMPUTE_PGM_RSRC2:USER_SGPR: 6
; COMPUTE_PGM_RSRC2:TRAP_HANDLER: 0
; COMPUTE_PGM_RSRC2:TGID_X_EN: 1
; COMPUTE_PGM_RSRC2:TGID_Y_EN: 1
; COMPUTE_PGM_RSRC2:TGID_Z_EN: 1
; COMPUTE_PGM_RSRC2:TIDIG_COMP_CNT: 0
; COMPUTE_PGM_RSRC3_GFX90A:ACCUM_OFFSET: 4
; COMPUTE_PGM_RSRC3_GFX90A:TG_SPLIT: 0
	.section	.text._ZL33flash_attn_stream_k_fixup_generalILi64ELi4ELi1EEvPfPK15HIP_vector_typeIfLj2EEiiiiS1_IjLj3EES5_S5_S5_,"axG",@progbits,_ZL33flash_attn_stream_k_fixup_generalILi64ELi4ELi1EEvPfPK15HIP_vector_typeIfLj2EEiiiiS1_IjLj3EES5_S5_S5_,comdat
	.globl	_ZL33flash_attn_stream_k_fixup_generalILi64ELi4ELi1EEvPfPK15HIP_vector_typeIfLj2EEiiiiS1_IjLj3EES5_S5_S5_ ; -- Begin function _ZL33flash_attn_stream_k_fixup_generalILi64ELi4ELi1EEvPfPK15HIP_vector_typeIfLj2EEiiiiS1_IjLj3EES5_S5_S5_
	.p2align	8
	.type	_ZL33flash_attn_stream_k_fixup_generalILi64ELi4ELi1EEvPfPK15HIP_vector_typeIfLj2EEiiiiS1_IjLj3EES5_S5_S5_,@function
_ZL33flash_attn_stream_k_fixup_generalILi64ELi4ELi1EEvPfPK15HIP_vector_typeIfLj2EEiiiiS1_IjLj3EES5_S5_S5_: ; @_ZL33flash_attn_stream_k_fixup_generalILi64ELi4ELi1EEvPfPK15HIP_vector_typeIfLj2EEiiiiS1_IjLj3EES5_S5_S5_
; %bb.0:
	s_load_dwordx4 s[12:15], s[4:5], 0x10
	s_load_dword s9, s[4:5], 0x50
	s_mov_b32 s2, 0
	s_waitcnt lgkmcnt(0)
	s_mul_hi_i32 s3, s15, s6
	s_cmp_lg_u64 s[2:3], 0
	s_mul_i32 s2, s15, s6
	s_cbranch_scc0 .LBB67_21
; %bb.1:
	v_cvt_f32_u32_e32 v1, s9
	v_cvt_f32_ubyte0_e32 v2, 0
	s_sub_u32 s10, 0, s9
	s_subb_u32 s11, 0, 0
	v_madmk_f32 v1, v2, 0x4f800000, v1
	v_rcp_f32_e32 v1, v1
	v_mul_f32_e32 v1, 0x5f7ffffc, v1
	v_mul_f32_e32 v2, 0x2f800000, v1
	v_trunc_f32_e32 v2, v2
	v_madmk_f32 v1, v2, 0xcf800000, v1
	v_cvt_u32_f32_e32 v2, v2
	v_cvt_u32_f32_e32 v1, v1
	v_readfirstlane_b32 s16, v2
	v_readfirstlane_b32 s17, v1
	s_mul_i32 s18, s10, s16
	s_mul_hi_u32 s20, s10, s17
	s_mul_i32 s19, s11, s17
	s_add_i32 s18, s20, s18
	s_add_i32 s18, s18, s19
	s_mul_i32 s21, s10, s17
	s_mul_hi_u32 s19, s17, s18
	s_mul_i32 s20, s17, s18
	s_mul_hi_u32 s17, s17, s21
	s_add_u32 s17, s17, s20
	s_addc_u32 s19, 0, s19
	s_mul_hi_u32 s22, s16, s21
	s_mul_i32 s21, s16, s21
	s_add_u32 s17, s17, s21
	s_mul_hi_u32 s20, s16, s18
	s_addc_u32 s17, s19, s22
	s_addc_u32 s19, s20, 0
	s_mul_i32 s18, s16, s18
	s_add_u32 s17, s17, s18
	s_addc_u32 s18, 0, s19
	v_add_co_u32_e32 v1, vcc, s17, v1
	s_cmp_lg_u64 vcc, 0
	s_addc_u32 s16, s16, s18
	v_readfirstlane_b32 s18, v1
	s_mul_i32 s17, s10, s16
	s_mul_hi_u32 s19, s10, s18
	s_add_i32 s17, s19, s17
	s_mul_i32 s11, s11, s18
	s_add_i32 s17, s17, s11
	s_mul_i32 s10, s10, s18
	s_mul_hi_u32 s19, s16, s10
	s_mul_i32 s20, s16, s10
	s_mul_i32 s22, s18, s17
	s_mul_hi_u32 s10, s18, s10
	s_mul_hi_u32 s21, s18, s17
	s_add_u32 s10, s10, s22
	s_addc_u32 s18, 0, s21
	s_add_u32 s10, s10, s20
	s_mul_hi_u32 s11, s16, s17
	s_addc_u32 s10, s18, s19
	s_addc_u32 s11, s11, 0
	s_mul_i32 s17, s16, s17
	s_add_u32 s10, s10, s17
	s_addc_u32 s11, 0, s11
	v_add_co_u32_e32 v1, vcc, s10, v1
	s_cmp_lg_u64 vcc, 0
	s_addc_u32 s18, s16, s11
	s_ashr_i32 s10, s3, 31
	s_add_u32 s16, s2, s10
	s_mov_b32 s11, s10
	s_addc_u32 s17, s3, s10
	s_xor_b64 s[16:17], s[16:17], s[10:11]
	v_readfirstlane_b32 s20, v1
	s_mul_i32 s19, s16, s18
	s_mul_hi_u32 s21, s16, s20
	s_mul_hi_u32 s3, s16, s18
	s_add_u32 s19, s21, s19
	s_addc_u32 s3, 0, s3
	s_mul_hi_u32 s22, s17, s20
	s_mul_i32 s20, s17, s20
	s_add_u32 s19, s19, s20
	s_mul_hi_u32 s21, s17, s18
	s_addc_u32 s3, s3, s22
	s_addc_u32 s19, s21, 0
	s_mul_i32 s18, s17, s18
	s_add_u32 s3, s3, s18
	s_addc_u32 s18, 0, s19
	s_add_u32 s19, s3, 1
	s_addc_u32 s20, s18, 0
	s_add_u32 s21, s3, 2
	s_mul_i32 s23, s9, s18
	s_mul_hi_u32 s24, s9, s3
	s_addc_u32 s22, s18, 0
	s_add_i32 s24, s24, s23
	s_mul_i32 s23, s9, s3
	v_mov_b32_e32 v1, s23
	v_sub_co_u32_e32 v1, vcc, s16, v1
	s_cmp_lg_u64 vcc, 0
	s_subb_u32 s16, s17, s24
	v_subrev_co_u32_e32 v2, vcc, s9, v1
	s_cmp_lg_u64 vcc, 0
	s_subb_u32 s17, s16, 0
	v_readfirstlane_b32 s23, v2
	s_cmp_ge_u32 s23, s9
	s_cselect_b32 s23, -1, 0
	s_cmp_eq_u32 s17, 0
	s_cselect_b32 s17, s23, -1
	s_cmp_lg_u32 s17, 0
	s_cselect_b32 s17, s22, s20
	v_readfirstlane_b32 s20, v1
	s_cselect_b32 s19, s21, s19
	s_cmp_ge_u32 s20, s9
	s_cselect_b32 s20, -1, 0
	s_cmp_eq_u32 s16, 0
	s_cselect_b32 s16, s20, -1
	s_cmp_lg_u32 s16, 0
	s_cselect_b32 s17, s17, s18
	s_cselect_b32 s16, s19, s3
	s_xor_b64 s[16:17], s[16:17], s[10:11]
	s_sub_u32 s20, s16, s10
	s_load_dwordx4 s[16:19], s[4:5], 0x44
	s_cbranch_execnz .LBB67_3
.LBB67_2:
	v_cvt_f32_u32_e32 v1, s9
	s_sub_i32 s0, 0, s9
	v_rcp_iflag_f32_e32 v1, v1
	v_mul_f32_e32 v1, 0x4f7ffffe, v1
	v_cvt_u32_f32_e32 v1, v1
	v_readfirstlane_b32 s1, v1
	s_mul_i32 s0, s0, s1
	s_mul_hi_u32 s0, s1, s0
	s_add_i32 s1, s1, s0
	s_mul_hi_u32 s0, s2, s1
	s_mul_i32 s3, s0, s9
	s_sub_i32 s2, s2, s3
	s_add_i32 s1, s0, 1
	s_sub_i32 s3, s2, s9
	s_cmp_ge_u32 s2, s9
	s_cselect_b32 s0, s1, s0
	s_cselect_b32 s2, s3, s2
	s_add_i32 s1, s0, 1
	s_cmp_ge_u32 s2, s9
	s_cselect_b32 s20, s1, s0
.LBB67_3:
	s_add_i32 s0, s6, 1
	s_mul_hi_i32 s3, s15, s0
	s_mov_b32 s2, 0
	s_cmp_lg_u64 s[2:3], 0
	s_mul_i32 s2, s15, s0
	s_cbranch_scc0 .LBB67_22
; %bb.4:
	v_cvt_f32_u32_e32 v1, s9
	v_cvt_f32_ubyte0_e32 v2, 0
	s_sub_u32 s10, 0, s9
	s_subb_u32 s11, 0, 0
	v_madmk_f32 v1, v2, 0x4f800000, v1
	v_rcp_f32_e32 v1, v1
	v_mul_f32_e32 v1, 0x5f7ffffc, v1
	v_mul_f32_e32 v2, 0x2f800000, v1
	v_trunc_f32_e32 v2, v2
	v_madmk_f32 v1, v2, 0xcf800000, v1
	v_cvt_u32_f32_e32 v2, v2
	v_cvt_u32_f32_e32 v1, v1
	s_waitcnt lgkmcnt(0)
	v_readfirstlane_b32 s19, v2
	v_readfirstlane_b32 s21, v1
	s_mul_i32 s22, s10, s19
	s_mul_hi_u32 s24, s10, s21
	s_mul_i32 s23, s11, s21
	s_add_i32 s22, s24, s22
	s_add_i32 s22, s22, s23
	s_mul_i32 s25, s10, s21
	s_mul_hi_u32 s23, s21, s22
	s_mul_i32 s24, s21, s22
	s_mul_hi_u32 s21, s21, s25
	s_add_u32 s21, s21, s24
	s_addc_u32 s23, 0, s23
	s_mul_hi_u32 s26, s19, s25
	s_mul_i32 s25, s19, s25
	s_add_u32 s21, s21, s25
	s_mul_hi_u32 s24, s19, s22
	s_addc_u32 s21, s23, s26
	s_addc_u32 s23, s24, 0
	s_mul_i32 s22, s19, s22
	s_add_u32 s21, s21, s22
	s_addc_u32 s22, 0, s23
	v_add_co_u32_e32 v1, vcc, s21, v1
	s_cmp_lg_u64 vcc, 0
	s_addc_u32 s19, s19, s22
	v_readfirstlane_b32 s22, v1
	s_mul_i32 s21, s10, s19
	s_mul_hi_u32 s23, s10, s22
	s_add_i32 s21, s23, s21
	s_mul_i32 s11, s11, s22
	s_add_i32 s21, s21, s11
	s_mul_i32 s10, s10, s22
	s_mul_hi_u32 s23, s19, s10
	s_mul_i32 s24, s19, s10
	s_mul_i32 s26, s22, s21
	s_mul_hi_u32 s10, s22, s10
	s_mul_hi_u32 s25, s22, s21
	s_add_u32 s10, s10, s26
	s_addc_u32 s22, 0, s25
	s_add_u32 s10, s10, s24
	s_mul_hi_u32 s11, s19, s21
	s_addc_u32 s10, s22, s23
	s_addc_u32 s11, s11, 0
	s_mul_i32 s21, s19, s21
	s_add_u32 s10, s10, s21
	s_addc_u32 s11, 0, s11
	v_add_co_u32_e32 v1, vcc, s10, v1
	s_cmp_lg_u64 vcc, 0
	s_addc_u32 s19, s19, s11
	s_ashr_i32 s10, s3, 31
	s_add_u32 s22, s2, s10
	s_mov_b32 s11, s10
	s_addc_u32 s23, s3, s10
	s_xor_b64 s[22:23], s[22:23], s[10:11]
	v_readfirstlane_b32 s21, v1
	s_mul_i32 s11, s22, s19
	s_mul_hi_u32 s24, s22, s21
	s_mul_hi_u32 s3, s22, s19
	s_add_u32 s11, s24, s11
	s_addc_u32 s3, 0, s3
	s_mul_hi_u32 s25, s23, s21
	s_mul_i32 s21, s23, s21
	s_add_u32 s11, s11, s21
	s_mul_hi_u32 s24, s23, s19
	s_addc_u32 s3, s3, s25
	s_addc_u32 s11, s24, 0
	s_mul_i32 s19, s23, s19
	s_add_u32 s3, s3, s19
	s_addc_u32 s11, 0, s11
	s_mul_i32 s11, s9, s11
	s_mul_hi_u32 s24, s9, s3
	s_add_i32 s24, s24, s11
	s_mul_i32 s11, s9, s3
	v_mov_b32_e32 v1, s11
	s_add_u32 s19, s3, 1
	s_add_u32 s21, s3, 2
	v_sub_co_u32_e32 v1, vcc, s22, v1
	s_cmp_lg_u64 vcc, 0
	s_subb_u32 s11, s23, s24
	v_subrev_co_u32_e32 v2, vcc, s9, v1
	s_cmp_lg_u64 vcc, 0
	s_subb_u32 s22, s11, 0
	v_cmp_le_u32_e32 vcc, s9, v2
	s_cmp_eq_u32 s22, 0
	v_cndmask_b32_e64 v2, 0, -1, vcc
	s_cselect_b64 vcc, -1, 0
	v_cndmask_b32_e32 v2, -1, v2, vcc
	v_mov_b32_e32 v3, s19
	v_mov_b32_e32 v4, s21
	v_cmp_ne_u32_e32 vcc, 0, v2
	v_cndmask_b32_e32 v2, v3, v4, vcc
	v_cmp_le_u32_e32 vcc, s9, v1
	s_cmp_eq_u32 s11, 0
	v_cndmask_b32_e64 v1, 0, -1, vcc
	s_cselect_b64 vcc, -1, 0
	v_cndmask_b32_e32 v1, -1, v1, vcc
	v_mov_b32_e32 v3, s3
	v_cmp_ne_u32_e32 vcc, 0, v1
	v_cndmask_b32_e32 v1, v3, v2, vcc
	v_xor_b32_e32 v1, s10, v1
	v_subrev_co_u32_e32 v2, vcc, s10, v1
	s_cbranch_execnz .LBB67_6
.LBB67_5:
	v_cvt_f32_u32_e32 v1, s9
	s_sub_i32 s0, 0, s9
	s_mov_b32 s1, 0
	v_rcp_iflag_f32_e32 v1, v1
	v_mul_f32_e32 v1, 0x4f7ffffe, v1
	v_cvt_u32_f32_e32 v1, v1
	v_readfirstlane_b32 s3, v1
	s_mul_i32 s0, s0, s3
	s_mul_hi_u32 s0, s3, s0
	s_add_i32 s3, s3, s0
	s_mul_hi_u32 s0, s2, s3
	s_mul_i32 s10, s0, s9
	s_sub_i32 s2, s2, s10
	s_add_i32 s3, s0, 1
	s_sub_i32 s10, s2, s9
	s_cmp_ge_u32 s2, s9
	s_cselect_b32 s0, s3, s0
	s_cselect_b32 s2, s10, s2
	s_add_i32 s3, s0, 1
	s_cmp_ge_u32 s2, s9
	s_cselect_b32 s0, s3, s0
	v_pk_mov_b32 v[2:3], s[0:1], s[0:1] op_sel:[0,1]
.LBB67_6:
	s_waitcnt lgkmcnt(0)
	s_mul_hi_u32 s0, s20, s16
	s_add_i32 s0, s0, s20
	v_mul_hi_u32 v1, v2, s16
	s_lshr_b32 s19, s0, s17
	v_add_u32_e32 v1, v1, v2
	s_mul_i32 s0, s19, s18
	v_lshrrev_b32_e32 v1, s17, v1
	s_cmp_eq_u32 s0, s20
	v_cmp_eq_u32_e64 s[0:1], s19, v1
	v_mul_lo_u32 v1, v1, s18
	v_cmp_eq_u32_e32 vcc, s20, v2
	s_cselect_b64 s[10:11], -1, 0
	v_cmp_ne_u32_e64 s[2:3], v1, v2
	s_and_b64 s[0:1], s[0:1], s[2:3]
	s_or_b64 s[2:3], vcc, s[10:11]
	s_or_b64 s[0:1], s[2:3], s[0:1]
	s_and_b64 vcc, exec, s[0:1]
	s_cbranch_vccnz .LBB67_24
; %bb.7:
	s_load_dwordx8 s[24:31], s[4:5], 0x20
	s_load_dword s0, s[4:5], 0x40
	s_mov_b32 s10, 0
	s_waitcnt lgkmcnt(0)
	s_mul_hi_u32 s1, s20, s24
	s_add_i32 s1, s1, s20
	s_lshr_b32 s11, s1, s25
	s_mul_i32 s1, s11, s26
	s_sub_i32 s1, s20, s1
	s_mul_hi_u32 s2, s1, s27
	s_add_i32 s2, s1, s2
	s_lshr_b32 s25, s2, s28
	s_mul_i32 s2, s25, s29
	s_sub_i32 s1, s1, s2
	;; [unrolled: 5-line block ×3, first 2 shown]
	s_mul_hi_u32 s1, s0, s16
	s_add_i32 s0, s0, s1
	s_lshr_b32 s26, s0, s17
	s_lshl_b32 s0, s26, 2
	s_add_i32 s0, s0, s7
	s_cmp_lt_i32 s0, s12
	s_cselect_b64 s[0:1], -1, 0
	s_add_i32 s2, s24, s8
	s_cmp_lt_i32 s2, s14
	s_cselect_b64 s[2:3], -1, 0
	s_and_b64 s[0:1], s[0:1], s[2:3]
	s_andn2_b64 vcc, exec, s[0:1]
	s_cbranch_vccnz .LBB67_24
; %bb.8:
	s_load_dwordx4 s[0:3], s[4:5], 0x0
	s_lshl_b32 s4, s9, 4
	s_mov_b32 s5, s10
	s_add_i32 s21, s7, s8
	s_lshl_b64 s[4:5], s[4:5], 2
	s_waitcnt lgkmcnt(0)
	s_add_u32 s22, s2, s4
	s_mul_i32 s4, s11, s12
	s_addc_u32 s23, s3, s5
	s_add_i32 s4, s4, s7
	s_mul_i32 s4, s4, s13
	s_mul_i32 s25, s25, s14
	s_add_i32 s4, s4, s8
	s_add_i32 s4, s4, s25
	s_mul_i32 s5, s13, s26
	s_add_i32 s4, s4, s24
	s_lshl_b32 s5, s5, 8
	s_lshl_b32 s4, s4, 6
	s_add_i32 s5, s5, s4
	v_or_b32_e32 v2, s5, v0
	v_ashrrev_i32_e32 v3, 31, v2
	v_lshlrev_b64 v[2:3], 2, v[2:3]
	v_mov_b32_e32 v1, s1
	v_add_co_u32_e32 v2, vcc, s0, v2
	v_addc_co_u32_e32 v3, vcc, v1, v3, vcc
	global_load_dword v5, v[2:3], off
	v_lshl_or_b32 v4, s21, 6, v0
	v_cvt_f32_u32_e32 v0, s9
	v_cvt_f32_ubyte0_e32 v1, 0
	s_lshl_b32 s0, s6, 2
	s_add_i32 s0, s0, s21
	v_mac_f32_e32 v0, 0x4f800000, v1
	v_rcp_f32_e32 v0, v0
	v_cvt_f32_u32_e32 v1, s9
	s_ashr_i32 s1, s0, 31
	s_lshl_b64 s[0:1], s[0:1], 3
	v_mul_f32_e32 v0, 0x5f7ffffc, v0
	v_rcp_iflag_f32_e32 v1, v1
	s_add_u32 s0, s2, s0
	v_mul_f32_e32 v9, 0x2f800000, v0
	s_addc_u32 s1, s3, s1
	v_trunc_f32_e32 v10, v9
	s_load_dwordx2 s[0:1], s[0:1], 0x0
	v_mac_f32_e32 v0, 0xcf800000, v10
	v_cvt_u32_f32_e32 v9, v0
	v_mul_f32_e32 v0, 0x4f7ffffe, v1
	v_cvt_u32_f32_e32 v10, v10
	v_cvt_u32_f32_e32 v11, v0
	s_add_i32 s8, s6, -1
	s_waitcnt lgkmcnt(0)
	v_mov_b32_e32 v6, s1
	v_mov_b32_e32 v7, s0
	;; [unrolled: 1-line block ×3, first 2 shown]
	s_mov_b32 s6, 0x3fb8aa3b
	s_mov_b32 s7, 0xc2ce8ed0
	;; [unrolled: 1-line block ×4, first 2 shown]
	v_mov_b32_e32 v12, 0x7f800000
	s_mul_hi_i32 s11, s8, s15
	s_cmp_lg_u64 s[10:11], 0
	s_mul_i32 s4, s8, s15
	s_cbranch_scc0 .LBB67_15
.LBB67_9:
	s_sub_u32 s0, 0, s9
	v_readfirstlane_b32 s5, v9
	v_readfirstlane_b32 s24, v10
	s_subb_u32 s1, 0, 0
	s_mul_hi_u32 s20, s0, s5
	s_mul_i32 s25, s0, s24
	s_mul_i32 s14, s1, s5
	s_add_i32 s20, s20, s25
	s_add_i32 s20, s20, s14
	s_mul_i32 s26, s0, s5
	s_mul_hi_u32 s14, s5, s20
	s_mul_i32 s25, s5, s20
	s_mul_hi_u32 s5, s5, s26
	s_add_u32 s5, s5, s25
	s_addc_u32 s14, 0, s14
	s_mul_hi_u32 s27, s24, s26
	s_mul_i32 s26, s24, s26
	s_add_u32 s5, s5, s26
	s_mul_hi_u32 s25, s24, s20
	s_addc_u32 s5, s14, s27
	s_addc_u32 s14, s25, 0
	s_mul_i32 s20, s24, s20
	s_add_u32 s5, s5, s20
	s_addc_u32 s14, 0, s14
	v_add_co_u32_e32 v0, vcc, s5, v9
	s_cmp_lg_u64 vcc, 0
	s_addc_u32 s5, s24, s14
	v_readfirstlane_b32 s20, v0
	s_mul_i32 s14, s0, s5
	s_mul_hi_u32 s24, s0, s20
	s_add_i32 s14, s24, s14
	s_mul_i32 s1, s1, s20
	s_add_i32 s14, s14, s1
	s_mul_i32 s0, s0, s20
	s_mul_hi_u32 s24, s5, s0
	s_mul_i32 s25, s5, s0
	s_mul_i32 s27, s20, s14
	s_mul_hi_u32 s0, s20, s0
	s_mul_hi_u32 s26, s20, s14
	s_add_u32 s0, s0, s27
	s_addc_u32 s20, 0, s26
	s_add_u32 s0, s0, s25
	s_mul_hi_u32 s1, s5, s14
	s_addc_u32 s0, s20, s24
	s_addc_u32 s1, s1, 0
	s_mul_i32 s14, s5, s14
	s_add_u32 s0, s0, s14
	s_addc_u32 s1, 0, s1
	v_add_co_u32_e32 v0, vcc, s0, v0
	s_cmp_lg_u64 vcc, 0
	s_addc_u32 s5, s5, s1
	s_ashr_i32 s0, s11, 31
	s_add_u32 s24, s4, s0
	s_mov_b32 s1, s0
	s_addc_u32 s25, s11, s0
	s_xor_b64 s[24:25], s[24:25], s[0:1]
	v_readfirstlane_b32 s14, v0
	s_mul_i32 s11, s24, s5
	s_mul_hi_u32 s20, s24, s14
	s_mul_hi_u32 s1, s24, s5
	s_add_u32 s11, s20, s11
	s_addc_u32 s1, 0, s1
	s_mul_hi_u32 s26, s25, s14
	s_mul_i32 s14, s25, s14
	s_add_u32 s11, s11, s14
	s_mul_hi_u32 s20, s25, s5
	s_addc_u32 s1, s1, s26
	s_addc_u32 s11, s20, 0
	s_mul_i32 s5, s25, s5
	s_add_u32 s1, s1, s5
	s_addc_u32 s5, 0, s11
	s_mul_i32 s5, s9, s5
	s_mul_hi_u32 s20, s9, s1
	s_add_i32 s20, s20, s5
	s_mul_i32 s5, s9, s1
	v_mov_b32_e32 v0, s5
	s_add_u32 s11, s1, 1
	s_add_u32 s14, s1, 2
	v_sub_co_u32_e32 v0, vcc, s24, v0
	s_cmp_lg_u64 vcc, 0
	s_subb_u32 s5, s25, s20
	v_subrev_co_u32_e32 v1, vcc, s9, v0
	s_cmp_lg_u64 vcc, 0
	s_subb_u32 s20, s5, 0
	v_cmp_le_u32_e32 vcc, s9, v1
	s_cmp_eq_u32 s20, 0
	v_cndmask_b32_e64 v1, 0, -1, vcc
	s_cselect_b64 vcc, -1, 0
	v_cndmask_b32_e32 v1, -1, v1, vcc
	v_mov_b32_e32 v13, s11
	v_mov_b32_e32 v14, s14
	v_cmp_ne_u32_e32 vcc, 0, v1
	v_cndmask_b32_e32 v1, v13, v14, vcc
	v_cmp_le_u32_e32 vcc, s9, v0
	s_cmp_eq_u32 s5, 0
	v_cndmask_b32_e64 v0, 0, -1, vcc
	s_cselect_b64 vcc, -1, 0
	v_cndmask_b32_e32 v0, -1, v0, vcc
	v_mov_b32_e32 v13, s1
	v_cmp_ne_u32_e32 vcc, 0, v0
	v_cndmask_b32_e32 v0, v13, v1, vcc
	v_xor_b32_e32 v0, s0, v0
	v_subrev_co_u32_e32 v0, vcc, s0, v0
	s_cbranch_execnz .LBB67_11
.LBB67_10:
	s_sub_i32 s0, 0, s9
	v_mul_lo_u32 v0, s0, v11
	v_mul_hi_u32 v0, v11, v0
	v_add_u32_e32 v0, v11, v0
	v_mul_hi_u32 v0, s4, v0
	v_mul_lo_u32 v13, v0, s9
	v_sub_u32_e32 v13, s4, v13
	v_add_u32_e32 v1, 1, v0
	v_subrev_u32_e32 v14, s9, v13
	v_cmp_le_u32_e32 vcc, s9, v13
	v_cndmask_b32_e32 v13, v13, v14, vcc
	v_cndmask_b32_e32 v0, v0, v1, vcc
	v_add_u32_e32 v1, 1, v0
	v_cmp_le_u32_e32 vcc, s9, v13
	v_cndmask_b32_e32 v0, v0, v1, vcc
.LBB67_11:
	v_cmp_ne_u32_e32 vcc, v8, v0
	s_cbranch_vccz .LBB67_14
; %bb.12:
	s_add_i32 s0, s8, s9
	s_lshl_b32 s0, s0, 2
	v_mul_hi_u32 v1, v0, s16
	s_add_i32 s0, s0, s21
	s_mov_b32 s1, s10
	v_add_u32_e32 v1, v1, v0
	s_lshl_b64 s[0:1], s[0:1], 3
	v_lshrrev_b32_e32 v1, s17, v1
	s_add_u32 s4, s2, s0
	v_mul_lo_u32 v13, v1, s18
	s_addc_u32 s5, s3, s1
	v_cmp_eq_u32_e32 vcc, v13, v0
	v_cmp_gt_u32_e64 s[0:1], s19, v1
	s_or_b64 s[0:1], s[0:1], vcc
	s_and_b64 vcc, exec, s[0:1]
	s_cbranch_vccnz .LBB67_16
; %bb.13:
	s_add_i32 s11, s8, -1
	s_mov_b64 s[0:1], 0
	s_branch .LBB67_17
.LBB67_14:
                                        ; implicit-def: $sgpr0_sgpr1
                                        ; implicit-def: $vgpr14
                                        ; implicit-def: $vgpr1
                                        ; implicit-def: $vgpr13
                                        ; implicit-def: $sgpr11
                                        ; implicit-def: $vgpr0
	s_branch .LBB67_18
.LBB67_15:
                                        ; implicit-def: $vgpr0_vgpr1
	s_branch .LBB67_10
.LBB67_16:
	s_mov_b64 s[0:1], -1
	s_mov_b32 s11, s8
	v_mov_b32_e32 v0, v8
.LBB67_17:
	v_lshl_add_u32 v14, s8, 8, v4
	v_ashrrev_i32_e32 v15, 31, v14
	v_lshlrev_b64 v[14:15], 2, v[14:15]
	v_mov_b32_e32 v1, s23
	v_add_co_u32_e32 v14, vcc, s22, v14
	v_addc_co_u32_e32 v15, vcc, v1, v15, vcc
	global_load_dword v14, v[14:15], off
	s_load_dwordx2 s[4:5], s[4:5], 0x0
	v_max_f32_e32 v1, v7, v7
	s_waitcnt lgkmcnt(0)
	v_max_f32_e64 v13, s4, s4
	v_max_f32_e32 v1, v1, v13
	v_sub_f32_e32 v13, v7, v1
	v_sub_f32_e32 v15, s4, v1
	v_mul_f32_e32 v16, 0x3fb8aa3b, v13
	v_mul_f32_e32 v17, 0x3fb8aa3b, v15
	v_fma_f32 v18, v13, s6, -v16
	v_rndne_f32_e32 v19, v16
	v_fma_f32 v20, v15, s6, -v17
	v_rndne_f32_e32 v21, v17
	v_fmac_f32_e32 v18, 0x32a5705f, v13
	v_sub_f32_e32 v16, v16, v19
	v_fmac_f32_e32 v20, 0x32a5705f, v15
	v_sub_f32_e32 v17, v17, v21
	v_add_f32_e32 v16, v16, v18
	v_cvt_i32_f32_e32 v19, v19
	v_add_f32_e32 v17, v17, v20
	v_exp_f32_e32 v16, v16
	v_cvt_i32_f32_e32 v21, v21
	v_exp_f32_e32 v17, v17
	v_cmp_ngt_f32_e32 vcc, s7, v13
	v_ldexp_f32 v16, v16, v19
	v_cndmask_b32_e32 v16, 0, v16, vcc
	v_ldexp_f32 v17, v17, v21
	v_cmp_ngt_f32_e32 vcc, s7, v15
	v_cndmask_b32_e32 v17, 0, v17, vcc
	v_cmp_nlt_f32_e32 vcc, s12, v13
	v_cndmask_b32_e32 v16, v12, v16, vcc
	v_cmp_nlt_f32_e32 vcc, s12, v15
	v_cndmask_b32_e32 v17, v12, v17, vcc
	v_cmp_le_f32_e32 vcc, s13, v13
	v_cndmask_b32_e32 v16, 0, v16, vcc
	v_cmp_le_f32_e32 vcc, s13, v15
	v_cndmask_b32_e32 v15, 0, v17, vcc
	v_mul_f32_e32 v13, s5, v15
	v_fmac_f32_e32 v13, v6, v16
	s_waitcnt vmcnt(0)
	v_mul_f32_e32 v14, v14, v15
	v_fmac_f32_e32 v14, v5, v16
	s_cbranch_execnz .LBB67_19
.LBB67_18:
	s_add_i32 s11, s8, -1
	s_mov_b64 s[0:1], 0
	v_mov_b32_e32 v0, v8
	v_mov_b32_e32 v13, v6
	;; [unrolled: 1-line block ×3, first 2 shown]
	s_waitcnt vmcnt(0)
	v_mov_b32_e32 v14, v5
.LBB67_19:
	s_andn2_b64 vcc, exec, s[0:1]
	s_cbranch_vccz .LBB67_23
; %bb.20:
	v_mov_b32_e32 v8, v0
	s_mov_b32 s8, s11
	v_mov_b32_e32 v6, v13
	v_mov_b32_e32 v7, v1
	s_waitcnt vmcnt(0)
	v_mov_b32_e32 v5, v14
	s_mul_hi_i32 s11, s8, s15
	s_cmp_lg_u64 s[10:11], 0
	s_mul_i32 s4, s8, s15
	s_cbranch_scc1 .LBB67_9
	s_branch .LBB67_15
.LBB67_21:
                                        ; implicit-def: $sgpr20_sgpr21
	s_load_dwordx4 s[16:19], s[4:5], 0x44
	s_branch .LBB67_2
.LBB67_22:
                                        ; implicit-def: $vgpr2_vgpr3
	s_branch .LBB67_5
.LBB67_23:
	v_div_scale_f32 v0, s[0:1], v13, v13, v14
	v_rcp_f32_e32 v1, v0
	v_div_scale_f32 v4, vcc, v14, v13, v14
	s_waitcnt vmcnt(0)
	v_fma_f32 v5, -v0, v1, 1.0
	v_fmac_f32_e32 v1, v5, v1
	v_mul_f32_e32 v5, v4, v1
	v_fma_f32 v6, -v0, v5, v4
	v_fmac_f32_e32 v5, v6, v1
	v_fma_f32 v0, -v0, v5, v4
	v_div_fmas_f32 v0, v0, v1, v5
	v_div_fixup_f32 v0, v0, v13, v14
	global_store_dword v[2:3], v0, off
.LBB67_24:
	s_endpgm
	.section	.rodata,"a",@progbits
	.p2align	6, 0x0
	.amdhsa_kernel _ZL33flash_attn_stream_k_fixup_generalILi64ELi4ELi1EEvPfPK15HIP_vector_typeIfLj2EEiiiiS1_IjLj3EES5_S5_S5_
		.amdhsa_group_segment_fixed_size 0
		.amdhsa_private_segment_fixed_size 0
		.amdhsa_kernarg_size 336
		.amdhsa_user_sgpr_count 6
		.amdhsa_user_sgpr_private_segment_buffer 1
		.amdhsa_user_sgpr_dispatch_ptr 0
		.amdhsa_user_sgpr_queue_ptr 0
		.amdhsa_user_sgpr_kernarg_segment_ptr 1
		.amdhsa_user_sgpr_dispatch_id 0
		.amdhsa_user_sgpr_flat_scratch_init 0
		.amdhsa_user_sgpr_kernarg_preload_length 0
		.amdhsa_user_sgpr_kernarg_preload_offset 0
		.amdhsa_user_sgpr_private_segment_size 0
		.amdhsa_uses_dynamic_stack 0
		.amdhsa_system_sgpr_private_segment_wavefront_offset 0
		.amdhsa_system_sgpr_workgroup_id_x 1
		.amdhsa_system_sgpr_workgroup_id_y 1
		.amdhsa_system_sgpr_workgroup_id_z 1
		.amdhsa_system_sgpr_workgroup_info 0
		.amdhsa_system_vgpr_workitem_id 0
		.amdhsa_next_free_vgpr 22
		.amdhsa_next_free_sgpr 32
		.amdhsa_accum_offset 24
		.amdhsa_reserve_vcc 1
		.amdhsa_reserve_flat_scratch 0
		.amdhsa_float_round_mode_32 0
		.amdhsa_float_round_mode_16_64 0
		.amdhsa_float_denorm_mode_32 3
		.amdhsa_float_denorm_mode_16_64 3
		.amdhsa_dx10_clamp 1
		.amdhsa_ieee_mode 1
		.amdhsa_fp16_overflow 0
		.amdhsa_tg_split 0
		.amdhsa_exception_fp_ieee_invalid_op 0
		.amdhsa_exception_fp_denorm_src 0
		.amdhsa_exception_fp_ieee_div_zero 0
		.amdhsa_exception_fp_ieee_overflow 0
		.amdhsa_exception_fp_ieee_underflow 0
		.amdhsa_exception_fp_ieee_inexact 0
		.amdhsa_exception_int_div_zero 0
	.end_amdhsa_kernel
	.section	.text._ZL33flash_attn_stream_k_fixup_generalILi64ELi4ELi1EEvPfPK15HIP_vector_typeIfLj2EEiiiiS1_IjLj3EES5_S5_S5_,"axG",@progbits,_ZL33flash_attn_stream_k_fixup_generalILi64ELi4ELi1EEvPfPK15HIP_vector_typeIfLj2EEiiiiS1_IjLj3EES5_S5_S5_,comdat
.Lfunc_end67:
	.size	_ZL33flash_attn_stream_k_fixup_generalILi64ELi4ELi1EEvPfPK15HIP_vector_typeIfLj2EEiiiiS1_IjLj3EES5_S5_S5_, .Lfunc_end67-_ZL33flash_attn_stream_k_fixup_generalILi64ELi4ELi1EEvPfPK15HIP_vector_typeIfLj2EEiiiiS1_IjLj3EES5_S5_S5_
                                        ; -- End function
	.section	.AMDGPU.csdata,"",@progbits
; Kernel info:
; codeLenInByte = 2816
; NumSgprs: 36
; NumVgprs: 22
; NumAgprs: 0
; TotalNumVgprs: 22
; ScratchSize: 0
; MemoryBound: 0
; FloatMode: 240
; IeeeMode: 1
; LDSByteSize: 0 bytes/workgroup (compile time only)
; SGPRBlocks: 4
; VGPRBlocks: 2
; NumSGPRsForWavesPerEU: 36
; NumVGPRsForWavesPerEU: 22
; AccumOffset: 24
; Occupancy: 8
; WaveLimiterHint : 0
; COMPUTE_PGM_RSRC2:SCRATCH_EN: 0
; COMPUTE_PGM_RSRC2:USER_SGPR: 6
; COMPUTE_PGM_RSRC2:TRAP_HANDLER: 0
; COMPUTE_PGM_RSRC2:TGID_X_EN: 1
; COMPUTE_PGM_RSRC2:TGID_Y_EN: 1
; COMPUTE_PGM_RSRC2:TGID_Z_EN: 1
; COMPUTE_PGM_RSRC2:TIDIG_COMP_CNT: 0
; COMPUTE_PGM_RSRC3_GFX90A:ACCUM_OFFSET: 5
; COMPUTE_PGM_RSRC3_GFX90A:TG_SPLIT: 0
	.section	.text._ZL15flash_attn_tileILi64ELi64ELi2ELi1ELb0EEvPKcS1_S1_S1_S1_PKiPfP15HIP_vector_typeIfLj2EEffffjfiS5_IjLj3EEiiiiiiiiiiiliiliiiiil,"axG",@progbits,_ZL15flash_attn_tileILi64ELi64ELi2ELi1ELb0EEvPKcS1_S1_S1_S1_PKiPfP15HIP_vector_typeIfLj2EEffffjfiS5_IjLj3EEiiiiiiiiiiiliiliiiiil,comdat
	.globl	_ZL15flash_attn_tileILi64ELi64ELi2ELi1ELb0EEvPKcS1_S1_S1_S1_PKiPfP15HIP_vector_typeIfLj2EEffffjfiS5_IjLj3EEiiiiiiiiiiiliiliiiiil ; -- Begin function _ZL15flash_attn_tileILi64ELi64ELi2ELi1ELb0EEvPKcS1_S1_S1_S1_PKiPfP15HIP_vector_typeIfLj2EEffffjfiS5_IjLj3EEiiiiiiiiiiiliiliiiiil
	.p2align	8
	.type	_ZL15flash_attn_tileILi64ELi64ELi2ELi1ELb0EEvPKcS1_S1_S1_S1_PKiPfP15HIP_vector_typeIfLj2EEffffjfiS5_IjLj3EEiiiiiiiiiiiliiliiiiil,@function
_ZL15flash_attn_tileILi64ELi64ELi2ELi1ELb0EEvPKcS1_S1_S1_S1_PKiPfP15HIP_vector_typeIfLj2EEffffjfiS5_IjLj3EEiiiiiiiiiiiliiliiiiil: ; @_ZL15flash_attn_tileILi64ELi64ELi2ELi1ELb0EEvPKcS1_S1_S1_S1_PKiPfP15HIP_vector_typeIfLj2EEffffjfiS5_IjLj3EEiiiiiiiiiiiliiliiiiil
; %bb.0:
	s_load_dwordx4 s[36:39], s[4:5], 0x5c
	s_load_dwordx2 s[14:15], s[4:5], 0x80
	s_add_u32 flat_scratch_lo, s6, s11
	s_addc_u32 flat_scratch_hi, s7, 0
	s_add_u32 s0, s0, s11
	s_waitcnt lgkmcnt(0)
	v_cvt_f32_u32_e32 v1, s39
	s_addc_u32 s1, s1, 0
	s_sub_i32 s6, 0, s39
	s_load_dwordx16 s[16:31], s[4:5], 0x0
	v_rcp_iflag_f32_e32 v1, v1
	s_load_dwordx2 s[46:47], s[4:5], 0xb8
	s_mov_b64 s[44:45], 0
	v_mul_f32_e32 v1, 0x4f7ffffe, v1
	v_cvt_u32_f32_e32 v1, v1
	v_readfirstlane_b32 s7, v1
	s_mul_i32 s6, s6, s7
	s_mul_hi_u32 s6, s7, s6
	s_add_i32 s7, s7, s6
	s_mul_hi_u32 s6, s10, s7
	s_mul_i32 s7, s6, s39
	s_sub_i32 s7, s10, s7
	s_add_i32 s11, s6, 1
	s_sub_i32 s12, s7, s39
	s_cmp_ge_u32 s7, s39
	s_cselect_b32 s6, s11, s6
	s_cselect_b32 s7, s12, s7
	s_add_i32 s11, s6, 1
	s_cmp_ge_u32 s7, s39
	s_cselect_b32 s33, s11, s6
	s_abs_i32 s6, s15
	v_cvt_f32_u32_e32 v1, s6
	s_mul_i32 s12, s33, s39
	s_sub_i32 s13, 0, s6
	s_sub_i32 s34, s10, s12
	v_rcp_iflag_f32_e32 v1, v1
	s_abs_i32 s11, s39
	s_xor_b32 s7, s39, s15
	s_ashr_i32 s7, s7, 31
	v_mul_f32_e32 v1, 0x4f7ffffe, v1
	v_cvt_u32_f32_e32 v1, v1
	v_readfirstlane_b32 s10, v1
	s_mul_i32 s13, s13, s10
	s_mul_hi_u32 s12, s10, s13
	s_add_i32 s10, s10, s12
	s_mul_hi_u32 s10, s11, s10
	s_mul_i32 s12, s10, s6
	s_sub_i32 s11, s11, s12
	s_add_i32 s13, s10, 1
	s_sub_i32 s12, s11, s6
	s_cmp_ge_u32 s11, s6
	s_cselect_b32 s10, s13, s10
	s_cselect_b32 s11, s12, s11
	s_add_i32 s12, s10, 1
	s_cmp_ge_u32 s11, s6
	s_cselect_b32 s6, s12, s10
	s_xor_b32 s6, s6, s7
	s_sub_i32 s49, s6, s7
	s_abs_i32 s15, s49
	v_cvt_f32_u32_e32 v1, s15
	s_sub_i32 s6, 0, s15
	s_abs_i32 s48, s34
	v_rcp_iflag_f32_e32 v1, v1
	v_mul_f32_e32 v1, 0x4f7ffffe, v1
	v_cvt_u32_f32_e32 v1, v1
	v_readfirstlane_b32 s7, v1
	s_mul_i32 s6, s6, s7
	s_mul_hi_u32 s6, s7, s6
	s_add_i32 s6, s7, s6
	s_waitcnt lgkmcnt(0)
	s_cmp_eq_u64 s[22:23], 0
	s_cbranch_scc1 .LBB68_2
; %bb.1:
	s_abs_i32 s7, s46
	v_cvt_f32_u32_e32 v1, s7
	s_sub_i32 s35, 0, s7
	s_abs_i32 s13, s33
	s_ashr_i32 s12, s33, 31
	v_rcp_iflag_f32_e32 v1, v1
	s_load_dwordx2 s[10:11], s[4:5], 0xc8
	v_mul_f32_e32 v1, 0x4f7ffffe, v1
	v_cvt_u32_f32_e32 v1, v1
	v_readfirstlane_b32 s40, v1
	s_mul_i32 s35, s35, s40
	s_mul_hi_u32 s35, s40, s35
	s_add_i32 s40, s40, s35
	s_mul_hi_u32 s35, s13, s40
	s_mul_i32 s35, s35, s7
	s_sub_i32 s13, s13, s35
	s_sub_i32 s35, s13, s7
	s_cmp_ge_u32 s13, s7
	s_cselect_b32 s13, s35, s13
	s_sub_i32 s35, s13, s7
	s_cmp_ge_u32 s13, s7
	s_cselect_b32 s7, s35, s13
	s_xor_b32 s7, s7, s12
	s_sub_i32 s7, s7, s12
	s_ashr_i32 s12, s7, 31
	s_waitcnt lgkmcnt(0)
	s_mul_i32 s11, s7, s11
	s_mul_hi_u32 s13, s7, s10
	s_add_i32 s11, s13, s11
	s_mul_i32 s12, s12, s10
	s_add_i32 s11, s11, s12
	s_mul_i32 s7, s7, s10
	s_add_u32 s44, s22, s7
	s_addc_u32 s45, s23, s11
.LBB68_2:
	s_load_dwordx4 s[40:43], s[4:5], 0x40
	s_mul_hi_u32 s23, s48, s6
	s_load_dword s6, s[4:5], 0x50
	v_mov_b32_e32 v24, 1.0
	s_waitcnt lgkmcnt(0)
	v_cmp_le_f32_e64 s[10:11], s41, 0
	s_and_b64 vcc, exec, s[10:11]
	s_cbranch_vccnz .LBB68_4
; %bb.3:
	s_sub_i32 s7, s34, s6
	s_lshl_b32 s7, s7, 1
	s_add_i32 s10, s34, 1
	s_or_b32 s11, s7, 1
	s_cmp_lt_u32 s34, s6
	s_cselect_b64 vcc, -1, 0
	s_and_b64 s[6:7], vcc, exec
	v_mov_b32_e32 v1, s43
	v_mov_b32_e32 v2, s42
	s_cselect_b32 s6, s10, s11
	v_cndmask_b32_e32 v18, v1, v2, vcc
	v_cvt_f32_i32_e32 v1, s6
	v_cmp_neq_f32_e32 vcc, 1.0, v18
	s_mov_b32 s6, 0x3f2aaaab
	s_movk_i32 s10, 0x204
	v_cndmask_b32_e32 v19, 1.0, v1, vcc
	v_cmp_eq_f32_e32 vcc, 0, v19
	v_cndmask_b32_e64 v20, |v18|, 1.0, vcc
	v_frexp_mant_f32_e32 v1, v20
	v_cmp_gt_f32_e64 s[6:7], s6, v1
	v_cndmask_b32_e64 v2, 1.0, 2.0, s[6:7]
	v_mul_f32_e32 v1, v1, v2
	v_add_f32_e32 v2, 1.0, v1
	v_rcp_f32_e32 v10, v2
	v_add_f32_e32 v3, -1.0, v2
	v_sub_f32_e32 v5, v1, v3
	v_add_f32_e32 v3, -1.0, v1
	v_mul_f32_e32 v1, v3, v10
	v_mul_f32_e32 v4, v2, v1
	v_fma_f32 v6, v1, v2, -v4
	v_fmac_f32_e32 v6, v1, v5
	v_add_f32_e32 v2, v4, v6
	v_sub_f32_e32 v5, v3, v2
	v_pk_add_f32 v[8:9], v[2:3], v[4:5] neg_lo:[0,1] neg_hi:[0,1]
	v_mov_b32_e32 v7, v2
	v_pk_add_f32 v[2:3], v[8:9], v[6:7] neg_lo:[0,1] neg_hi:[0,1]
	v_add_f32_e32 v2, v2, v3
	v_add_f32_e32 v2, v5, v2
	v_mul_f32_e32 v3, v10, v2
	v_add_f32_e32 v2, v1, v3
	v_sub_f32_e32 v1, v2, v1
	v_sub_f32_e32 v1, v3, v1
	v_mul_f32_e32 v3, v2, v2
	v_fma_f32 v5, v2, v2, -v3
	v_add_f32_e32 v4, v1, v1
	v_fmac_f32_e32 v5, v2, v4
	v_add_f32_e32 v4, v3, v5
	v_mov_b32_e32 v6, 0x3e91f4c4
	v_fmac_f32_e32 v6, 0x3e76c4e1, v4
	v_mov_b32_e32 v7, 0x3ecccdef
	v_fmac_f32_e32 v7, v4, v6
	v_sub_f32_e32 v3, v4, v3
	v_sub_f32_e32 v12, v5, v3
	v_mul_f32_e32 v3, v4, v7
	v_fma_f32 v5, v4, v7, -v3
	v_fmac_f32_e32 v5, v12, v7
	v_add_f32_e32 v6, v3, v5
	v_add_f32_e32 v7, 0x3f2aaaaa, v6
	v_sub_f32_e32 v3, v6, v3
	v_sub_f32_e32 v3, v5, v3
	v_add_f32_e32 v5, 0xbf2aaaaa, v7
	v_add_f32_e32 v3, 0x31739010, v3
	v_sub_f32_e32 v5, v6, v5
	v_pk_mul_f32 v[8:9], v[2:3], v[4:5]
	v_fma_f32 v6, v4, v2, -v8
	v_pk_add_f32 v[10:11], v[2:3], v[4:5]
	v_fmac_f32_e32 v6, v4, v1
	v_mov_b32_e32 v9, v11
	v_fmac_f32_e32 v6, v12, v2
	v_pk_add_f32 v[4:5], v[8:9], v[6:7]
	v_sub_f32_e32 v3, v4, v8
	v_sub_f32_e32 v3, v6, v3
	;; [unrolled: 1-line block ×3, first 2 shown]
	v_add_f32_e32 v9, v11, v6
	v_mov_b32_e32 v6, v5
	v_pk_mul_f32 v[6:7], v[4:5], v[6:7]
	v_cvt_f64_f32_e32 v[10:11], v20
	v_frexp_exp_i32_f64_e32 v7, v[10:11]
	v_subbrev_co_u32_e64 v7, s[6:7], 0, v7, s[6:7]
	v_cvt_f32_i32_e32 v7, v7
	v_fma_f32 v8, v4, v5, -v6
	v_fmac_f32_e32 v8, v4, v9
	s_mov_b32 s6, 0x3f317218
	v_mul_f32_e32 v4, 0x3f317218, v7
	v_fmac_f32_e32 v8, v3, v5
	v_fma_f32 v10, v7, s6, -v4
	v_fmac_f32_e32 v10, 0xb102e308, v7
	v_ldexp_f32 v11, v2, 1
	v_add_f32_e32 v5, v6, v8
	v_pk_add_f32 v[2:3], v[4:5], v[10:11]
	v_mov_b32_e32 v12, v5
	v_mov_b32_e32 v13, v3
	;; [unrolled: 1-line block ×3, first 2 shown]
	v_pk_add_f32 v[6:7], v[12:13], v[6:7] neg_lo:[0,1] neg_hi:[0,1]
	v_mov_b32_e32 v9, v5
	v_ldexp_f32 v1, v1, 1
	v_pk_add_f32 v[6:7], v[8:9], v[6:7] neg_lo:[0,1] neg_hi:[0,1]
	v_add_f32_e32 v1, v1, v6
	v_add_f32_e32 v5, v1, v7
	v_pk_add_f32 v[6:7], v[2:3], v[4:5] neg_lo:[0,1] neg_hi:[0,1]
	v_pk_add_f32 v[8:9], v[2:3], v[4:5]
	v_mov_b32_e32 v12, v6
	v_mov_b32_e32 v13, v9
	v_mov_b32_e32 v11, v2
	v_pk_add_f32 v[12:13], v[10:11], v[12:13]
	v_mov_b32_e32 v4, v13
	v_pk_add_f32 v[14:15], v[4:5], v[2:3] neg_lo:[0,1] neg_hi:[0,1]
	v_mov_b32_e32 v1, v14
	v_mov_b32_e32 v12, v9
	;; [unrolled: 1-line block ×4, first 2 shown]
	v_pk_add_f32 v[6:7], v[10:11], v[6:7] neg_lo:[0,1] neg_hi:[0,1]
	v_pk_add_f32 v[16:17], v[8:9], v[0:1] neg_lo:[0,1] neg_hi:[0,1]
	;; [unrolled: 1-line block ×3, first 2 shown]
	v_mov_b32_e32 v10, v5
	v_pk_add_f32 v[2:3], v[10:11], v[2:3] neg_lo:[0,1] neg_hi:[0,1]
	v_mov_b32_e32 v16, v6
	v_pk_add_f32 v[8:9], v[16:17], v[2:3]
	v_mov_b32_e32 v10, v9
	v_pk_add_f32 v[10:11], v[8:9], v[10:11]
	v_pk_add_f32 v[4:5], v[4:5], v[10:11]
	v_mov_b32_e32 v7, v13
	v_mov_b32_e32 v9, v4
	v_pk_add_f32 v[12:13], v[8:9], v[6:7] neg_lo:[0,1] neg_hi:[0,1]
	v_mov_b32_e32 v3, v10
	v_sub_f32_e32 v1, v8, v12
	v_pk_add_f32 v[2:3], v[2:3], v[12:13] neg_lo:[0,1] neg_hi:[0,1]
	v_sub_f32_e32 v1, v6, v1
	v_add_f32_e32 v1, v2, v1
	v_add_f32_e32 v1, v1, v3
	;; [unrolled: 1-line block ×3, first 2 shown]
	v_sub_f32_e32 v3, v2, v4
	v_sub_f32_e32 v1, v1, v3
	v_mul_f32_e32 v3, v19, v2
	v_fma_f32 v2, v19, v2, -v3
	v_fmac_f32_e32 v2, v19, v1
	v_add_f32_e32 v1, v3, v2
	v_cmp_class_f32_e64 s[6:7], v3, s10
	v_sub_f32_e32 v4, v1, v3
	v_cndmask_b32_e64 v1, v1, v3, s[6:7]
	s_mov_b32 s12, 0x42b17218
	v_mov_b32_e32 v3, 0x37000000
	v_cmp_eq_f32_e64 s[6:7], s12, v1
	v_cndmask_b32_e64 v3, 0, v3, s[6:7]
	v_sub_f32_e32 v2, v2, v4
	v_sub_f32_e32 v4, v1, v3
	s_mov_b32 s6, 0x3fb8aa3b
	v_mul_f32_e32 v5, 0x3fb8aa3b, v4
	v_fma_f32 v6, v4, s6, -v5
	v_rndne_f32_e32 v7, v5
	v_fmac_f32_e32 v6, 0x32a5705f, v4
	v_sub_f32_e32 v5, v5, v7
	v_add_f32_e32 v5, v5, v6
	v_exp_f32_e32 v5, v5
	v_cvt_i32_f32_e32 v6, v7
	s_mov_b32 s11, 0x7f800000
	v_cmp_neq_f32_e64 s[6:7], |v1|, s11
	v_cndmask_b32_e64 v1, 0, v2, s[6:7]
	s_mov_b32 s6, 0xc2ce8ed0
	v_ldexp_f32 v2, v5, v6
	v_cmp_ngt_f32_e64 s[6:7], s6, v4
	v_add_f32_e32 v1, v3, v1
	v_cndmask_b32_e64 v2, 0, v2, s[6:7]
	v_mov_b32_e32 v3, 0x7f800000
	v_cmp_nlt_f32_e64 s[6:7], s12, v4
	v_cndmask_b32_e64 v2, v3, v2, s[6:7]
	v_fma_f32 v1, v2, v1, v2
	v_cmp_class_f32_e64 s[6:7], v2, s10
	v_trunc_f32_e32 v4, v19
	v_cndmask_b32_e64 v1, v1, v2, s[6:7]
	v_cndmask_b32_e64 v2, v18, 1.0, vcc
	v_cmp_eq_f32_e32 vcc, v4, v19
	v_mul_f32_e32 v4, 0.5, v19
	v_trunc_f32_e32 v6, v4
	v_cmp_neq_f32_e64 s[6:7], v6, v4
	s_and_b64 s[6:7], vcc, s[6:7]
	v_cndmask_b32_e64 v4, 1.0, v2, s[6:7]
	s_brev_b32 s22, -2
	v_mov_b32_e32 v5, 0x7fc00000
	v_bfi_b32 v1, s22, v1, v4
	v_cndmask_b32_e32 v4, v5, v1, vcc
	v_cmp_gt_f32_e32 vcc, 0, v2
	v_cndmask_b32_e32 v1, v1, v4, vcc
	v_cmp_eq_f32_e32 vcc, s11, v20
	v_cmp_eq_f32_e64 s[10:11], 0, v2
	v_cmp_gt_f32_e64 s[12:13], 0, v19
	s_xor_b64 s[12:13], s[12:13], s[10:11]
	v_cndmask_b32_e64 v3, v3, 0, s[12:13]
	v_cndmask_b32_e64 v4, 0, v2, s[6:7]
	v_bfi_b32 v3, s22, v3, v4
	s_or_b64 vcc, vcc, s[10:11]
	v_cndmask_b32_e32 v1, v1, v3, vcc
	v_cmp_o_f32_e32 vcc, v2, v2
	v_cndmask_b32_e32 v24, v5, v1, vcc
.LBB68_4:
	s_load_dwordx4 s[52:55], s[4:5], 0x70
	v_bfe_u32 v23, v0, 10, 10
	v_lshl_add_u32 v1, s8, 1, v23
	s_ashr_i32 s35, s34, 31
	s_ashr_i32 s6, s49, 31
	s_waitcnt lgkmcnt(0)
	s_mul_i32 s7, s33, s54
	s_ashr_i32 s11, s7, 31
	v_mul_hi_u32 v2, s36, v1
	s_mul_i32 s10, s34, s53
	s_add_u32 s7, s16, s7
	v_add_u32_e32 v2, v1, v2
	s_addc_u32 s11, s17, s11
	s_ashr_i32 s12, s10, 31
	v_lshrrev_b32_e32 v2, s37, v2
	s_add_u32 s7, s7, s10
	v_mul_lo_u32 v2, v2, s38
	s_addc_u32 s12, s11, s12
	v_sub_u32_e32 v25, v1, v2
	s_ashr_i32 s13, s52, 31
	v_mov_b32_e32 v2, s52
	v_alignbit_b32 v2, s13, v2, 2
	v_mad_u64_u32 v[2:3], s[10:11], v2, v25, 0
	v_mov_b32_e32 v4, v3
	s_lshr_b32 s10, s13, 2
	v_mad_u64_u32 v[4:5], s[10:11], s10, v25, v[4:5]
	v_mov_b32_e32 v3, v4
	v_lshlrev_b64 v[2:3], 2, v[2:3]
	v_and_b32_e32 v0, 0x3ff, v0
	v_mov_b32_e32 v4, s12
	v_add_co_u32_e32 v2, vcc, s7, v2
	v_addc_co_u32_e32 v3, vcc, v4, v3, vcc
	v_lshlrev_b32_e32 v4, 3, v0
	v_add_co_u32_e32 v2, vcc, v2, v4
	v_addc_co_u32_e32 v3, vcc, 0, v3, vcc
	global_load_dwordx2 v[2:3], v[2:3], off
	v_lshlrev_b32_e32 v4, 5, v23
	v_mov_b32_e32 v22, 0
	v_add_lshl_u32 v4, v4, v0, 2
	s_cmp_eq_u64 s[26:27], 0
	s_waitcnt vmcnt(0)
	v_fma_mixlo_f16 v2, v2, s40, 0
	v_fma_mixhi_f16 v2, v3, s40, 0
	ds_write_b32 v4, v2 offset:4608
	s_waitcnt lgkmcnt(0)
	; wave barrier
	s_waitcnt lgkmcnt(0)
	s_cbranch_scc1 .LBB68_6
; %bb.5:
	s_load_dword s7, s[4:5], 0xd0
	s_mov_b32 s11, 0
	s_waitcnt lgkmcnt(0)
	s_mul_i32 s7, s7, s33
	s_add_i32 s10, s7, s8
	s_lshl_b64 s[10:11], s[10:11], 2
	s_add_u32 s10, s26, s10
	s_addc_u32 s11, s27, s11
	s_load_dword s14, s[10:11], 0x0
.LBB68_6:
	s_nop 0
	s_load_dwordx2 s[10:11], s[4:5], 0x8c
	s_load_dwordx4 s[40:43], s[4:5], 0x98
	s_load_dwordx2 s[16:17], s[4:5], 0xa8
	s_ashr_i32 s7, s33, 31
	s_ashr_i32 s22, s47, 1
	s_waitcnt lgkmcnt(0)
	s_ashr_i32 s12, s10, 2
	s_mul_i32 s10, s33, s41
	s_mul_hi_u32 s13, s33, s40
	s_add_i32 s10, s13, s10
	s_mul_i32 s13, s7, s40
	s_ashr_i32 s8, s42, 2
	s_add_i32 s10, s10, s13
	s_mul_i32 s13, s33, s40
	s_add_u32 s13, s18, s13
	s_mul_i32 s18, s23, s15
	s_addc_u32 s10, s19, s10
	s_sub_i32 s18, s48, s18
	s_xor_b32 s6, s35, s6
	s_add_i32 s19, s23, 1
	s_sub_i32 s26, s18, s15
	s_cmp_ge_u32 s18, s15
	s_cselect_b32 s19, s19, s23
	s_cselect_b32 s18, s26, s18
	s_add_i32 s23, s19, 1
	s_cmp_ge_u32 s18, s15
	s_cselect_b32 s15, s23, s19
	s_xor_b32 s15, s15, s6
	s_sub_i32 s6, s15, s6
	s_mul_i32 s11, s6, s11
	s_ashr_i32 s15, s11, 31
	s_add_u32 s13, s13, s11
	s_addc_u32 s15, s10, s15
	s_mul_i32 s10, s33, s17
	s_mul_hi_u32 s11, s33, s16
	s_add_i32 s10, s11, s10
	s_mul_i32 s7, s7, s16
	s_add_i32 s10, s10, s7
	s_mul_i32 s7, s33, s16
	s_add_u32 s7, s20, s7
	s_mul_i32 s6, s6, s43
	s_addc_u32 s10, s21, s10
	s_ashr_i32 s11, s6, 31
	s_add_u32 s18, s7, s6
	s_addc_u32 s19, s10, s11
	s_lshl_b32 s20, s9, 5
	s_sub_i32 s16, s14, 32
	s_cmp_ge_i32 s20, s16
	v_lshrrev_b32_e32 v28, 3, v0
	v_lshlrev_b32_e32 v3, 2, v0
	v_lshlrev_b32_e32 v27, 7, v23
	v_mbcnt_lo_u32_b32 v26, -1, 0
	s_cbranch_scc1 .LBB68_12
; %bb.7:
	v_and_b32_e32 v2, 28, v3
	v_lshl_add_u32 v14, v23, 2, v28
	v_lshlrev_b32_e32 v15, 2, v2
	s_movk_i32 s6, 0x90
	v_mad_u32_u24 v29, v14, s6, v15
	v_mul_lo_u32 v6, s12, v14
	s_lshl_b32 s6, s12, 3
	v_add_u32_e32 v8, s6, v6
	v_add_u32_e32 v10, s6, v8
	;; [unrolled: 1-line block ×3, first 2 shown]
	s_cmp_lg_u64 s[44:45], 0
	v_mad_u64_u32 v[4:5], s[6:7], v25, s22, v[0:1]
	v_lshl_or_b32 v36, v14, 7, v15
	v_mul_lo_u32 v14, s8, v14
	s_cselect_b64 s[6:7], -1, 0
	s_lshl_b32 s10, s8, 3
	v_add_u32_e32 v16, s10, v14
	v_add_u32_e32 v18, s10, v16
	v_mov_b32_e32 v5, 0x1300
	v_add_u32_e32 v20, s10, v18
	v_ashrrev_i32_e32 v7, 31, v6
	v_ashrrev_i32_e32 v9, 31, v8
	;; [unrolled: 1-line block ×4, first 2 shown]
	v_lshl_add_u32 v34, v23, 6, v5
	v_ashrrev_i32_e32 v15, 31, v14
	v_ashrrev_i32_e32 v17, 31, v16
	;; [unrolled: 1-line block ×4, first 2 shown]
	s_add_u32 s10, s4, 0xd0
	v_lshlrev_b32_e32 v40, 2, v2
	v_cndmask_b32_e64 v2, 0, 1, s[6:7]
	v_mov_b32_e32 v22, 0
	v_add_u32_e32 v30, 0x480, v29
	v_add_u32_e32 v31, 0x900, v29
	;; [unrolled: 1-line block ×3, first 2 shown]
	v_mul_u32_u24_e32 v33, 0x90, v0
	v_lshl_add_u32 v35, v0, 1, v34
	v_add_u32_e32 v37, 0x400, v36
	v_add_u32_e32 v38, 0x800, v36
	;; [unrolled: 1-line block ×3, first 2 shown]
	s_addc_u32 s11, s5, 0
	v_mov_b32_e32 v44, 0xfeffffff
	v_lshlrev_b64 v[6:7], 2, v[6:7]
	v_lshlrev_b64 v[8:9], 2, v[8:9]
	;; [unrolled: 1-line block ×4, first 2 shown]
	v_mbcnt_hi_u32_b32 v41, -1, v26
	s_mov_b32 s17, 0x3fb8aa3b
	s_mov_b32 s21, 0xc2ce8ed0
	;; [unrolled: 1-line block ×3, first 2 shown]
	v_lshlrev_b64 v[14:15], 2, v[14:15]
	v_lshlrev_b64 v[16:17], 2, v[16:17]
	;; [unrolled: 1-line block ×4, first 2 shown]
	v_cmp_ne_u32_e64 s[6:7], 1, v2
	v_mov_b32_e32 v42, 0x7f800000
	v_mov_b32_e32 v43, 0
.LBB68_8:                               ; =>This Inner Loop Header: Depth=1
	s_mul_hi_i32 s27, s20, s12
	s_mul_i32 s26, s20, s12
	s_lshl_b64 s[26:27], s[26:27], 2
	s_add_u32 s26, s13, s26
	s_addc_u32 s27, s15, s27
	v_mov_b32_e32 v2, s27
	v_add_co_u32_e32 v5, vcc, s26, v6
	v_addc_co_u32_e32 v2, vcc, v2, v7, vcc
	v_add_co_u32_e32 v54, vcc, v5, v40
	v_addc_co_u32_e32 v55, vcc, 0, v2, vcc
	v_mov_b32_e32 v2, s27
	v_add_co_u32_e32 v5, vcc, s26, v8
	v_addc_co_u32_e32 v2, vcc, v2, v9, vcc
	v_add_co_u32_e32 v56, vcc, v5, v40
	v_addc_co_u32_e32 v57, vcc, 0, v2, vcc
	;; [unrolled: 5-line block ×3, first 2 shown]
	v_mov_b32_e32 v2, s27
	v_add_co_u32_e32 v5, vcc, s26, v12
	v_addc_co_u32_e32 v2, vcc, v2, v13, vcc
	v_add_co_u32_e32 v64, vcc, v5, v40
	global_load_dwordx4 v[46:49], v[54:55], off
	global_load_dwordx4 v[50:53], v[56:57], off
	v_addc_co_u32_e32 v65, vcc, 0, v2, vcc
	global_load_dwordx4 v[54:57], v[62:63], off
	global_load_dwordx4 v[58:61], v[64:65], off
	v_mov_b32_e32 v2, 0
	s_and_b64 vcc, exec, s[6:7]
	v_mov_b32_e32 v5, 0
	s_waitcnt vmcnt(3)
	ds_write_b128 v29, v[46:49]
	s_waitcnt vmcnt(2)
	ds_write_b128 v30, v[50:53]
	s_waitcnt vmcnt(1)
	ds_write_b128 v31, v[54:57]
	s_waitcnt vmcnt(0)
	ds_write_b128 v32, v[58:61]
	s_waitcnt lgkmcnt(0)
	; wave barrier
	s_waitcnt lgkmcnt(0)
	ds_read_b128 v[46:49], v33
	ds_read_b128 v[50:53], v27 offset:4608
	s_waitcnt lgkmcnt(0)
	;;#ASMSTART
	v_dot2_f32_f16 v2, v46, v50, v2
	;;#ASMEND
	;;#ASMSTART
	v_dot2_f32_f16 v2, v47, v51, v2
	;;#ASMEND
	;;#ASMSTART
	v_dot2_f32_f16 v2, v48, v52, v2
	;;#ASMEND
	;;#ASMSTART
	v_dot2_f32_f16 v2, v49, v53, v2
	;;#ASMEND
	ds_read_b128 v[46:49], v33 offset:16
	ds_read_b128 v[50:53], v27 offset:4624
	s_waitcnt lgkmcnt(0)
	;;#ASMSTART
	v_dot2_f32_f16 v2, v46, v50, v2
	;;#ASMEND
	;;#ASMSTART
	v_dot2_f32_f16 v2, v47, v51, v2
	;;#ASMEND
	;;#ASMSTART
	v_dot2_f32_f16 v2, v48, v52, v2
	;;#ASMEND
	;;#ASMSTART
	v_dot2_f32_f16 v2, v49, v53, v2
	;;#ASMEND
	ds_read_b128 v[46:49], v33 offset:32
	;; [unrolled: 15-line block ×7, first 2 shown]
	ds_read_b128 v[50:53], v27 offset:4720
	s_waitcnt lgkmcnt(0)
	;;#ASMSTART
	v_dot2_f32_f16 v2, v46, v50, v2
	;;#ASMEND
	;;#ASMSTART
	v_dot2_f32_f16 v2, v47, v51, v2
	;;#ASMEND
	;; [unrolled: 3-line block ×4, first 2 shown]
	s_cbranch_vccnz .LBB68_10
; %bb.9:                                ;   in Loop: Header=BB68_8 Depth=1
	v_add_u32_e32 v46, s20, v4
	v_ashrrev_i32_e32 v47, 31, v46
	v_lshlrev_b64 v[46:47], 1, v[46:47]
	v_mov_b32_e32 v5, s45
	v_add_co_u32_e32 v46, vcc, s44, v46
	v_addc_co_u32_e32 v47, vcc, v5, v47, vcc
	flat_load_ushort v5, v[46:47]
	s_waitcnt vmcnt(0) lgkmcnt(0)
	v_cvt_f32_f16_e32 v5, v5
	v_mul_f32_e32 v5, v24, v5
.LBB68_10:                              ;   in Loop: Header=BB68_8 Depth=1
	v_add_f32_e32 v5, v2, v5
	v_add_f32_e32 v2, 0x40051340, v5
	v_max_f32_e32 v45, v44, v44
	v_max_f32_e32 v2, v45, v2
	v_and_b32_e32 v45, 0x60, v41
	v_add_u32_e32 v45, 32, v45
	v_xor_b32_e32 v46, 16, v41
	v_cmp_lt_i32_e32 vcc, v46, v45
	v_cndmask_b32_e32 v46, v41, v46, vcc
	v_lshlrev_b32_e32 v46, 2, v46
	ds_bpermute_b32 v46, v46, v2
	s_mul_hi_i32 s27, s20, s8
	s_mul_i32 s26, s20, s8
	s_lshl_b64 s[26:27], s[26:27], 2
	s_add_u32 s26, s18, s26
	s_waitcnt lgkmcnt(0)
	v_max_f32_e32 v46, v46, v46
	s_addc_u32 s27, s19, s27
	v_max_f32_e32 v2, v2, v46
	v_mov_b32_e32 v46, s27
	v_add_co_u32_e32 v47, vcc, s26, v14
	v_addc_co_u32_e32 v46, vcc, v46, v15, vcc
	v_add_co_u32_e32 v54, vcc, v47, v40
	v_addc_co_u32_e32 v55, vcc, 0, v46, vcc
	v_mov_b32_e32 v46, s27
	v_add_co_u32_e32 v47, vcc, s26, v16
	v_addc_co_u32_e32 v46, vcc, v46, v17, vcc
	v_add_co_u32_e32 v56, vcc, v47, v40
	v_addc_co_u32_e32 v57, vcc, 0, v46, vcc
	s_waitcnt lgkmcnt(0)
	; wave barrier
	global_load_dwordx4 v[46:49], v[54:55], off
	global_load_dwordx4 v[50:53], v[56:57], off
	v_mov_b32_e32 v54, s27
	v_add_co_u32_e32 v55, vcc, s26, v18
	v_addc_co_u32_e32 v54, vcc, v54, v19, vcc
	v_add_co_u32_e32 v62, vcc, v55, v40
	v_addc_co_u32_e32 v63, vcc, 0, v54, vcc
	v_mov_b32_e32 v54, s27
	v_add_co_u32_e32 v55, vcc, s26, v20
	v_addc_co_u32_e32 v54, vcc, v54, v21, vcc
	v_add_co_u32_e32 v64, vcc, v55, v40
	v_addc_co_u32_e32 v65, vcc, 0, v54, vcc
	global_load_dwordx4 v[54:57], v[62:63], off
	global_load_dwordx4 v[58:61], v[64:65], off
	v_xor_b32_e32 v62, 8, v41
	v_cmp_lt_i32_e32 vcc, v62, v45
	v_cndmask_b32_e32 v62, v41, v62, vcc
	v_lshlrev_b32_e32 v62, 2, v62
	ds_bpermute_b32 v62, v62, v2
	s_waitcnt lgkmcnt(0)
	v_max_f32_e32 v62, v62, v62
	v_max_f32_e32 v2, v2, v62
	v_xor_b32_e32 v62, 4, v41
	v_cmp_lt_i32_e32 vcc, v62, v45
	v_cndmask_b32_e32 v62, v41, v62, vcc
	v_lshlrev_b32_e32 v62, 2, v62
	ds_bpermute_b32 v62, v62, v2
	s_waitcnt lgkmcnt(0)
	v_max_f32_e32 v62, v62, v62
	v_max_f32_e32 v2, v2, v62
	v_xor_b32_e32 v62, 2, v41
	v_cmp_lt_i32_e32 vcc, v62, v45
	v_cndmask_b32_e32 v62, v41, v62, vcc
	v_lshlrev_b32_e32 v62, 2, v62
	ds_bpermute_b32 v62, v62, v2
	s_waitcnt lgkmcnt(0)
	v_max_f32_e32 v62, v62, v62
	v_max_f32_e32 v2, v2, v62
	v_xor_b32_e32 v62, 1, v41
	v_cmp_lt_i32_e32 vcc, v62, v45
	v_cndmask_b32_e32 v45, v41, v62, vcc
	v_lshlrev_b32_e32 v45, 2, v45
	ds_bpermute_b32 v45, v45, v2
	s_waitcnt lgkmcnt(0)
	v_max_f32_e32 v45, v45, v45
	v_max_f32_e32 v2, v2, v45
	v_sub_f32_e32 v44, v44, v2
	v_mul_f32_e32 v45, 0x3fb8aa3b, v44
	v_fma_f32 v62, v44, s17, -v45
	v_rndne_f32_e32 v63, v45
	v_fmac_f32_e32 v62, 0x32a5705f, v44
	v_sub_f32_e32 v45, v45, v63
	v_sub_f32_e32 v5, v5, v2
	v_add_f32_e32 v45, v45, v62
	v_cvt_i32_f32_e32 v62, v63
	v_mul_f32_e32 v63, 0x3fb8aa3b, v5
	v_fma_f32 v64, v5, s17, -v63
	v_rndne_f32_e32 v65, v63
	v_fmac_f32_e32 v64, 0x32a5705f, v5
	v_sub_f32_e32 v63, v63, v65
	v_exp_f32_e32 v45, v45
	v_add_f32_e32 v63, v63, v64
	v_exp_f32_e32 v63, v63
	v_cvt_i32_f32_e32 v64, v65
	v_ldexp_f32 v45, v45, v62
	v_cmp_ngt_f32_e32 vcc, s21, v44
	v_cndmask_b32_e32 v45, 0, v45, vcc
	v_ldexp_f32 v62, v63, v64
	v_cmp_ngt_f32_e32 vcc, s21, v5
	v_cndmask_b32_e32 v62, 0, v62, vcc
	v_cmp_nlt_f32_e32 vcc, s23, v5
	v_cndmask_b32_e32 v5, v42, v62, vcc
	v_cvt_f16_f32_e32 v62, v5
	v_cmp_nlt_f32_e32 vcc, s23, v44
	v_cndmask_b32_e32 v44, v42, v45, vcc
	v_fmac_f32_e32 v5, v43, v44
	v_cvt_f16_f32_e32 v43, v44
	ds_write_b16 v35, v62
	s_waitcnt vmcnt(3)
	ds_write_b128 v36, v[46:49]
	s_waitcnt vmcnt(2)
	ds_write_b128 v37, v[50:53]
	;; [unrolled: 2-line block ×4, first 2 shown]
	s_waitcnt lgkmcnt(0)
	; wave barrier
	s_waitcnt lgkmcnt(0)
	ds_read2_b32 v[60:61], v3 offset1:32
	ds_read_b128 v[44:47], v34
	ds_read_b128 v[48:51], v34 offset:16
	ds_read_b128 v[52:55], v34 offset:32
	;; [unrolled: 1-line block ×3, first 2 shown]
	ds_read2_b32 v[62:63], v3 offset0:64 offset1:96
	s_waitcnt lgkmcnt(4)
	v_pk_mul_f16 v60, v60, v44 op_sel_hi:[1,0]
	v_pk_fma_f16 v22, v22, v43, v60 op_sel_hi:[1,0,1]
	ds_read2_b32 v[64:65], v3 offset0:128 offset1:160
	v_pk_fma_f16 v22, v61, v44, v22 op_sel:[0,1,0]
	s_waitcnt lgkmcnt(1)
	v_pk_fma_f16 v22, v62, v45, v22 op_sel_hi:[1,0,1]
	v_pk_fma_f16 v22, v63, v45, v22 op_sel:[0,1,0]
	ds_read2_b32 v[44:45], v3 offset0:192 offset1:224
	v_add_u32_e32 v43, 0x400, v3
	ds_read2_b32 v[60:61], v43 offset1:32
	s_waitcnt lgkmcnt(2)
	v_pk_fma_f16 v22, v64, v46, v22 op_sel_hi:[1,0,1]
	v_pk_fma_f16 v22, v65, v46, v22 op_sel:[0,1,0]
	ds_read2_b32 v[62:63], v43 offset0:64 offset1:96
	s_waitcnt lgkmcnt(2)
	v_pk_fma_f16 v22, v44, v47, v22 op_sel_hi:[1,0,1]
	v_pk_fma_f16 v22, v45, v47, v22 op_sel:[0,1,0]
	ds_read2_b32 v[44:45], v43 offset0:128 offset1:160
	s_waitcnt lgkmcnt(2)
	v_pk_fma_f16 v22, v60, v48, v22 op_sel_hi:[1,0,1]
	v_pk_fma_f16 v22, v61, v48, v22 op_sel:[0,1,0]
	s_waitcnt lgkmcnt(1)
	v_pk_fma_f16 v22, v62, v49, v22 op_sel_hi:[1,0,1]
	v_pk_fma_f16 v22, v63, v49, v22 op_sel:[0,1,0]
	ds_read2_b32 v[46:47], v43 offset0:192 offset1:224
	s_waitcnt lgkmcnt(1)
	v_pk_fma_f16 v22, v44, v50, v22 op_sel_hi:[1,0,1]
	v_add_u32_e32 v43, 0x800, v3
	v_pk_fma_f16 v22, v45, v50, v22 op_sel:[0,1,0]
	ds_read2_b32 v[44:45], v43 offset1:32
	ds_read2_b32 v[48:49], v43 offset0:64 offset1:96
	s_waitcnt lgkmcnt(2)
	v_pk_fma_f16 v22, v46, v51, v22 op_sel_hi:[1,0,1]
	v_pk_fma_f16 v22, v47, v51, v22 op_sel:[0,1,0]
	ds_read2_b32 v[46:47], v43 offset0:128 offset1:160
	s_waitcnt lgkmcnt(2)
	v_pk_fma_f16 v22, v44, v52, v22 op_sel_hi:[1,0,1]
	v_pk_fma_f16 v22, v45, v52, v22 op_sel:[0,1,0]
	ds_read2_b32 v[44:45], v43 offset0:192 offset1:224
	s_waitcnt lgkmcnt(2)
	v_pk_fma_f16 v22, v48, v53, v22 op_sel_hi:[1,0,1]
	v_add_u32_e32 v43, 0xc00, v3
	v_pk_fma_f16 v22, v49, v53, v22 op_sel:[0,1,0]
	ds_read2_b32 v[48:49], v43 offset1:32
	s_waitcnt lgkmcnt(2)
	v_pk_fma_f16 v22, v46, v54, v22 op_sel_hi:[1,0,1]
	v_pk_fma_f16 v22, v47, v54, v22 op_sel:[0,1,0]
	ds_read2_b32 v[46:47], v43 offset0:64 offset1:96
	s_waitcnt lgkmcnt(2)
	v_pk_fma_f16 v22, v44, v55, v22 op_sel_hi:[1,0,1]
	v_pk_fma_f16 v22, v45, v55, v22 op_sel:[0,1,0]
	s_waitcnt lgkmcnt(1)
	v_pk_fma_f16 v22, v48, v56, v22 op_sel_hi:[1,0,1]
	v_pk_fma_f16 v22, v49, v56, v22 op_sel:[0,1,0]
	ds_read2_b32 v[44:45], v43 offset0:128 offset1:160
	ds_read2_b32 v[48:49], v43 offset0:192 offset1:224
	s_waitcnt lgkmcnt(0)
	; wave barrier
	s_waitcnt lgkmcnt(0)
	s_load_dword s26, s[10:11], 0x4
	v_pk_fma_f16 v22, v46, v57, v22 op_sel_hi:[1,0,1]
	v_pk_fma_f16 v22, v47, v57, v22 op_sel:[0,1,0]
	v_pk_fma_f16 v22, v44, v58, v22 op_sel_hi:[1,0,1]
	v_pk_fma_f16 v22, v45, v58, v22 op_sel:[0,1,0]
	s_waitcnt lgkmcnt(0)
	s_lshl_b32 s26, s26, 5
	v_pk_fma_f16 v22, v48, v59, v22 op_sel_hi:[1,0,1]
	s_add_i32 s20, s26, s20
	s_cmp_lt_i32 s20, s16
	v_pk_fma_f16 v22, v49, v59, v22 op_sel:[0,1,0]
	s_cbranch_scc0 .LBB68_13
; %bb.11:                               ;   in Loop: Header=BB68_8 Depth=1
	v_mov_b32_e32 v44, v2
	v_mov_b32_e32 v43, v5
	s_branch .LBB68_8
.LBB68_12:
	v_mov_b32_e32 v2, 0xfeffffff
	v_mov_b32_e32 v5, 0
.LBB68_13:
	v_lshlrev_b32_e32 v6, 1, v0
	s_cmp_gt_i32 s14, s20
	s_cbranch_scc1 .LBB68_15
; %bb.14:
	v_mbcnt_hi_u32_b32 v8, -1, v26
	v_and_b32_e32 v4, 0x60, v8
	v_add_u32_e32 v9, 32, v4
	v_xor_b32_e32 v13, 16, v8
	v_xor_b32_e32 v14, 8, v8
	;; [unrolled: 1-line block ×5, first 2 shown]
	s_cbranch_execz .LBB68_16
	s_branch .LBB68_21
.LBB68_15:
                                        ; implicit-def: $vgpr8
                                        ; implicit-def: $vgpr9
                                        ; implicit-def: $vgpr13
                                        ; implicit-def: $vgpr14
                                        ; implicit-def: $vgpr15
                                        ; implicit-def: $vgpr16
                                        ; implicit-def: $vgpr17
.LBB68_16:
	s_mul_hi_i32 s7, s20, s12
	s_mul_i32 s6, s20, s12
	v_lshl_add_u32 v7, v23, 2, v28
	s_sub_i32 s21, s14, s20
	s_lshl_b64 s[6:7], s[6:7], 2
	v_mul_lo_u32 v16, s12, v7
	s_add_u32 s10, s13, s6
	v_ashrrev_i32_e32 v17, 31, v16
	s_addc_u32 s11, s15, s7
	v_lshlrev_b64 v[10:11], 2, v[16:17]
	v_and_b32_e32 v4, 28, v3
	v_mov_b32_e32 v9, s11
	v_add_co_u32_e32 v10, vcc, s10, v10
	v_lshlrev_b32_e32 v4, 2, v4
	v_addc_co_u32_e32 v9, vcc, v9, v11, vcc
	v_add_co_u32_e32 v10, vcc, v10, v4
	s_mov_b64 s[6:7], src_private_base
	v_addc_co_u32_e32 v9, vcc, 0, v9, vcc
	v_mov_b32_e32 v20, s7
	v_cmp_gt_i32_e32 vcc, s21, v7
	v_mov_b32_e32 v8, 0
	v_cndmask_b32_e32 v11, v20, v9, vcc
	v_mov_b32_e32 v9, 0
	buffer_store_dword v8, off, s[0:3], 0
	buffer_store_dword v8, off, s[0:3], 0 offset:8
	buffer_store_dword v8, off, s[0:3], 0 offset:4
	;; [unrolled: 1-line block ×3, first 2 shown]
	v_cndmask_b32_e32 v10, v9, v10, vcc
	flat_load_dwordx4 v[12:15], v[10:11]
	s_lshl_b32 s14, s12, 3
	v_add_u32_e32 v16, s14, v16
	v_ashrrev_i32_e32 v17, 31, v16
	s_movk_i32 s6, 0x90
	v_lshlrev_b64 v[18:19], 2, v[16:17]
	v_mad_u32_u24 v21, v7, s6, v4
	v_mov_b32_e32 v11, s11
	v_add_co_u32_e64 v17, s[6:7], s10, v18
	v_addc_co_u32_e64 v11, s[6:7], v11, v19, s[6:7]
	v_add_u32_e32 v10, 8, v7
	v_add_co_u32_e64 v17, s[6:7], v17, v4
	v_addc_co_u32_e64 v11, s[6:7], 0, v11, s[6:7]
	v_cmp_gt_i32_e64 s[12:13], s21, v10
	buffer_store_dword v8, off, s[0:3], 0
	buffer_store_dword v8, off, s[0:3], 0 offset:8
	buffer_store_dword v8, off, s[0:3], 0 offset:4
	;; [unrolled: 1-line block ×3, first 2 shown]
	v_cndmask_b32_e64 v19, v20, v11, s[12:13]
	v_cndmask_b32_e64 v18, v9, v17, s[12:13]
	v_mov_b32_e32 v28, s11
	v_add_u32_e32 v11, 16, v7
	s_waitcnt vmcnt(0) lgkmcnt(0)
	ds_write_b128 v21, v[12:15]
	flat_load_dwordx4 v[12:15], v[18:19]
	v_add_u32_e32 v18, s14, v16
	v_ashrrev_i32_e32 v19, 31, v18
	v_lshlrev_b64 v[16:17], 2, v[18:19]
	v_add_co_u32_e64 v16, s[6:7], s10, v16
	v_addc_co_u32_e64 v17, s[6:7], v28, v17, s[6:7]
	v_add_co_u32_e64 v16, s[6:7], v16, v4
	v_addc_co_u32_e64 v17, s[6:7], 0, v17, s[6:7]
	v_cmp_gt_i32_e64 s[6:7], s21, v11
	v_cndmask_b32_e64 v17, v20, v17, s[6:7]
	v_cndmask_b32_e64 v16, v9, v16, s[6:7]
	buffer_store_dword v8, off, s[0:3], 0
	buffer_store_dword v8, off, s[0:3], 0 offset:8
	buffer_store_dword v8, off, s[0:3], 0 offset:4
	;; [unrolled: 1-line block ×3, first 2 shown]
	v_add_u32_e32 v18, s14, v18
	v_ashrrev_i32_e32 v19, 31, v18
	v_lshlrev_b64 v[18:19], 2, v[18:19]
	v_cmp_gt_i32_e64 s[14:15], s21, v0
	s_waitcnt vmcnt(0) lgkmcnt(0)
	ds_write_b128 v21, v[12:15] offset:1152
	flat_load_dwordx4 v[14:17], v[16:17]
	v_mov_b32_e32 v13, s11
	v_add_co_u32_e64 v18, s[10:11], s10, v18
	v_addc_co_u32_e64 v13, s[10:11], v13, v19, s[10:11]
	v_add_co_u32_e64 v18, s[10:11], v18, v4
	v_add_u32_e32 v12, 24, v7
	v_addc_co_u32_e64 v13, s[10:11], 0, v13, s[10:11]
	v_cmp_gt_i32_e64 s[10:11], s21, v12
	v_cndmask_b32_e64 v19, v20, v13, s[10:11]
	v_cndmask_b32_e64 v18, v9, v18, s[10:11]
	buffer_store_dword v8, off, s[0:3], 0
	buffer_store_dword v8, off, s[0:3], 0 offset:8
	buffer_store_dword v8, off, s[0:3], 0 offset:4
	;; [unrolled: 1-line block ×3, first 2 shown]
	v_mul_u32_u24_e32 v9, 0x90, v0
	s_waitcnt vmcnt(0) lgkmcnt(0)
	ds_write_b128 v21, v[14:17] offset:2304
	flat_load_dwordx4 v[14:17], v[18:19]
	v_mov_b32_e32 v18, 0
	s_waitcnt vmcnt(0) lgkmcnt(0)
	ds_write_b128 v21, v[14:17] offset:3456
	s_waitcnt lgkmcnt(0)
	; wave barrier
	s_waitcnt lgkmcnt(0)
	ds_read_b128 v[14:17], v9
	ds_read_b128 v[28:31], v27 offset:4608
	s_waitcnt lgkmcnt(0)
	;;#ASMSTART
	v_dot2_f32_f16 v18, v14, v28, v18
	;;#ASMEND
	;;#ASMSTART
	v_dot2_f32_f16 v18, v15, v29, v18
	;;#ASMEND
	;;#ASMSTART
	v_dot2_f32_f16 v18, v16, v30, v18
	;;#ASMEND
	;;#ASMSTART
	v_dot2_f32_f16 v18, v17, v31, v18
	;;#ASMEND
	ds_read_b128 v[14:17], v9 offset:16
	ds_read_b128 v[28:31], v27 offset:4624
	s_waitcnt lgkmcnt(0)
	;;#ASMSTART
	v_dot2_f32_f16 v18, v14, v28, v18
	;;#ASMEND
	;;#ASMSTART
	v_dot2_f32_f16 v18, v15, v29, v18
	;;#ASMEND
	;;#ASMSTART
	v_dot2_f32_f16 v18, v16, v30, v18
	;;#ASMEND
	;;#ASMSTART
	v_dot2_f32_f16 v18, v17, v31, v18
	;;#ASMEND
	ds_read_b128 v[14:17], v9 offset:32
	;; [unrolled: 15-line block ×7, first 2 shown]
	ds_read_b128 v[28:31], v27 offset:4720
	s_waitcnt lgkmcnt(0)
	;;#ASMSTART
	v_dot2_f32_f16 v18, v14, v28, v18
	;;#ASMEND
	;;#ASMSTART
	v_dot2_f32_f16 v18, v15, v29, v18
	;;#ASMEND
	;; [unrolled: 3-line block ×3, first 2 shown]
	v_mov_b32_e32 v14, v2
	;;#ASMSTART
	v_dot2_f32_f16 v18, v17, v31, v18
	;;#ASMEND
	s_and_saveexec_b64 s[16:17], s[14:15]
	s_cbranch_execz .LBB68_20
; %bb.17:
	s_cmp_eq_u64 s[44:45], 0
	s_cbranch_scc1 .LBB68_19
; %bb.18:
	v_mul_lo_u32 v8, v25, s22
	v_add3_u32 v8, v8, v0, s20
	v_ashrrev_i32_e32 v9, 31, v8
	v_lshlrev_b64 v[8:9], 1, v[8:9]
	v_mov_b32_e32 v13, s45
	v_add_co_u32_e64 v8, s[14:15], s44, v8
	v_addc_co_u32_e64 v9, s[14:15], v13, v9, s[14:15]
	flat_load_ushort v8, v[8:9]
	s_waitcnt vmcnt(0) lgkmcnt(0)
	v_cvt_f32_f16_e32 v8, v8
	v_mul_f32_e32 v8, v24, v8
.LBB68_19:
	v_add_f32_e32 v18, v18, v8
	v_add_f32_e32 v8, 0x40051340, v18
	v_max_f32_e32 v9, v2, v2
	v_max_f32_e32 v14, v9, v8
.LBB68_20:
	s_or_b64 exec, exec, s[16:17]
	v_mbcnt_hi_u32_b32 v8, -1, v26
	v_and_b32_e32 v9, 0x60, v8
	v_add_u32_e32 v9, 32, v9
	v_xor_b32_e32 v13, 16, v8
	v_cmp_lt_i32_e64 s[14:15], v13, v9
	v_cndmask_b32_e64 v15, v8, v13, s[14:15]
	v_lshlrev_b32_e32 v15, 2, v15
	ds_bpermute_b32 v15, v15, v14
	v_max_f32_e32 v16, v14, v14
	v_xor_b32_e32 v14, 8, v8
	v_cmp_lt_i32_e64 s[14:15], v14, v9
	s_mov_b32 s22, 0x3fb8aa3b
	s_waitcnt lgkmcnt(0)
	v_max_f32_e32 v15, v15, v15
	v_max_f32_e32 v16, v16, v15
	v_cndmask_b32_e64 v15, v8, v14, s[14:15]
	v_lshlrev_b32_e32 v15, 2, v15
	ds_bpermute_b32 v17, v15, v16
	v_xor_b32_e32 v15, 4, v8
	v_cmp_lt_i32_e64 s[14:15], v15, v9
	s_mov_b32 s17, 0xc2ce8ed0
	s_mov_b32 s16, 0x42b17218
	s_waitcnt lgkmcnt(0)
	v_max_f32_e32 v17, v17, v17
	v_max_f32_e32 v17, v16, v17
	v_cndmask_b32_e64 v16, v8, v15, s[14:15]
	v_lshlrev_b32_e32 v16, 2, v16
	ds_bpermute_b32 v19, v16, v17
	v_xor_b32_e32 v16, 2, v8
	v_cmp_lt_i32_e64 s[14:15], v16, v9
	v_mov_b32_e32 v30, 0x7f800000
	v_lshlrev_b32_e32 v23, 6, v23
	s_waitcnt lgkmcnt(0)
	v_max_f32_e32 v19, v19, v19
	v_max_f32_e32 v19, v17, v19
	v_cndmask_b32_e64 v17, v8, v16, s[14:15]
	v_lshlrev_b32_e32 v17, 2, v17
	ds_bpermute_b32 v20, v17, v19
	v_xor_b32_e32 v17, 1, v8
	v_cmp_lt_i32_e64 s[14:15], v17, v9
	v_mul_lo_u32 v24, s8, v7
	v_ashrrev_i32_e32 v25, 31, v24
	s_waitcnt lgkmcnt(0)
	v_max_f32_e32 v20, v20, v20
	v_max_f32_e32 v19, v19, v20
	v_cndmask_b32_e64 v20, v8, v17, s[14:15]
	v_lshlrev_b32_e32 v20, 2, v20
	ds_bpermute_b32 v20, v20, v19
	s_waitcnt lgkmcnt(0)
	; wave barrier
	s_waitcnt lgkmcnt(0)
	v_mov_b32_e32 v28, 0
	v_mov_b32_e32 v32, 0
	v_max_f32_e32 v20, v20, v20
	v_max_f32_e32 v29, v19, v20
	v_sub_f32_e32 v18, v18, v29
	v_mul_f32_e32 v19, 0x3fb8aa3b, v18
	v_fma_f32 v20, v18, s22, -v19
	v_rndne_f32_e32 v21, v19
	v_fmac_f32_e32 v20, 0x32a5705f, v18
	v_sub_f32_e32 v19, v19, v21
	v_add_f32_e32 v19, v19, v20
	v_exp_f32_e32 v19, v19
	v_cvt_i32_f32_e32 v20, v21
	v_cmp_ngt_f32_e64 s[14:15], s17, v18
	v_lshl_or_b32 v7, v7, 7, v4
	v_add_u32_e32 v54, 0x800, v3
	v_ldexp_f32 v19, v19, v20
	v_cndmask_b32_e64 v19, 0, v19, s[14:15]
	v_cmp_nlt_f32_e64 s[14:15], s16, v18
	v_cndmask_b32_e64 v18, v30, v19, s[14:15]
	v_cmp_gt_u32_e64 s[14:15], s21, v0
	v_cndmask_b32_e64 v64, 0, v18, s[14:15]
	v_cvt_f16_f32_e32 v18, v64
	s_movk_i32 s14, 0x1300
	v_add3_u32 v19, v23, s14, v6
	s_mul_hi_i32 s15, s20, s8
	s_mul_i32 s14, s20, s8
	s_lshl_b64 s[14:15], s[14:15], 2
	s_add_u32 s20, s18, s14
	ds_write_b16 v19, v18
	s_addc_u32 s21, s19, s15
	v_lshlrev_b64 v[18:19], 2, v[24:25]
	v_mov_b32_e32 v20, s21
	v_add_co_u32_e64 v18, s[14:15], s20, v18
	v_addc_co_u32_e64 v19, s[14:15], v20, v19, s[14:15]
	s_mov_b64 s[18:19], src_private_base
	v_add_co_u32_e64 v18, s[14:15], v18, v4
	v_addc_co_u32_e64 v19, s[14:15], 0, v19, s[14:15]
	v_mov_b32_e32 v31, s19
	buffer_store_dword v28, off, s[0:3], 0
	buffer_store_dword v28, off, s[0:3], 0 offset:8
	buffer_store_dword v28, off, s[0:3], 0 offset:4
	;; [unrolled: 1-line block ×3, first 2 shown]
	v_cndmask_b32_e32 v19, v31, v19, vcc
	v_cndmask_b32_e32 v18, v32, v18, vcc
	flat_load_dwordx4 v[18:21], v[18:19]
	s_lshl_b32 s8, s8, 3
	v_add_u32_e32 v24, s8, v24
	v_ashrrev_i32_e32 v25, 31, v24
	v_lshlrev_b64 v[26:27], 2, v[24:25]
	v_mov_b32_e32 v33, s21
	v_add_co_u32_e32 v25, vcc, s20, v26
	v_addc_co_u32_e32 v26, vcc, v33, v27, vcc
	v_add_co_u32_e32 v25, vcc, v25, v4
	v_addc_co_u32_e32 v26, vcc, 0, v26, vcc
	v_cndmask_b32_e64 v27, v31, v26, s[12:13]
	v_cndmask_b32_e64 v26, v32, v25, s[12:13]
	buffer_store_dword v28, off, s[0:3], 0
	buffer_store_dword v28, off, s[0:3], 0 offset:8
	buffer_store_dword v28, off, s[0:3], 0 offset:4
	;; [unrolled: 1-line block ×3, first 2 shown]
	v_add_u32_e32 v24, s8, v24
	v_ashrrev_i32_e32 v25, 31, v24
	v_add_u32_e32 v62, 0xc00, v3
	s_waitcnt vmcnt(0) lgkmcnt(0)
	ds_write_b128 v7, v[18:21]
	flat_load_dwordx4 v[18:21], v[26:27]
	v_lshlrev_b64 v[26:27], 2, v[24:25]
	v_lshl_or_b32 v7, v10, 7, v4
	v_mov_b32_e32 v10, s21
	v_add_co_u32_e32 v25, vcc, s20, v26
	v_addc_co_u32_e32 v10, vcc, v10, v27, vcc
	v_add_co_u32_e32 v25, vcc, v25, v4
	v_addc_co_u32_e32 v10, vcc, 0, v10, vcc
	v_cndmask_b32_e64 v27, v31, v10, s[6:7]
	v_cndmask_b32_e64 v26, v32, v25, s[6:7]
	buffer_store_dword v28, off, s[0:3], 0
	buffer_store_dword v28, off, s[0:3], 0 offset:8
	buffer_store_dword v28, off, s[0:3], 0 offset:4
	;; [unrolled: 1-line block ×3, first 2 shown]
	v_add_u32_e32 v10, s8, v24
	v_mov_b32_e32 v25, s21
	s_waitcnt vmcnt(0) lgkmcnt(0)
	ds_write_b128 v7, v[18:21]
	flat_load_dwordx4 v[18:21], v[26:27]
	v_lshl_or_b32 v7, v11, 7, v4
	v_ashrrev_i32_e32 v11, 31, v10
	v_lshlrev_b64 v[10:11], 2, v[10:11]
	v_add_co_u32_e32 v10, vcc, s20, v10
	v_addc_co_u32_e32 v11, vcc, v25, v11, vcc
	v_add_co_u32_e32 v10, vcc, v10, v4
	v_addc_co_u32_e32 v11, vcc, 0, v11, vcc
	v_cndmask_b32_e64 v11, v31, v11, s[10:11]
	v_cndmask_b32_e64 v10, v32, v10, s[10:11]
	buffer_store_dword v28, off, s[0:3], 0
	buffer_store_dword v28, off, s[0:3], 0 offset:8
	buffer_store_dword v28, off, s[0:3], 0 offset:4
	;; [unrolled: 1-line block ×3, first 2 shown]
	v_lshl_or_b32 v4, v12, 7, v4
	s_waitcnt vmcnt(0) lgkmcnt(0)
	ds_write_b128 v7, v[18:21]
	flat_load_dwordx4 v[18:21], v[10:11]
	v_sub_f32_e32 v10, v2, v29
	v_mul_f32_e32 v2, 0x3fb8aa3b, v10
	v_fma_f32 v11, v10, s22, -v2
	v_rndne_f32_e32 v12, v2
	v_fmac_f32_e32 v11, 0x32a5705f, v10
	v_sub_f32_e32 v2, v2, v12
	v_add_f32_e32 v2, v2, v11
	v_cvt_i32_f32_e32 v12, v12
	v_exp_f32_e32 v11, v2
	v_cmp_ngt_f32_e32 vcc, s17, v10
	v_add_u32_e32 v7, 0x400, v3
	v_mov_b32_e32 v2, v29
	v_ldexp_f32 v11, v11, v12
	v_cndmask_b32_e32 v11, 0, v11, vcc
	v_cmp_nlt_f32_e32 vcc, s16, v10
	v_cndmask_b32_e32 v10, v30, v11, vcc
	v_cvt_f16_f32_e32 v12, v10
	v_fmac_f32_e32 v64, v5, v10
	s_waitcnt vmcnt(0) lgkmcnt(0)
	ds_write_b128 v4, v[18:21]
	s_waitcnt lgkmcnt(0)
	; wave barrier
	s_waitcnt lgkmcnt(0)
	ds_read2_b32 v[4:5], v3 offset1:32
	ds_read_b128 v[18:21], v23 offset:4864
	ds_read_b128 v[24:27], v23 offset:4880
	;; [unrolled: 1-line block ×4, first 2 shown]
	ds_read2_b32 v[10:11], v3 offset0:64 offset1:96
	ds_read2_b32 v[36:37], v3 offset0:128 offset1:160
	ds_read2_b32 v[38:39], v3 offset0:192 offset1:224
	ds_read2_b32 v[40:41], v7 offset1:32
	ds_read2_b32 v[42:43], v7 offset0:64 offset1:96
	ds_read2_b32 v[44:45], v7 offset0:128 offset1:160
	ds_read2_b32 v[46:47], v7 offset0:192 offset1:224
	ds_read2_b32 v[48:49], v54 offset1:32
	;; [unrolled: 4-line block ×3, first 2 shown]
	ds_read2_b32 v[58:59], v62 offset0:64 offset1:96
	ds_read2_b32 v[60:61], v62 offset0:128 offset1:160
	;; [unrolled: 1-line block ×3, first 2 shown]
	s_waitcnt lgkmcnt(14)
	v_pk_mul_f16 v3, v4, v18 op_sel_hi:[1,0]
	v_pk_fma_f16 v3, v22, v12, v3 op_sel_hi:[1,0,1]
	v_pk_fma_f16 v3, v5, v18, v3 op_sel:[0,1,0]
	v_pk_fma_f16 v3, v10, v19, v3 op_sel_hi:[1,0,1]
	v_pk_fma_f16 v3, v11, v19, v3 op_sel:[0,1,0]
	s_waitcnt lgkmcnt(13)
	v_pk_fma_f16 v3, v36, v20, v3 op_sel_hi:[1,0,1]
	v_pk_fma_f16 v3, v37, v20, v3 op_sel:[0,1,0]
	s_waitcnt lgkmcnt(12)
	;; [unrolled: 3-line block ×14, first 2 shown]
	v_pk_fma_f16 v3, v62, v35, v3 op_sel_hi:[1,0,1]
	v_pk_fma_f16 v22, v63, v35, v3 op_sel:[0,1,0]
	v_mov_b32_e32 v5, v64
	s_waitcnt lgkmcnt(0)
	; wave barrier
.LBB68_21:
	v_cmp_lt_i32_e32 vcc, v13, v9
	v_cndmask_b32_e32 v3, v8, v13, vcc
	v_lshlrev_b32_e32 v3, 2, v3
	ds_bpermute_b32 v3, v3, v5
	v_cmp_lt_i32_e32 vcc, v14, v9
	v_cndmask_b32_e32 v4, v8, v14, vcc
	v_lshlrev_b32_e32 v4, 2, v4
	v_cmp_lt_i32_e32 vcc, v15, v9
	s_waitcnt lgkmcnt(0)
	v_add_f32_e32 v3, v5, v3
	ds_bpermute_b32 v4, v4, v3
	v_cndmask_b32_e32 v5, v8, v15, vcc
	v_lshlrev_b32_e32 v5, 2, v5
	v_cmp_lt_i32_e32 vcc, v16, v9
	s_cmp_eq_u64 s[24:25], 0
	s_waitcnt lgkmcnt(0)
	v_add_f32_e32 v3, v3, v4
	ds_bpermute_b32 v4, v5, v3
	v_cndmask_b32_e32 v5, v8, v16, vcc
	v_lshlrev_b32_e32 v5, 2, v5
	v_cmp_lt_i32_e32 vcc, v17, v9
	s_cselect_b64 s[6:7], -1, 0
	s_waitcnt lgkmcnt(0)
	v_add_f32_e32 v3, v3, v4
	ds_bpermute_b32 v4, v5, v3
	v_cndmask_b32_e32 v5, v8, v17, vcc
	v_lshlrev_b32_e32 v5, 2, v5
	s_cmp_lg_u32 s9, 0
	s_cselect_b64 s[10:11], -1, 0
	s_waitcnt lgkmcnt(0)
	v_add_f32_e32 v3, v3, v4
	ds_bpermute_b32 v4, v5, v3
	s_or_b64 s[6:7], s[10:11], s[6:7]
	s_and_b64 vcc, exec, s[6:7]
	s_waitcnt lgkmcnt(0)
	v_add_f32_e32 v3, v3, v4
	s_cbranch_vccnz .LBB68_24
; %bb.22:
	s_lshl_b64 s[6:7], s[34:35], 2
	s_add_u32 s6, s24, s6
	s_addc_u32 s7, s25, s7
	v_mov_b32_e32 v4, 0
	global_load_dword v5, v4, s[6:7]
	v_max_f32_e32 v4, v2, v2
	s_mov_b32 s6, 0x3fb8aa3b
	s_mov_b32 s7, 0xc2ce8ed0
	s_waitcnt vmcnt(0)
	v_max_f32_e32 v7, v5, v5
	v_max_f32_e32 v4, v4, v7
	v_sub_f32_e32 v2, v2, v4
	v_sub_f32_e32 v5, v5, v4
	v_mul_f32_e32 v7, 0x3fb8aa3b, v2
	v_mul_f32_e32 v8, 0x3fb8aa3b, v5
	v_fma_f32 v9, v2, s6, -v7
	v_rndne_f32_e32 v10, v7
	v_fma_f32 v11, v5, s6, -v8
	v_rndne_f32_e32 v12, v8
	v_fmac_f32_e32 v9, 0x32a5705f, v2
	v_sub_f32_e32 v7, v7, v10
	v_fmac_f32_e32 v11, 0x32a5705f, v5
	v_sub_f32_e32 v8, v8, v12
	v_add_f32_e32 v7, v7, v9
	v_cvt_i32_f32_e32 v10, v10
	v_add_f32_e32 v8, v8, v11
	v_exp_f32_e32 v7, v7
	v_cvt_i32_f32_e32 v12, v12
	v_exp_f32_e32 v8, v8
	v_cmp_ngt_f32_e32 vcc, s7, v2
	v_ldexp_f32 v7, v7, v10
	s_mov_b32 s6, 0x42b17218
	v_ldexp_f32 v8, v8, v12
	v_cndmask_b32_e32 v7, 0, v7, vcc
	v_cmp_ngt_f32_e32 vcc, s7, v5
	v_mov_b32_e32 v9, 0x7f800000
	v_cndmask_b32_e32 v8, 0, v8, vcc
	v_cmp_nlt_f32_e32 vcc, s6, v2
	v_cndmask_b32_e32 v2, v9, v7, vcc
	v_cvt_f16_f32_e32 v7, v2
	v_cmp_nlt_f32_e32 vcc, s6, v5
	v_cndmask_b32_e32 v5, v9, v8, vcc
	v_fmac_f32_e32 v5, v3, v2
	v_pk_mul_f16 v22, v22, v7 op_sel_hi:[1,0]
	v_pk_mov_b32 v[2:3], v[4:5], v[4:5] op_sel:[0,1]
	v_cmp_gt_i32_e32 vcc, s38, v1
	s_and_saveexec_b64 s[6:7], vcc
	s_cbranch_execnz .LBB68_25
.LBB68_23:
	s_endpgm
.LBB68_24:
	v_mov_b32_e32 v5, v3
	v_cmp_gt_i32_e32 vcc, s38, v1
	s_and_saveexec_b64 s[6:7], vcc
	s_cbranch_execz .LBB68_23
.LBB68_25:
	s_load_dword s6, s[4:5], 0xd4
	v_div_scale_f32 v4, s[4:5], v5, v5, 1.0
	v_rcp_f32_e32 v7, v4
	s_mul_i32 s33, s33, s38
	v_add_u32_e32 v1, s33, v1
	v_mul_lo_u32 v1, v1, s39
	v_fma_f32 v8, -v4, v7, 1.0
	v_fmac_f32_e32 v7, v8, v7
	v_div_scale_f32 v8, vcc, 1.0, v5, 1.0
	v_mul_f32_e32 v9, v8, v7
	v_fma_f32 v10, -v4, v9, v8
	v_fmac_f32_e32 v9, v10, v7
	v_fma_f32 v4, -v4, v9, v8
	s_waitcnt lgkmcnt(0)
	s_cmp_lg_u32 s6, 1
	v_div_fmas_f32 v4, v4, v7, v9
	v_add_u32_e32 v1, s34, v1
	v_div_fixup_f32 v4, v4, v5, 1.0
	s_cselect_b64 s[4:5], -1, 0
	v_mul_lo_u32 v1, s6, v1
	v_cndmask_b32_e64 v8, v4, 1.0, s[4:5]
	v_add_u32_e32 v4, s9, v1
	v_lshl_add_u32 v6, v4, 6, v6
	v_mov_b32_e32 v7, 0
	v_lshlrev_b64 v[6:7], 2, v[6:7]
	v_cvt_f32_f16_sdwa v11, v22 dst_sel:DWORD dst_unused:UNUSED_PAD src0_sel:WORD_1
	v_cvt_f32_f16_e32 v10, v22
	v_mov_b32_e32 v1, s29
	v_add_co_u32_e32 v6, vcc, s28, v6
	v_addc_co_u32_e32 v7, vcc, v1, v7, vcc
	v_cmp_eq_u32_e32 vcc, 0, v0
	v_pk_mul_f32 v[8:9], v[8:9], v[10:11] op_sel_hi:[0,1]
	s_and_b64 s[4:5], vcc, s[4:5]
	global_store_dwordx2 v[6:7], v[8:9], off
	s_and_b64 exec, exec, s[4:5]
	s_cbranch_execz .LBB68_23
; %bb.26:
	v_ashrrev_i32_e32 v5, 31, v4
	v_lshlrev_b64 v[0:1], 3, v[4:5]
	v_mov_b32_e32 v4, s31
	v_add_co_u32_e32 v0, vcc, s30, v0
	v_addc_co_u32_e32 v1, vcc, v4, v1, vcc
	global_store_dwordx2 v[0:1], v[2:3], off
	s_endpgm
	.section	.rodata,"a",@progbits
	.p2align	6, 0x0
	.amdhsa_kernel _ZL15flash_attn_tileILi64ELi64ELi2ELi1ELb0EEvPKcS1_S1_S1_S1_PKiPfP15HIP_vector_typeIfLj2EEffffjfiS5_IjLj3EEiiiiiiiiiiiliiliiiiil
		.amdhsa_group_segment_fixed_size 4992
		.amdhsa_private_segment_fixed_size 32
		.amdhsa_kernarg_size 464
		.amdhsa_user_sgpr_count 8
		.amdhsa_user_sgpr_private_segment_buffer 1
		.amdhsa_user_sgpr_dispatch_ptr 0
		.amdhsa_user_sgpr_queue_ptr 0
		.amdhsa_user_sgpr_kernarg_segment_ptr 1
		.amdhsa_user_sgpr_dispatch_id 0
		.amdhsa_user_sgpr_flat_scratch_init 1
		.amdhsa_user_sgpr_kernarg_preload_length 0
		.amdhsa_user_sgpr_kernarg_preload_offset 0
		.amdhsa_user_sgpr_private_segment_size 0
		.amdhsa_uses_dynamic_stack 0
		.amdhsa_system_sgpr_private_segment_wavefront_offset 1
		.amdhsa_system_sgpr_workgroup_id_x 1
		.amdhsa_system_sgpr_workgroup_id_y 1
		.amdhsa_system_sgpr_workgroup_id_z 1
		.amdhsa_system_sgpr_workgroup_info 0
		.amdhsa_system_vgpr_workitem_id 1
		.amdhsa_next_free_vgpr 66
		.amdhsa_next_free_sgpr 56
		.amdhsa_accum_offset 68
		.amdhsa_reserve_vcc 1
		.amdhsa_reserve_flat_scratch 1
		.amdhsa_float_round_mode_32 0
		.amdhsa_float_round_mode_16_64 0
		.amdhsa_float_denorm_mode_32 3
		.amdhsa_float_denorm_mode_16_64 3
		.amdhsa_dx10_clamp 1
		.amdhsa_ieee_mode 1
		.amdhsa_fp16_overflow 0
		.amdhsa_tg_split 0
		.amdhsa_exception_fp_ieee_invalid_op 0
		.amdhsa_exception_fp_denorm_src 0
		.amdhsa_exception_fp_ieee_div_zero 0
		.amdhsa_exception_fp_ieee_overflow 0
		.amdhsa_exception_fp_ieee_underflow 0
		.amdhsa_exception_fp_ieee_inexact 0
		.amdhsa_exception_int_div_zero 0
	.end_amdhsa_kernel
	.section	.text._ZL15flash_attn_tileILi64ELi64ELi2ELi1ELb0EEvPKcS1_S1_S1_S1_PKiPfP15HIP_vector_typeIfLj2EEffffjfiS5_IjLj3EEiiiiiiiiiiiliiliiiiil,"axG",@progbits,_ZL15flash_attn_tileILi64ELi64ELi2ELi1ELb0EEvPKcS1_S1_S1_S1_PKiPfP15HIP_vector_typeIfLj2EEffffjfiS5_IjLj3EEiiiiiiiiiiiliiliiiiil,comdat
.Lfunc_end68:
	.size	_ZL15flash_attn_tileILi64ELi64ELi2ELi1ELb0EEvPKcS1_S1_S1_S1_PKiPfP15HIP_vector_typeIfLj2EEffffjfiS5_IjLj3EEiiiiiiiiiiiliiliiiiil, .Lfunc_end68-_ZL15flash_attn_tileILi64ELi64ELi2ELi1ELb0EEvPKcS1_S1_S1_S1_PKiPfP15HIP_vector_typeIfLj2EEffffjfiS5_IjLj3EEiiiiiiiiiiiliiliiiiil
                                        ; -- End function
	.section	.AMDGPU.csdata,"",@progbits
; Kernel info:
; codeLenInByte = 7668
; NumSgprs: 62
; NumVgprs: 66
; NumAgprs: 0
; TotalNumVgprs: 66
; ScratchSize: 32
; MemoryBound: 0
; FloatMode: 240
; IeeeMode: 1
; LDSByteSize: 4992 bytes/workgroup (compile time only)
; SGPRBlocks: 7
; VGPRBlocks: 8
; NumSGPRsForWavesPerEU: 62
; NumVGPRsForWavesPerEU: 66
; AccumOffset: 68
; Occupancy: 4
; WaveLimiterHint : 1
; COMPUTE_PGM_RSRC2:SCRATCH_EN: 1
; COMPUTE_PGM_RSRC2:USER_SGPR: 8
; COMPUTE_PGM_RSRC2:TRAP_HANDLER: 0
; COMPUTE_PGM_RSRC2:TGID_X_EN: 1
; COMPUTE_PGM_RSRC2:TGID_Y_EN: 1
; COMPUTE_PGM_RSRC2:TGID_Z_EN: 1
; COMPUTE_PGM_RSRC2:TIDIG_COMP_CNT: 1
; COMPUTE_PGM_RSRC3_GFX90A:ACCUM_OFFSET: 16
; COMPUTE_PGM_RSRC3_GFX90A:TG_SPLIT: 0
	.section	.text._ZL33flash_attn_stream_k_fixup_uniformILi64ELi2ELi1EEvPfPK15HIP_vector_typeIfLj2EEiiiiiiS1_IjLj3EES5_S5_,"axG",@progbits,_ZL33flash_attn_stream_k_fixup_uniformILi64ELi2ELi1EEvPfPK15HIP_vector_typeIfLj2EEiiiiiiS1_IjLj3EES5_S5_,comdat
	.globl	_ZL33flash_attn_stream_k_fixup_uniformILi64ELi2ELi1EEvPfPK15HIP_vector_typeIfLj2EEiiiiiiS1_IjLj3EES5_S5_ ; -- Begin function _ZL33flash_attn_stream_k_fixup_uniformILi64ELi2ELi1EEvPfPK15HIP_vector_typeIfLj2EEiiiiiiS1_IjLj3EES5_S5_
	.p2align	8
	.type	_ZL33flash_attn_stream_k_fixup_uniformILi64ELi2ELi1EEvPfPK15HIP_vector_typeIfLj2EEiiiiiiS1_IjLj3EES5_S5_,@function
_ZL33flash_attn_stream_k_fixup_uniformILi64ELi2ELi1EEvPfPK15HIP_vector_typeIfLj2EEiiiiiiS1_IjLj3EES5_S5_: ; @_ZL33flash_attn_stream_k_fixup_uniformILi64ELi2ELi1EEvPfPK15HIP_vector_typeIfLj2EEiiiiiiS1_IjLj3EES5_S5_
; %bb.0:
	s_load_dwordx8 s[12:19], s[4:5], 0x1c
	s_load_dwordx2 s[10:11], s[4:5], 0x10
	s_load_dwordx4 s[0:3], s[4:5], 0x3c
	s_waitcnt lgkmcnt(0)
	s_mul_hi_u32 s9, s15, s6
	s_add_i32 s9, s6, s9
	s_lshr_b32 s9, s9, s16
	s_mul_i32 s15, s9, s17
	s_sub_i32 s15, s6, s15
	s_mul_hi_u32 s16, s15, s18
	s_add_i32 s16, s15, s16
	s_lshr_b32 s16, s16, s19
	s_mul_i32 s0, s16, s0
	s_sub_i32 s0, s15, s0
	;; [unrolled: 5-line block ×3, first 2 shown]
	s_lshl_b32 s0, s17, 1
	s_add_i32 s0, s0, s7
	s_cmp_lt_i32 s0, s10
	s_cselect_b64 s[0:1], -1, 0
	s_add_i32 s2, s15, s8
	s_cmp_lt_i32 s2, s13
	s_cselect_b64 s[2:3], -1, 0
	s_and_b64 s[0:1], s[0:1], s[2:3]
	s_andn2_b64 vcc, exec, s[0:1]
	s_cbranch_vccnz .LBB69_6
; %bb.1:
	s_load_dwordx4 s[0:3], s[4:5], 0x0
	s_mul_i32 s4, s9, s10
	s_add_i32 s4, s4, s7
	s_mul_i32 s4, s4, s11
	s_mul_i32 s16, s16, s13
	s_add_i32 s4, s4, s8
	s_add_i32 s4, s4, s16
	s_mul_i32 s5, s11, s17
	s_add_i32 s4, s4, s15
	s_lshl_b32 s5, s5, 7
	s_lshl_b32 s4, s4, 6
	s_add_i32 s5, s5, s4
	v_or_b32_e32 v2, s5, v0
	v_ashrrev_i32_e32 v3, 31, v2
	v_lshlrev_b64 v[2:3], 2, v[2:3]
	s_waitcnt lgkmcnt(0)
	v_mov_b32_e32 v1, s1
	v_add_co_u32_e32 v2, vcc, s0, v2
	v_addc_co_u32_e32 v3, vcc, v1, v3, vcc
	global_load_dword v8, v[2:3], off
	s_add_i32 s4, s7, s8
	s_mul_i32 s7, s6, s14
	s_add_i32 s5, s7, s14
	s_lshl_b32 s0, s5, 1
	s_add_i32 s0, s4, s0
	s_add_i32 s0, s0, -2
	s_ashr_i32 s1, s0, 31
	s_lshl_b64 s[0:1], s[0:1], 3
	s_add_u32 s0, s2, s0
	s_addc_u32 s1, s3, s1
	s_load_dword s10, s[0:1], 0x4
	s_add_i32 s8, s5, -2
	s_cmp_lt_i32 s8, s7
	s_cbranch_scc1 .LBB69_4
; %bb.2:
	s_lshl_b32 s8, s12, 3
	s_ashr_i32 s9, s8, 31
	s_lshl_b64 s[8:9], s[8:9], 2
	s_add_u32 s8, s2, s8
	s_addc_u32 s11, s3, s9
	s_add_i32 s6, s6, 1
	s_add_i32 s9, s5, -1
	s_mul_i32 s5, s14, s6
	s_load_dword s0, s[0:1], 0x0
	s_lshl_b32 s1, s4, 6
	s_lshl_b32 s6, s5, 7
	s_add_i32 s1, s1, s6
	v_or_b32_e32 v0, s1, v0
	s_lshl_b32 s1, s5, 1
	s_add_i32 s1, s4, s1
	s_lshl_b32 s4, s12, 1
	s_add_i32 s1, s1, s4
	v_add_u32_e32 v0, 0xffffff00, v0
	s_add_i32 s4, s1, -4
	s_waitcnt lgkmcnt(0)
	v_mov_b32_e32 v7, s10
	v_mov_b32_e32 v6, s0
	v_mov_b32_e32 v4, s11
	s_mov_b32 s6, 0x3fb8aa3b
	s_mov_b32 s10, 0xc2ce8ed0
	;; [unrolled: 1-line block ×3, first 2 shown]
	v_mov_b32_e32 v5, 0x7f800000
	s_mov_b32 s12, 0xc1a00000
.LBB69_3:                               ; =>This Inner Loop Header: Depth=1
	v_ashrrev_i32_e32 v1, 31, v0
	v_lshlrev_b64 v[10:11], 2, v[0:1]
	v_add_co_u32_e32 v10, vcc, s8, v10
	v_addc_co_u32_e32 v11, vcc, v4, v11, vcc
	global_load_dword v1, v[10:11], off
	s_ashr_i32 s5, s4, 31
	s_lshl_b64 s[0:1], s[4:5], 3
	s_add_u32 s0, s2, s0
	s_addc_u32 s1, s3, s1
	s_load_dwordx2 s[14:15], s[0:1], 0x0
	s_waitcnt vmcnt(1)
	v_mov_b32_e32 v9, v8
	v_max_f32_e32 v8, v6, v6
	v_mov_b32_e32 v10, v7
	s_add_i32 s9, s9, -1
	s_waitcnt lgkmcnt(0)
	v_max_f32_e64 v7, s14, s14
	v_max_f32_e32 v7, v8, v7
	v_sub_f32_e32 v11, s14, v7
	v_sub_f32_e32 v8, v6, v7
	v_mul_f32_e32 v12, 0x3fb8aa3b, v11
	v_mov_b32_e32 v6, v7
	v_mul_f32_e32 v7, 0x3fb8aa3b, v8
	v_fma_f32 v15, v11, s6, -v12
	v_rndne_f32_e32 v16, v12
	v_fma_f32 v13, v8, s6, -v7
	v_rndne_f32_e32 v14, v7
	v_fmac_f32_e32 v15, 0x32a5705f, v11
	v_sub_f32_e32 v12, v12, v16
	v_fmac_f32_e32 v13, 0x32a5705f, v8
	v_sub_f32_e32 v7, v7, v14
	v_add_f32_e32 v12, v12, v15
	v_cvt_i32_f32_e32 v16, v16
	v_add_f32_e32 v7, v7, v13
	v_exp_f32_e32 v12, v12
	v_cvt_i32_f32_e32 v14, v14
	v_exp_f32_e32 v7, v7
	v_cmp_ngt_f32_e32 vcc, s10, v11
	v_ldexp_f32 v12, v12, v16
	v_cmp_ngt_f32_e64 s[0:1], s10, v8
	v_ldexp_f32 v7, v7, v14
	v_cndmask_b32_e32 v12, 0, v12, vcc
	v_cmp_nlt_f32_e32 vcc, s11, v11
	v_cndmask_b32_e64 v7, 0, v7, s[0:1]
	v_cmp_nlt_f32_e64 s[0:1], s11, v8
	v_cndmask_b32_e32 v12, v5, v12, vcc
	v_cmp_le_f32_e32 vcc, s12, v11
	v_cndmask_b32_e64 v7, v5, v7, s[0:1]
	v_cmp_le_f32_e64 s[0:1], s12, v8
	v_cndmask_b32_e32 v8, 0, v12, vcc
	s_add_i32 s4, s4, -2
	v_cndmask_b32_e64 v11, 0, v7, s[0:1]
	v_mul_f32_e32 v7, s15, v8
	v_add_u32_e32 v0, 0xffffff80, v0
	s_cmp_le_i32 s9, s7
	v_fmac_f32_e32 v7, v10, v11
	s_waitcnt vmcnt(0)
	v_mul_f32_e32 v8, v1, v8
	v_fmac_f32_e32 v8, v9, v11
	s_cbranch_scc0 .LBB69_3
	s_branch .LBB69_5
.LBB69_4:
	s_waitcnt lgkmcnt(0)
	v_mov_b32_e32 v7, s10
.LBB69_5:
	s_waitcnt vmcnt(0)
	v_div_scale_f32 v0, s[0:1], v7, v7, v8
	v_rcp_f32_e32 v1, v0
	v_div_scale_f32 v4, vcc, v8, v7, v8
	v_fma_f32 v5, -v0, v1, 1.0
	v_fmac_f32_e32 v1, v5, v1
	v_mul_f32_e32 v5, v4, v1
	v_fma_f32 v6, -v0, v5, v4
	v_fmac_f32_e32 v5, v6, v1
	v_fma_f32 v0, -v0, v5, v4
	v_div_fmas_f32 v0, v0, v1, v5
	v_div_fixup_f32 v0, v0, v7, v8
	global_store_dword v[2:3], v0, off
.LBB69_6:
	s_endpgm
	.section	.rodata,"a",@progbits
	.p2align	6, 0x0
	.amdhsa_kernel _ZL33flash_attn_stream_k_fixup_uniformILi64ELi2ELi1EEvPfPK15HIP_vector_typeIfLj2EEiiiiiiS1_IjLj3EES5_S5_
		.amdhsa_group_segment_fixed_size 0
		.amdhsa_private_segment_fixed_size 0
		.amdhsa_kernarg_size 76
		.amdhsa_user_sgpr_count 6
		.amdhsa_user_sgpr_private_segment_buffer 1
		.amdhsa_user_sgpr_dispatch_ptr 0
		.amdhsa_user_sgpr_queue_ptr 0
		.amdhsa_user_sgpr_kernarg_segment_ptr 1
		.amdhsa_user_sgpr_dispatch_id 0
		.amdhsa_user_sgpr_flat_scratch_init 0
		.amdhsa_user_sgpr_kernarg_preload_length 0
		.amdhsa_user_sgpr_kernarg_preload_offset 0
		.amdhsa_user_sgpr_private_segment_size 0
		.amdhsa_uses_dynamic_stack 0
		.amdhsa_system_sgpr_private_segment_wavefront_offset 0
		.amdhsa_system_sgpr_workgroup_id_x 1
		.amdhsa_system_sgpr_workgroup_id_y 1
		.amdhsa_system_sgpr_workgroup_id_z 1
		.amdhsa_system_sgpr_workgroup_info 0
		.amdhsa_system_vgpr_workitem_id 0
		.amdhsa_next_free_vgpr 17
		.amdhsa_next_free_sgpr 20
		.amdhsa_accum_offset 20
		.amdhsa_reserve_vcc 1
		.amdhsa_reserve_flat_scratch 0
		.amdhsa_float_round_mode_32 0
		.amdhsa_float_round_mode_16_64 0
		.amdhsa_float_denorm_mode_32 3
		.amdhsa_float_denorm_mode_16_64 3
		.amdhsa_dx10_clamp 1
		.amdhsa_ieee_mode 1
		.amdhsa_fp16_overflow 0
		.amdhsa_tg_split 0
		.amdhsa_exception_fp_ieee_invalid_op 0
		.amdhsa_exception_fp_denorm_src 0
		.amdhsa_exception_fp_ieee_div_zero 0
		.amdhsa_exception_fp_ieee_overflow 0
		.amdhsa_exception_fp_ieee_underflow 0
		.amdhsa_exception_fp_ieee_inexact 0
		.amdhsa_exception_int_div_zero 0
	.end_amdhsa_kernel
	.section	.text._ZL33flash_attn_stream_k_fixup_uniformILi64ELi2ELi1EEvPfPK15HIP_vector_typeIfLj2EEiiiiiiS1_IjLj3EES5_S5_,"axG",@progbits,_ZL33flash_attn_stream_k_fixup_uniformILi64ELi2ELi1EEvPfPK15HIP_vector_typeIfLj2EEiiiiiiS1_IjLj3EES5_S5_,comdat
.Lfunc_end69:
	.size	_ZL33flash_attn_stream_k_fixup_uniformILi64ELi2ELi1EEvPfPK15HIP_vector_typeIfLj2EEiiiiiiS1_IjLj3EES5_S5_, .Lfunc_end69-_ZL33flash_attn_stream_k_fixup_uniformILi64ELi2ELi1EEvPfPK15HIP_vector_typeIfLj2EEiiiiiiS1_IjLj3EES5_S5_
                                        ; -- End function
	.section	.AMDGPU.csdata,"",@progbits
; Kernel info:
; codeLenInByte = 836
; NumSgprs: 24
; NumVgprs: 17
; NumAgprs: 0
; TotalNumVgprs: 17
; ScratchSize: 0
; MemoryBound: 0
; FloatMode: 240
; IeeeMode: 1
; LDSByteSize: 0 bytes/workgroup (compile time only)
; SGPRBlocks: 2
; VGPRBlocks: 2
; NumSGPRsForWavesPerEU: 24
; NumVGPRsForWavesPerEU: 17
; AccumOffset: 20
; Occupancy: 8
; WaveLimiterHint : 0
; COMPUTE_PGM_RSRC2:SCRATCH_EN: 0
; COMPUTE_PGM_RSRC2:USER_SGPR: 6
; COMPUTE_PGM_RSRC2:TRAP_HANDLER: 0
; COMPUTE_PGM_RSRC2:TGID_X_EN: 1
; COMPUTE_PGM_RSRC2:TGID_Y_EN: 1
; COMPUTE_PGM_RSRC2:TGID_Z_EN: 1
; COMPUTE_PGM_RSRC2:TIDIG_COMP_CNT: 0
; COMPUTE_PGM_RSRC3_GFX90A:ACCUM_OFFSET: 4
; COMPUTE_PGM_RSRC3_GFX90A:TG_SPLIT: 0
	.section	.text._ZL33flash_attn_stream_k_fixup_generalILi64ELi2ELi1EEvPfPK15HIP_vector_typeIfLj2EEiiiiS1_IjLj3EES5_S5_S5_,"axG",@progbits,_ZL33flash_attn_stream_k_fixup_generalILi64ELi2ELi1EEvPfPK15HIP_vector_typeIfLj2EEiiiiS1_IjLj3EES5_S5_S5_,comdat
	.globl	_ZL33flash_attn_stream_k_fixup_generalILi64ELi2ELi1EEvPfPK15HIP_vector_typeIfLj2EEiiiiS1_IjLj3EES5_S5_S5_ ; -- Begin function _ZL33flash_attn_stream_k_fixup_generalILi64ELi2ELi1EEvPfPK15HIP_vector_typeIfLj2EEiiiiS1_IjLj3EES5_S5_S5_
	.p2align	8
	.type	_ZL33flash_attn_stream_k_fixup_generalILi64ELi2ELi1EEvPfPK15HIP_vector_typeIfLj2EEiiiiS1_IjLj3EES5_S5_S5_,@function
_ZL33flash_attn_stream_k_fixup_generalILi64ELi2ELi1EEvPfPK15HIP_vector_typeIfLj2EEiiiiS1_IjLj3EES5_S5_S5_: ; @_ZL33flash_attn_stream_k_fixup_generalILi64ELi2ELi1EEvPfPK15HIP_vector_typeIfLj2EEiiiiS1_IjLj3EES5_S5_S5_
; %bb.0:
	s_load_dwordx4 s[12:15], s[4:5], 0x10
	s_load_dword s9, s[4:5], 0x50
	s_mov_b32 s2, 0
	s_waitcnt lgkmcnt(0)
	s_mul_hi_i32 s3, s15, s6
	s_cmp_lg_u64 s[2:3], 0
	s_mul_i32 s2, s15, s6
	s_cbranch_scc0 .LBB70_21
; %bb.1:
	v_cvt_f32_u32_e32 v1, s9
	v_cvt_f32_ubyte0_e32 v2, 0
	s_sub_u32 s10, 0, s9
	s_subb_u32 s11, 0, 0
	v_madmk_f32 v1, v2, 0x4f800000, v1
	v_rcp_f32_e32 v1, v1
	v_mul_f32_e32 v1, 0x5f7ffffc, v1
	v_mul_f32_e32 v2, 0x2f800000, v1
	v_trunc_f32_e32 v2, v2
	v_madmk_f32 v1, v2, 0xcf800000, v1
	v_cvt_u32_f32_e32 v2, v2
	v_cvt_u32_f32_e32 v1, v1
	v_readfirstlane_b32 s16, v2
	v_readfirstlane_b32 s17, v1
	s_mul_i32 s18, s10, s16
	s_mul_hi_u32 s20, s10, s17
	s_mul_i32 s19, s11, s17
	s_add_i32 s18, s20, s18
	s_add_i32 s18, s18, s19
	s_mul_i32 s21, s10, s17
	s_mul_hi_u32 s19, s17, s18
	s_mul_i32 s20, s17, s18
	s_mul_hi_u32 s17, s17, s21
	s_add_u32 s17, s17, s20
	s_addc_u32 s19, 0, s19
	s_mul_hi_u32 s22, s16, s21
	s_mul_i32 s21, s16, s21
	s_add_u32 s17, s17, s21
	s_mul_hi_u32 s20, s16, s18
	s_addc_u32 s17, s19, s22
	s_addc_u32 s19, s20, 0
	s_mul_i32 s18, s16, s18
	s_add_u32 s17, s17, s18
	s_addc_u32 s18, 0, s19
	v_add_co_u32_e32 v1, vcc, s17, v1
	s_cmp_lg_u64 vcc, 0
	s_addc_u32 s16, s16, s18
	v_readfirstlane_b32 s18, v1
	s_mul_i32 s17, s10, s16
	s_mul_hi_u32 s19, s10, s18
	s_add_i32 s17, s19, s17
	s_mul_i32 s11, s11, s18
	s_add_i32 s17, s17, s11
	s_mul_i32 s10, s10, s18
	s_mul_hi_u32 s19, s16, s10
	s_mul_i32 s20, s16, s10
	s_mul_i32 s22, s18, s17
	s_mul_hi_u32 s10, s18, s10
	s_mul_hi_u32 s21, s18, s17
	s_add_u32 s10, s10, s22
	s_addc_u32 s18, 0, s21
	s_add_u32 s10, s10, s20
	s_mul_hi_u32 s11, s16, s17
	s_addc_u32 s10, s18, s19
	s_addc_u32 s11, s11, 0
	s_mul_i32 s17, s16, s17
	s_add_u32 s10, s10, s17
	s_addc_u32 s11, 0, s11
	v_add_co_u32_e32 v1, vcc, s10, v1
	s_cmp_lg_u64 vcc, 0
	s_addc_u32 s18, s16, s11
	s_ashr_i32 s10, s3, 31
	s_add_u32 s16, s2, s10
	s_mov_b32 s11, s10
	s_addc_u32 s17, s3, s10
	s_xor_b64 s[16:17], s[16:17], s[10:11]
	v_readfirstlane_b32 s20, v1
	s_mul_i32 s19, s16, s18
	s_mul_hi_u32 s21, s16, s20
	s_mul_hi_u32 s3, s16, s18
	s_add_u32 s19, s21, s19
	s_addc_u32 s3, 0, s3
	s_mul_hi_u32 s22, s17, s20
	s_mul_i32 s20, s17, s20
	s_add_u32 s19, s19, s20
	s_mul_hi_u32 s21, s17, s18
	s_addc_u32 s3, s3, s22
	s_addc_u32 s19, s21, 0
	s_mul_i32 s18, s17, s18
	s_add_u32 s3, s3, s18
	s_addc_u32 s18, 0, s19
	s_add_u32 s19, s3, 1
	s_addc_u32 s20, s18, 0
	s_add_u32 s21, s3, 2
	s_mul_i32 s23, s9, s18
	s_mul_hi_u32 s24, s9, s3
	s_addc_u32 s22, s18, 0
	s_add_i32 s24, s24, s23
	s_mul_i32 s23, s9, s3
	v_mov_b32_e32 v1, s23
	v_sub_co_u32_e32 v1, vcc, s16, v1
	s_cmp_lg_u64 vcc, 0
	s_subb_u32 s16, s17, s24
	v_subrev_co_u32_e32 v2, vcc, s9, v1
	s_cmp_lg_u64 vcc, 0
	s_subb_u32 s17, s16, 0
	v_readfirstlane_b32 s23, v2
	s_cmp_ge_u32 s23, s9
	s_cselect_b32 s23, -1, 0
	s_cmp_eq_u32 s17, 0
	s_cselect_b32 s17, s23, -1
	s_cmp_lg_u32 s17, 0
	s_cselect_b32 s17, s22, s20
	v_readfirstlane_b32 s20, v1
	s_cselect_b32 s19, s21, s19
	s_cmp_ge_u32 s20, s9
	s_cselect_b32 s20, -1, 0
	s_cmp_eq_u32 s16, 0
	s_cselect_b32 s16, s20, -1
	s_cmp_lg_u32 s16, 0
	s_cselect_b32 s17, s17, s18
	s_cselect_b32 s16, s19, s3
	s_xor_b64 s[16:17], s[16:17], s[10:11]
	s_sub_u32 s20, s16, s10
	s_load_dwordx4 s[16:19], s[4:5], 0x44
	s_cbranch_execnz .LBB70_3
.LBB70_2:
	v_cvt_f32_u32_e32 v1, s9
	s_sub_i32 s0, 0, s9
	v_rcp_iflag_f32_e32 v1, v1
	v_mul_f32_e32 v1, 0x4f7ffffe, v1
	v_cvt_u32_f32_e32 v1, v1
	v_readfirstlane_b32 s1, v1
	s_mul_i32 s0, s0, s1
	s_mul_hi_u32 s0, s1, s0
	s_add_i32 s1, s1, s0
	s_mul_hi_u32 s0, s2, s1
	s_mul_i32 s3, s0, s9
	s_sub_i32 s2, s2, s3
	s_add_i32 s1, s0, 1
	s_sub_i32 s3, s2, s9
	s_cmp_ge_u32 s2, s9
	s_cselect_b32 s0, s1, s0
	s_cselect_b32 s2, s3, s2
	s_add_i32 s1, s0, 1
	s_cmp_ge_u32 s2, s9
	s_cselect_b32 s20, s1, s0
.LBB70_3:
	s_add_i32 s0, s6, 1
	s_mul_hi_i32 s3, s15, s0
	s_mov_b32 s2, 0
	s_cmp_lg_u64 s[2:3], 0
	s_mul_i32 s2, s15, s0
	s_cbranch_scc0 .LBB70_22
; %bb.4:
	v_cvt_f32_u32_e32 v1, s9
	v_cvt_f32_ubyte0_e32 v2, 0
	s_sub_u32 s10, 0, s9
	s_subb_u32 s11, 0, 0
	v_madmk_f32 v1, v2, 0x4f800000, v1
	v_rcp_f32_e32 v1, v1
	v_mul_f32_e32 v1, 0x5f7ffffc, v1
	v_mul_f32_e32 v2, 0x2f800000, v1
	v_trunc_f32_e32 v2, v2
	v_madmk_f32 v1, v2, 0xcf800000, v1
	v_cvt_u32_f32_e32 v2, v2
	v_cvt_u32_f32_e32 v1, v1
	s_waitcnt lgkmcnt(0)
	v_readfirstlane_b32 s19, v2
	v_readfirstlane_b32 s21, v1
	s_mul_i32 s22, s10, s19
	s_mul_hi_u32 s24, s10, s21
	s_mul_i32 s23, s11, s21
	s_add_i32 s22, s24, s22
	s_add_i32 s22, s22, s23
	s_mul_i32 s25, s10, s21
	s_mul_hi_u32 s23, s21, s22
	s_mul_i32 s24, s21, s22
	s_mul_hi_u32 s21, s21, s25
	s_add_u32 s21, s21, s24
	s_addc_u32 s23, 0, s23
	s_mul_hi_u32 s26, s19, s25
	s_mul_i32 s25, s19, s25
	s_add_u32 s21, s21, s25
	s_mul_hi_u32 s24, s19, s22
	s_addc_u32 s21, s23, s26
	s_addc_u32 s23, s24, 0
	s_mul_i32 s22, s19, s22
	s_add_u32 s21, s21, s22
	s_addc_u32 s22, 0, s23
	v_add_co_u32_e32 v1, vcc, s21, v1
	s_cmp_lg_u64 vcc, 0
	s_addc_u32 s19, s19, s22
	v_readfirstlane_b32 s22, v1
	s_mul_i32 s21, s10, s19
	s_mul_hi_u32 s23, s10, s22
	s_add_i32 s21, s23, s21
	s_mul_i32 s11, s11, s22
	s_add_i32 s21, s21, s11
	s_mul_i32 s10, s10, s22
	s_mul_hi_u32 s23, s19, s10
	s_mul_i32 s24, s19, s10
	s_mul_i32 s26, s22, s21
	s_mul_hi_u32 s10, s22, s10
	s_mul_hi_u32 s25, s22, s21
	s_add_u32 s10, s10, s26
	s_addc_u32 s22, 0, s25
	s_add_u32 s10, s10, s24
	s_mul_hi_u32 s11, s19, s21
	s_addc_u32 s10, s22, s23
	s_addc_u32 s11, s11, 0
	s_mul_i32 s21, s19, s21
	s_add_u32 s10, s10, s21
	s_addc_u32 s11, 0, s11
	v_add_co_u32_e32 v1, vcc, s10, v1
	s_cmp_lg_u64 vcc, 0
	s_addc_u32 s19, s19, s11
	s_ashr_i32 s10, s3, 31
	s_add_u32 s22, s2, s10
	s_mov_b32 s11, s10
	s_addc_u32 s23, s3, s10
	s_xor_b64 s[22:23], s[22:23], s[10:11]
	v_readfirstlane_b32 s21, v1
	s_mul_i32 s11, s22, s19
	s_mul_hi_u32 s24, s22, s21
	s_mul_hi_u32 s3, s22, s19
	s_add_u32 s11, s24, s11
	s_addc_u32 s3, 0, s3
	s_mul_hi_u32 s25, s23, s21
	s_mul_i32 s21, s23, s21
	s_add_u32 s11, s11, s21
	s_mul_hi_u32 s24, s23, s19
	s_addc_u32 s3, s3, s25
	s_addc_u32 s11, s24, 0
	s_mul_i32 s19, s23, s19
	s_add_u32 s3, s3, s19
	s_addc_u32 s11, 0, s11
	s_mul_i32 s11, s9, s11
	s_mul_hi_u32 s24, s9, s3
	s_add_i32 s24, s24, s11
	s_mul_i32 s11, s9, s3
	v_mov_b32_e32 v1, s11
	s_add_u32 s19, s3, 1
	s_add_u32 s21, s3, 2
	v_sub_co_u32_e32 v1, vcc, s22, v1
	s_cmp_lg_u64 vcc, 0
	s_subb_u32 s11, s23, s24
	v_subrev_co_u32_e32 v2, vcc, s9, v1
	s_cmp_lg_u64 vcc, 0
	s_subb_u32 s22, s11, 0
	v_cmp_le_u32_e32 vcc, s9, v2
	s_cmp_eq_u32 s22, 0
	v_cndmask_b32_e64 v2, 0, -1, vcc
	s_cselect_b64 vcc, -1, 0
	v_cndmask_b32_e32 v2, -1, v2, vcc
	v_mov_b32_e32 v3, s19
	v_mov_b32_e32 v4, s21
	v_cmp_ne_u32_e32 vcc, 0, v2
	v_cndmask_b32_e32 v2, v3, v4, vcc
	v_cmp_le_u32_e32 vcc, s9, v1
	s_cmp_eq_u32 s11, 0
	v_cndmask_b32_e64 v1, 0, -1, vcc
	s_cselect_b64 vcc, -1, 0
	v_cndmask_b32_e32 v1, -1, v1, vcc
	v_mov_b32_e32 v3, s3
	v_cmp_ne_u32_e32 vcc, 0, v1
	v_cndmask_b32_e32 v1, v3, v2, vcc
	v_xor_b32_e32 v1, s10, v1
	v_subrev_co_u32_e32 v2, vcc, s10, v1
	s_cbranch_execnz .LBB70_6
.LBB70_5:
	v_cvt_f32_u32_e32 v1, s9
	s_sub_i32 s0, 0, s9
	s_mov_b32 s1, 0
	v_rcp_iflag_f32_e32 v1, v1
	v_mul_f32_e32 v1, 0x4f7ffffe, v1
	v_cvt_u32_f32_e32 v1, v1
	v_readfirstlane_b32 s3, v1
	s_mul_i32 s0, s0, s3
	s_mul_hi_u32 s0, s3, s0
	s_add_i32 s3, s3, s0
	s_mul_hi_u32 s0, s2, s3
	s_mul_i32 s10, s0, s9
	s_sub_i32 s2, s2, s10
	s_add_i32 s3, s0, 1
	s_sub_i32 s10, s2, s9
	s_cmp_ge_u32 s2, s9
	s_cselect_b32 s0, s3, s0
	s_cselect_b32 s2, s10, s2
	s_add_i32 s3, s0, 1
	s_cmp_ge_u32 s2, s9
	s_cselect_b32 s0, s3, s0
	v_pk_mov_b32 v[2:3], s[0:1], s[0:1] op_sel:[0,1]
.LBB70_6:
	s_waitcnt lgkmcnt(0)
	s_mul_hi_u32 s0, s20, s16
	s_add_i32 s0, s0, s20
	v_mul_hi_u32 v1, v2, s16
	s_lshr_b32 s19, s0, s17
	v_add_u32_e32 v1, v1, v2
	s_mul_i32 s0, s19, s18
	v_lshrrev_b32_e32 v1, s17, v1
	s_cmp_eq_u32 s0, s20
	v_cmp_eq_u32_e64 s[0:1], s19, v1
	v_mul_lo_u32 v1, v1, s18
	v_cmp_eq_u32_e32 vcc, s20, v2
	s_cselect_b64 s[10:11], -1, 0
	v_cmp_ne_u32_e64 s[2:3], v1, v2
	s_and_b64 s[0:1], s[0:1], s[2:3]
	s_or_b64 s[2:3], vcc, s[10:11]
	s_or_b64 s[0:1], s[2:3], s[0:1]
	s_and_b64 vcc, exec, s[0:1]
	s_cbranch_vccnz .LBB70_24
; %bb.7:
	s_load_dwordx8 s[24:31], s[4:5], 0x20
	s_load_dword s0, s[4:5], 0x40
	s_mov_b32 s10, 0
	s_waitcnt lgkmcnt(0)
	s_mul_hi_u32 s1, s20, s24
	s_add_i32 s1, s1, s20
	s_lshr_b32 s11, s1, s25
	s_mul_i32 s1, s11, s26
	s_sub_i32 s1, s20, s1
	s_mul_hi_u32 s2, s1, s27
	s_add_i32 s2, s1, s2
	s_lshr_b32 s25, s2, s28
	s_mul_i32 s2, s25, s29
	s_sub_i32 s1, s1, s2
	;; [unrolled: 5-line block ×3, first 2 shown]
	s_mul_hi_u32 s1, s0, s16
	s_add_i32 s0, s0, s1
	s_lshr_b32 s26, s0, s17
	s_lshl_b32 s0, s26, 1
	s_add_i32 s0, s0, s7
	s_cmp_lt_i32 s0, s12
	s_cselect_b64 s[0:1], -1, 0
	s_add_i32 s2, s24, s8
	s_cmp_lt_i32 s2, s14
	s_cselect_b64 s[2:3], -1, 0
	s_and_b64 s[0:1], s[0:1], s[2:3]
	s_andn2_b64 vcc, exec, s[0:1]
	s_cbranch_vccnz .LBB70_24
; %bb.8:
	s_load_dwordx4 s[0:3], s[4:5], 0x0
	s_lshl_b32 s4, s9, 3
	s_mov_b32 s5, s10
	s_add_i32 s21, s7, s8
	s_lshl_b64 s[4:5], s[4:5], 2
	s_waitcnt lgkmcnt(0)
	s_add_u32 s22, s2, s4
	s_mul_i32 s4, s11, s12
	s_addc_u32 s23, s3, s5
	s_add_i32 s4, s4, s7
	s_mul_i32 s4, s4, s13
	s_mul_i32 s25, s25, s14
	s_add_i32 s4, s4, s8
	s_add_i32 s4, s4, s25
	s_mul_i32 s5, s13, s26
	s_add_i32 s4, s4, s24
	s_lshl_b32 s5, s5, 7
	s_lshl_b32 s4, s4, 6
	s_add_i32 s5, s5, s4
	v_or_b32_e32 v2, s5, v0
	v_ashrrev_i32_e32 v3, 31, v2
	v_lshlrev_b64 v[2:3], 2, v[2:3]
	v_mov_b32_e32 v1, s1
	v_add_co_u32_e32 v2, vcc, s0, v2
	v_addc_co_u32_e32 v3, vcc, v1, v3, vcc
	global_load_dword v5, v[2:3], off
	v_lshl_or_b32 v4, s21, 6, v0
	v_cvt_f32_u32_e32 v0, s9
	v_cvt_f32_ubyte0_e32 v1, 0
	s_lshl_b32 s0, s6, 1
	s_add_i32 s0, s0, s21
	v_mac_f32_e32 v0, 0x4f800000, v1
	v_rcp_f32_e32 v0, v0
	v_cvt_f32_u32_e32 v1, s9
	s_ashr_i32 s1, s0, 31
	s_lshl_b64 s[0:1], s[0:1], 3
	v_mul_f32_e32 v0, 0x5f7ffffc, v0
	v_rcp_iflag_f32_e32 v1, v1
	s_add_u32 s0, s2, s0
	v_mul_f32_e32 v9, 0x2f800000, v0
	s_addc_u32 s1, s3, s1
	v_trunc_f32_e32 v10, v9
	s_load_dwordx2 s[0:1], s[0:1], 0x0
	v_mac_f32_e32 v0, 0xcf800000, v10
	v_cvt_u32_f32_e32 v9, v0
	v_mul_f32_e32 v0, 0x4f7ffffe, v1
	v_cvt_u32_f32_e32 v10, v10
	v_cvt_u32_f32_e32 v11, v0
	s_add_i32 s8, s6, -1
	s_waitcnt lgkmcnt(0)
	v_mov_b32_e32 v6, s1
	v_mov_b32_e32 v7, s0
	;; [unrolled: 1-line block ×3, first 2 shown]
	s_mov_b32 s6, 0x3fb8aa3b
	s_mov_b32 s7, 0xc2ce8ed0
	;; [unrolled: 1-line block ×4, first 2 shown]
	v_mov_b32_e32 v12, 0x7f800000
	s_mul_hi_i32 s11, s8, s15
	s_cmp_lg_u64 s[10:11], 0
	s_mul_i32 s4, s8, s15
	s_cbranch_scc0 .LBB70_15
.LBB70_9:
	s_sub_u32 s0, 0, s9
	v_readfirstlane_b32 s5, v9
	v_readfirstlane_b32 s24, v10
	s_subb_u32 s1, 0, 0
	s_mul_hi_u32 s20, s0, s5
	s_mul_i32 s25, s0, s24
	s_mul_i32 s14, s1, s5
	s_add_i32 s20, s20, s25
	s_add_i32 s20, s20, s14
	s_mul_i32 s26, s0, s5
	s_mul_hi_u32 s14, s5, s20
	s_mul_i32 s25, s5, s20
	s_mul_hi_u32 s5, s5, s26
	s_add_u32 s5, s5, s25
	s_addc_u32 s14, 0, s14
	s_mul_hi_u32 s27, s24, s26
	s_mul_i32 s26, s24, s26
	s_add_u32 s5, s5, s26
	s_mul_hi_u32 s25, s24, s20
	s_addc_u32 s5, s14, s27
	s_addc_u32 s14, s25, 0
	s_mul_i32 s20, s24, s20
	s_add_u32 s5, s5, s20
	s_addc_u32 s14, 0, s14
	v_add_co_u32_e32 v0, vcc, s5, v9
	s_cmp_lg_u64 vcc, 0
	s_addc_u32 s5, s24, s14
	v_readfirstlane_b32 s20, v0
	s_mul_i32 s14, s0, s5
	s_mul_hi_u32 s24, s0, s20
	s_add_i32 s14, s24, s14
	s_mul_i32 s1, s1, s20
	s_add_i32 s14, s14, s1
	s_mul_i32 s0, s0, s20
	s_mul_hi_u32 s24, s5, s0
	s_mul_i32 s25, s5, s0
	s_mul_i32 s27, s20, s14
	s_mul_hi_u32 s0, s20, s0
	s_mul_hi_u32 s26, s20, s14
	s_add_u32 s0, s0, s27
	s_addc_u32 s20, 0, s26
	s_add_u32 s0, s0, s25
	s_mul_hi_u32 s1, s5, s14
	s_addc_u32 s0, s20, s24
	s_addc_u32 s1, s1, 0
	s_mul_i32 s14, s5, s14
	s_add_u32 s0, s0, s14
	s_addc_u32 s1, 0, s1
	v_add_co_u32_e32 v0, vcc, s0, v0
	s_cmp_lg_u64 vcc, 0
	s_addc_u32 s5, s5, s1
	s_ashr_i32 s0, s11, 31
	s_add_u32 s24, s4, s0
	s_mov_b32 s1, s0
	s_addc_u32 s25, s11, s0
	s_xor_b64 s[24:25], s[24:25], s[0:1]
	v_readfirstlane_b32 s14, v0
	s_mul_i32 s11, s24, s5
	s_mul_hi_u32 s20, s24, s14
	s_mul_hi_u32 s1, s24, s5
	s_add_u32 s11, s20, s11
	s_addc_u32 s1, 0, s1
	s_mul_hi_u32 s26, s25, s14
	s_mul_i32 s14, s25, s14
	s_add_u32 s11, s11, s14
	s_mul_hi_u32 s20, s25, s5
	s_addc_u32 s1, s1, s26
	s_addc_u32 s11, s20, 0
	s_mul_i32 s5, s25, s5
	s_add_u32 s1, s1, s5
	s_addc_u32 s5, 0, s11
	s_mul_i32 s5, s9, s5
	s_mul_hi_u32 s20, s9, s1
	s_add_i32 s20, s20, s5
	s_mul_i32 s5, s9, s1
	v_mov_b32_e32 v0, s5
	s_add_u32 s11, s1, 1
	s_add_u32 s14, s1, 2
	v_sub_co_u32_e32 v0, vcc, s24, v0
	s_cmp_lg_u64 vcc, 0
	s_subb_u32 s5, s25, s20
	v_subrev_co_u32_e32 v1, vcc, s9, v0
	s_cmp_lg_u64 vcc, 0
	s_subb_u32 s20, s5, 0
	v_cmp_le_u32_e32 vcc, s9, v1
	s_cmp_eq_u32 s20, 0
	v_cndmask_b32_e64 v1, 0, -1, vcc
	s_cselect_b64 vcc, -1, 0
	v_cndmask_b32_e32 v1, -1, v1, vcc
	v_mov_b32_e32 v13, s11
	v_mov_b32_e32 v14, s14
	v_cmp_ne_u32_e32 vcc, 0, v1
	v_cndmask_b32_e32 v1, v13, v14, vcc
	v_cmp_le_u32_e32 vcc, s9, v0
	s_cmp_eq_u32 s5, 0
	v_cndmask_b32_e64 v0, 0, -1, vcc
	s_cselect_b64 vcc, -1, 0
	v_cndmask_b32_e32 v0, -1, v0, vcc
	v_mov_b32_e32 v13, s1
	v_cmp_ne_u32_e32 vcc, 0, v0
	v_cndmask_b32_e32 v0, v13, v1, vcc
	v_xor_b32_e32 v0, s0, v0
	v_subrev_co_u32_e32 v0, vcc, s0, v0
	s_cbranch_execnz .LBB70_11
.LBB70_10:
	s_sub_i32 s0, 0, s9
	v_mul_lo_u32 v0, s0, v11
	v_mul_hi_u32 v0, v11, v0
	v_add_u32_e32 v0, v11, v0
	v_mul_hi_u32 v0, s4, v0
	v_mul_lo_u32 v13, v0, s9
	v_sub_u32_e32 v13, s4, v13
	v_add_u32_e32 v1, 1, v0
	v_subrev_u32_e32 v14, s9, v13
	v_cmp_le_u32_e32 vcc, s9, v13
	v_cndmask_b32_e32 v13, v13, v14, vcc
	v_cndmask_b32_e32 v0, v0, v1, vcc
	v_add_u32_e32 v1, 1, v0
	v_cmp_le_u32_e32 vcc, s9, v13
	v_cndmask_b32_e32 v0, v0, v1, vcc
.LBB70_11:
	v_cmp_ne_u32_e32 vcc, v8, v0
	s_cbranch_vccz .LBB70_14
; %bb.12:
	s_add_i32 s0, s8, s9
	s_lshl_b32 s0, s0, 1
	v_mul_hi_u32 v1, v0, s16
	s_add_i32 s0, s0, s21
	s_mov_b32 s1, s10
	v_add_u32_e32 v1, v1, v0
	s_lshl_b64 s[0:1], s[0:1], 3
	v_lshrrev_b32_e32 v1, s17, v1
	s_add_u32 s4, s2, s0
	v_mul_lo_u32 v13, v1, s18
	s_addc_u32 s5, s3, s1
	v_cmp_eq_u32_e32 vcc, v13, v0
	v_cmp_gt_u32_e64 s[0:1], s19, v1
	s_or_b64 s[0:1], s[0:1], vcc
	s_and_b64 vcc, exec, s[0:1]
	s_cbranch_vccnz .LBB70_16
; %bb.13:
	s_add_i32 s11, s8, -1
	s_mov_b64 s[0:1], 0
	s_branch .LBB70_17
.LBB70_14:
                                        ; implicit-def: $sgpr0_sgpr1
                                        ; implicit-def: $vgpr14
                                        ; implicit-def: $vgpr1
                                        ; implicit-def: $vgpr13
                                        ; implicit-def: $sgpr11
                                        ; implicit-def: $vgpr0
	s_branch .LBB70_18
.LBB70_15:
                                        ; implicit-def: $vgpr0_vgpr1
	s_branch .LBB70_10
.LBB70_16:
	s_mov_b64 s[0:1], -1
	s_mov_b32 s11, s8
	v_mov_b32_e32 v0, v8
.LBB70_17:
	v_lshl_add_u32 v14, s8, 7, v4
	v_ashrrev_i32_e32 v15, 31, v14
	v_lshlrev_b64 v[14:15], 2, v[14:15]
	v_mov_b32_e32 v1, s23
	v_add_co_u32_e32 v14, vcc, s22, v14
	v_addc_co_u32_e32 v15, vcc, v1, v15, vcc
	global_load_dword v14, v[14:15], off
	s_load_dwordx2 s[4:5], s[4:5], 0x0
	v_max_f32_e32 v1, v7, v7
	s_waitcnt lgkmcnt(0)
	v_max_f32_e64 v13, s4, s4
	v_max_f32_e32 v1, v1, v13
	v_sub_f32_e32 v13, v7, v1
	v_sub_f32_e32 v15, s4, v1
	v_mul_f32_e32 v16, 0x3fb8aa3b, v13
	v_mul_f32_e32 v17, 0x3fb8aa3b, v15
	v_fma_f32 v18, v13, s6, -v16
	v_rndne_f32_e32 v19, v16
	v_fma_f32 v20, v15, s6, -v17
	v_rndne_f32_e32 v21, v17
	v_fmac_f32_e32 v18, 0x32a5705f, v13
	v_sub_f32_e32 v16, v16, v19
	v_fmac_f32_e32 v20, 0x32a5705f, v15
	v_sub_f32_e32 v17, v17, v21
	v_add_f32_e32 v16, v16, v18
	v_cvt_i32_f32_e32 v19, v19
	v_add_f32_e32 v17, v17, v20
	v_exp_f32_e32 v16, v16
	v_cvt_i32_f32_e32 v21, v21
	v_exp_f32_e32 v17, v17
	v_cmp_ngt_f32_e32 vcc, s7, v13
	v_ldexp_f32 v16, v16, v19
	v_cndmask_b32_e32 v16, 0, v16, vcc
	v_ldexp_f32 v17, v17, v21
	v_cmp_ngt_f32_e32 vcc, s7, v15
	v_cndmask_b32_e32 v17, 0, v17, vcc
	v_cmp_nlt_f32_e32 vcc, s12, v13
	v_cndmask_b32_e32 v16, v12, v16, vcc
	v_cmp_nlt_f32_e32 vcc, s12, v15
	v_cndmask_b32_e32 v17, v12, v17, vcc
	v_cmp_le_f32_e32 vcc, s13, v13
	v_cndmask_b32_e32 v16, 0, v16, vcc
	v_cmp_le_f32_e32 vcc, s13, v15
	v_cndmask_b32_e32 v15, 0, v17, vcc
	v_mul_f32_e32 v13, s5, v15
	v_fmac_f32_e32 v13, v6, v16
	s_waitcnt vmcnt(0)
	v_mul_f32_e32 v14, v14, v15
	v_fmac_f32_e32 v14, v5, v16
	s_cbranch_execnz .LBB70_19
.LBB70_18:
	s_add_i32 s11, s8, -1
	s_mov_b64 s[0:1], 0
	v_mov_b32_e32 v0, v8
	v_mov_b32_e32 v13, v6
	v_mov_b32_e32 v1, v7
	s_waitcnt vmcnt(0)
	v_mov_b32_e32 v14, v5
.LBB70_19:
	s_andn2_b64 vcc, exec, s[0:1]
	s_cbranch_vccz .LBB70_23
; %bb.20:
	v_mov_b32_e32 v8, v0
	s_mov_b32 s8, s11
	v_mov_b32_e32 v6, v13
	v_mov_b32_e32 v7, v1
	s_waitcnt vmcnt(0)
	v_mov_b32_e32 v5, v14
	s_mul_hi_i32 s11, s8, s15
	s_cmp_lg_u64 s[10:11], 0
	s_mul_i32 s4, s8, s15
	s_cbranch_scc1 .LBB70_9
	s_branch .LBB70_15
.LBB70_21:
                                        ; implicit-def: $sgpr20_sgpr21
	s_load_dwordx4 s[16:19], s[4:5], 0x44
	s_branch .LBB70_2
.LBB70_22:
                                        ; implicit-def: $vgpr2_vgpr3
	s_branch .LBB70_5
.LBB70_23:
	v_div_scale_f32 v0, s[0:1], v13, v13, v14
	v_rcp_f32_e32 v1, v0
	v_div_scale_f32 v4, vcc, v14, v13, v14
	s_waitcnt vmcnt(0)
	v_fma_f32 v5, -v0, v1, 1.0
	v_fmac_f32_e32 v1, v5, v1
	v_mul_f32_e32 v5, v4, v1
	v_fma_f32 v6, -v0, v5, v4
	v_fmac_f32_e32 v5, v6, v1
	v_fma_f32 v0, -v0, v5, v4
	v_div_fmas_f32 v0, v0, v1, v5
	v_div_fixup_f32 v0, v0, v13, v14
	global_store_dword v[2:3], v0, off
.LBB70_24:
	s_endpgm
	.section	.rodata,"a",@progbits
	.p2align	6, 0x0
	.amdhsa_kernel _ZL33flash_attn_stream_k_fixup_generalILi64ELi2ELi1EEvPfPK15HIP_vector_typeIfLj2EEiiiiS1_IjLj3EES5_S5_S5_
		.amdhsa_group_segment_fixed_size 0
		.amdhsa_private_segment_fixed_size 0
		.amdhsa_kernarg_size 336
		.amdhsa_user_sgpr_count 6
		.amdhsa_user_sgpr_private_segment_buffer 1
		.amdhsa_user_sgpr_dispatch_ptr 0
		.amdhsa_user_sgpr_queue_ptr 0
		.amdhsa_user_sgpr_kernarg_segment_ptr 1
		.amdhsa_user_sgpr_dispatch_id 0
		.amdhsa_user_sgpr_flat_scratch_init 0
		.amdhsa_user_sgpr_kernarg_preload_length 0
		.amdhsa_user_sgpr_kernarg_preload_offset 0
		.amdhsa_user_sgpr_private_segment_size 0
		.amdhsa_uses_dynamic_stack 0
		.amdhsa_system_sgpr_private_segment_wavefront_offset 0
		.amdhsa_system_sgpr_workgroup_id_x 1
		.amdhsa_system_sgpr_workgroup_id_y 1
		.amdhsa_system_sgpr_workgroup_id_z 1
		.amdhsa_system_sgpr_workgroup_info 0
		.amdhsa_system_vgpr_workitem_id 0
		.amdhsa_next_free_vgpr 22
		.amdhsa_next_free_sgpr 32
		.amdhsa_accum_offset 24
		.amdhsa_reserve_vcc 1
		.amdhsa_reserve_flat_scratch 0
		.amdhsa_float_round_mode_32 0
		.amdhsa_float_round_mode_16_64 0
		.amdhsa_float_denorm_mode_32 3
		.amdhsa_float_denorm_mode_16_64 3
		.amdhsa_dx10_clamp 1
		.amdhsa_ieee_mode 1
		.amdhsa_fp16_overflow 0
		.amdhsa_tg_split 0
		.amdhsa_exception_fp_ieee_invalid_op 0
		.amdhsa_exception_fp_denorm_src 0
		.amdhsa_exception_fp_ieee_div_zero 0
		.amdhsa_exception_fp_ieee_overflow 0
		.amdhsa_exception_fp_ieee_underflow 0
		.amdhsa_exception_fp_ieee_inexact 0
		.amdhsa_exception_int_div_zero 0
	.end_amdhsa_kernel
	.section	.text._ZL33flash_attn_stream_k_fixup_generalILi64ELi2ELi1EEvPfPK15HIP_vector_typeIfLj2EEiiiiS1_IjLj3EES5_S5_S5_,"axG",@progbits,_ZL33flash_attn_stream_k_fixup_generalILi64ELi2ELi1EEvPfPK15HIP_vector_typeIfLj2EEiiiiS1_IjLj3EES5_S5_S5_,comdat
.Lfunc_end70:
	.size	_ZL33flash_attn_stream_k_fixup_generalILi64ELi2ELi1EEvPfPK15HIP_vector_typeIfLj2EEiiiiS1_IjLj3EES5_S5_S5_, .Lfunc_end70-_ZL33flash_attn_stream_k_fixup_generalILi64ELi2ELi1EEvPfPK15HIP_vector_typeIfLj2EEiiiiS1_IjLj3EES5_S5_S5_
                                        ; -- End function
	.section	.AMDGPU.csdata,"",@progbits
; Kernel info:
; codeLenInByte = 2816
; NumSgprs: 36
; NumVgprs: 22
; NumAgprs: 0
; TotalNumVgprs: 22
; ScratchSize: 0
; MemoryBound: 0
; FloatMode: 240
; IeeeMode: 1
; LDSByteSize: 0 bytes/workgroup (compile time only)
; SGPRBlocks: 4
; VGPRBlocks: 2
; NumSGPRsForWavesPerEU: 36
; NumVGPRsForWavesPerEU: 22
; AccumOffset: 24
; Occupancy: 8
; WaveLimiterHint : 0
; COMPUTE_PGM_RSRC2:SCRATCH_EN: 0
; COMPUTE_PGM_RSRC2:USER_SGPR: 6
; COMPUTE_PGM_RSRC2:TRAP_HANDLER: 0
; COMPUTE_PGM_RSRC2:TGID_X_EN: 1
; COMPUTE_PGM_RSRC2:TGID_Y_EN: 1
; COMPUTE_PGM_RSRC2:TGID_Z_EN: 1
; COMPUTE_PGM_RSRC2:TIDIG_COMP_CNT: 0
; COMPUTE_PGM_RSRC3_GFX90A:ACCUM_OFFSET: 5
; COMPUTE_PGM_RSRC3_GFX90A:TG_SPLIT: 0
	.text
	.p2align	2                               ; -- Begin function __ockl_printf_append_string_n
	.type	__ockl_printf_append_string_n,@function
__ockl_printf_append_string_n:          ; @__ockl_printf_append_string_n
; %bb.0:
	s_waitcnt vmcnt(0) expcnt(0) lgkmcnt(0)
	v_mov_b32_e32 v7, v3
	v_mov_b32_e32 v6, v2
	;; [unrolled: 1-line block ×3, first 2 shown]
	s_mov_b64 s[6:7], 0
	v_cmp_ne_u64_e32 vcc, 0, v[6:7]
	v_mbcnt_lo_u32_b32 v2, -1, 0
	s_and_saveexec_b64 s[4:5], vcc
	s_xor_b64 s[10:11], exec, s[4:5]
	s_cbranch_execz .LBB71_86
; %bb.1:
	s_load_dwordx2 s[12:13], s[8:9], 0x50
	v_and_b32_e32 v28, 2, v3
	s_mov_b32 s22, 0
	v_mov_b32_e32 v31, 0
	v_and_b32_e32 v0, -3, v3
	v_mbcnt_hi_u32_b32 v32, -1, v2
	s_movk_i32 s23, 0xff1f
	v_mov_b32_e32 v10, 2
	v_mov_b32_e32 v11, 1
	s_branch .LBB71_3
.LBB71_2:                               ;   in Loop: Header=BB71_3 Depth=1
	s_or_b64 exec, exec, s[16:17]
	v_sub_co_u32_e32 v4, vcc, v4, v34
	v_subb_co_u32_e32 v5, vcc, v5, v35, vcc
	v_cmp_eq_u64_e32 vcc, 0, v[4:5]
	s_or_b64 s[6:7], vcc, s[6:7]
	v_add_co_u32_e32 v6, vcc, v6, v34
	v_addc_co_u32_e32 v7, vcc, v7, v35, vcc
	s_andn2_b64 exec, exec, s[6:7]
	s_cbranch_execz .LBB71_85
.LBB71_3:                               ; =>This Loop Header: Depth=1
                                        ;     Child Loop BB71_6 Depth 2
                                        ;     Child Loop BB71_14 Depth 2
	;; [unrolled: 1-line block ×11, first 2 shown]
	v_cmp_gt_u64_e32 vcc, 56, v[4:5]
	v_cndmask_b32_e32 v35, 0, v5, vcc
	v_cndmask_b32_e32 v34, 56, v4, vcc
	v_cmp_gt_u64_e32 vcc, 8, v[4:5]
                                        ; implicit-def: $vgpr2_vgpr3
                                        ; implicit-def: $sgpr14
	s_and_saveexec_b64 s[4:5], vcc
	s_xor_b64 s[4:5], exec, s[4:5]
	s_cbranch_execz .LBB71_9
; %bb.4:                                ;   in Loop: Header=BB71_3 Depth=1
	s_mov_b64 s[16:17], 0
	v_cmp_ne_u64_e32 vcc, 0, v[4:5]
	s_waitcnt vmcnt(0)
	v_pk_mov_b32 v[2:3], 0, 0
	s_and_saveexec_b64 s[14:15], vcc
	s_cbranch_execz .LBB71_8
; %bb.5:                                ;   in Loop: Header=BB71_3 Depth=1
	v_lshlrev_b64 v[8:9], 3, v[34:35]
	v_pk_mov_b32 v[2:3], 0, 0
	v_pk_mov_b32 v[12:13], v[6:7], v[6:7] op_sel:[0,1]
	s_mov_b64 s[18:19], 0
.LBB71_6:                               ;   Parent Loop BB71_3 Depth=1
                                        ; =>  This Inner Loop Header: Depth=2
	flat_load_ubyte v9, v[12:13]
	v_mov_b32_e32 v15, s22
	v_add_co_u32_e32 v12, vcc, 1, v12
	v_addc_co_u32_e32 v13, vcc, 0, v13, vcc
	s_waitcnt vmcnt(0) lgkmcnt(0)
	v_and_b32_e32 v14, 0xffff, v9
	v_lshlrev_b64 v[14:15], s18, v[14:15]
	s_add_u32 s18, s18, 8
	s_addc_u32 s19, s19, 0
	v_cmp_eq_u32_e32 vcc, s18, v8
	v_or_b32_e32 v3, v15, v3
	s_or_b64 s[16:17], vcc, s[16:17]
	v_or_b32_e32 v2, v14, v2
	s_andn2_b64 exec, exec, s[16:17]
	s_cbranch_execnz .LBB71_6
; %bb.7:                                ;   in Loop: Header=BB71_3 Depth=1
	s_or_b64 exec, exec, s[16:17]
.LBB71_8:                               ;   in Loop: Header=BB71_3 Depth=1
	s_or_b64 exec, exec, s[14:15]
	s_mov_b32 s14, 0
.LBB71_9:                               ;   in Loop: Header=BB71_3 Depth=1
	s_or_saveexec_b64 s[4:5], s[4:5]
	v_mov_b32_e32 v14, s14
	v_pk_mov_b32 v[8:9], v[6:7], v[6:7] op_sel:[0,1]
	s_xor_b64 exec, exec, s[4:5]
	s_cbranch_execz .LBB71_11
; %bb.10:                               ;   in Loop: Header=BB71_3 Depth=1
	s_waitcnt vmcnt(0)
	flat_load_dwordx2 v[2:3], v[6:7]
	v_add_u32_e32 v14, -8, v34
	s_waitcnt vmcnt(0) lgkmcnt(0)
	v_and_b32_e32 v8, 0xff, v3
	v_and_b32_e32 v9, 0xff00, v3
	v_and_b32_e32 v12, 0xff0000, v3
	v_and_b32_e32 v3, 0xff000000, v3
	v_or_b32_e32 v8, v8, v9
	v_or3_b32 v3, v8, v12, v3
	v_add_co_u32_e32 v8, vcc, 8, v6
	v_or3_b32 v2, v2, 0, 0
	v_addc_co_u32_e32 v9, vcc, 0, v7, vcc
.LBB71_11:                              ;   in Loop: Header=BB71_3 Depth=1
	s_or_b64 exec, exec, s[4:5]
	v_cmp_gt_u32_e32 vcc, 8, v14
                                        ; implicit-def: $vgpr12_vgpr13
                                        ; implicit-def: $sgpr14
	s_and_saveexec_b64 s[4:5], vcc
	s_xor_b64 s[4:5], exec, s[4:5]
	s_cbranch_execz .LBB71_17
; %bb.12:                               ;   in Loop: Header=BB71_3 Depth=1
	v_cmp_ne_u32_e32 vcc, 0, v14
	v_pk_mov_b32 v[12:13], 0, 0
	s_and_saveexec_b64 s[14:15], vcc
	s_cbranch_execz .LBB71_16
; %bb.13:                               ;   in Loop: Header=BB71_3 Depth=1
	s_mov_b64 s[16:17], 0
	v_pk_mov_b32 v[12:13], 0, 0
	s_mov_b64 s[18:19], 0
	s_mov_b64 s[20:21], 0
.LBB71_14:                              ;   Parent Loop BB71_3 Depth=1
                                        ; =>  This Inner Loop Header: Depth=2
	v_mov_b32_e32 v15, s21
	v_add_co_u32_e32 v16, vcc, s20, v8
	v_addc_co_u32_e32 v17, vcc, v9, v15, vcc
	flat_load_ubyte v15, v[16:17]
	s_add_u32 s20, s20, 1
	v_mov_b32_e32 v17, s22
	s_addc_u32 s21, s21, 0
	v_cmp_eq_u32_e32 vcc, s20, v14
	s_waitcnt vmcnt(0) lgkmcnt(0)
	v_and_b32_e32 v16, 0xffff, v15
	v_lshlrev_b64 v[16:17], s18, v[16:17]
	s_add_u32 s18, s18, 8
	s_addc_u32 s19, s19, 0
	v_or_b32_e32 v13, v17, v13
	s_or_b64 s[16:17], vcc, s[16:17]
	v_or_b32_e32 v12, v16, v12
	s_andn2_b64 exec, exec, s[16:17]
	s_cbranch_execnz .LBB71_14
; %bb.15:                               ;   in Loop: Header=BB71_3 Depth=1
	s_or_b64 exec, exec, s[16:17]
.LBB71_16:                              ;   in Loop: Header=BB71_3 Depth=1
	s_or_b64 exec, exec, s[14:15]
	s_mov_b32 s14, 0
                                        ; implicit-def: $vgpr14
.LBB71_17:                              ;   in Loop: Header=BB71_3 Depth=1
	s_or_saveexec_b64 s[4:5], s[4:5]
	v_mov_b32_e32 v16, s14
	s_xor_b64 exec, exec, s[4:5]
	s_cbranch_execz .LBB71_19
; %bb.18:                               ;   in Loop: Header=BB71_3 Depth=1
	flat_load_dwordx2 v[12:13], v[8:9]
	v_add_u32_e32 v16, -8, v14
	v_add_co_u32_e32 v8, vcc, 8, v8
	v_addc_co_u32_e32 v9, vcc, 0, v9, vcc
	s_waitcnt vmcnt(0) lgkmcnt(0)
	v_and_b32_e32 v14, 0xff, v13
	v_and_b32_e32 v15, 0xff00, v13
	;; [unrolled: 1-line block ×4, first 2 shown]
	v_or_b32_e32 v14, v14, v15
	v_or3_b32 v12, v12, 0, 0
	v_or3_b32 v13, v14, v17, v13
.LBB71_19:                              ;   in Loop: Header=BB71_3 Depth=1
	s_or_b64 exec, exec, s[4:5]
	v_cmp_gt_u32_e32 vcc, 8, v16
                                        ; implicit-def: $sgpr14
	s_and_saveexec_b64 s[4:5], vcc
	s_xor_b64 s[4:5], exec, s[4:5]
	s_cbranch_execz .LBB71_25
; %bb.20:                               ;   in Loop: Header=BB71_3 Depth=1
	v_cmp_ne_u32_e32 vcc, 0, v16
	v_pk_mov_b32 v[14:15], 0, 0
	s_and_saveexec_b64 s[14:15], vcc
	s_cbranch_execz .LBB71_24
; %bb.21:                               ;   in Loop: Header=BB71_3 Depth=1
	s_mov_b64 s[16:17], 0
	v_pk_mov_b32 v[14:15], 0, 0
	s_mov_b64 s[18:19], 0
	s_mov_b64 s[20:21], 0
.LBB71_22:                              ;   Parent Loop BB71_3 Depth=1
                                        ; =>  This Inner Loop Header: Depth=2
	v_mov_b32_e32 v17, s21
	v_add_co_u32_e32 v18, vcc, s20, v8
	v_addc_co_u32_e32 v19, vcc, v9, v17, vcc
	flat_load_ubyte v17, v[18:19]
	s_add_u32 s20, s20, 1
	v_mov_b32_e32 v19, s22
	s_addc_u32 s21, s21, 0
	v_cmp_eq_u32_e32 vcc, s20, v16
	s_waitcnt vmcnt(0) lgkmcnt(0)
	v_and_b32_e32 v18, 0xffff, v17
	v_lshlrev_b64 v[18:19], s18, v[18:19]
	s_add_u32 s18, s18, 8
	s_addc_u32 s19, s19, 0
	v_or_b32_e32 v15, v19, v15
	s_or_b64 s[16:17], vcc, s[16:17]
	v_or_b32_e32 v14, v18, v14
	s_andn2_b64 exec, exec, s[16:17]
	s_cbranch_execnz .LBB71_22
; %bb.23:                               ;   in Loop: Header=BB71_3 Depth=1
	s_or_b64 exec, exec, s[16:17]
.LBB71_24:                              ;   in Loop: Header=BB71_3 Depth=1
	s_or_b64 exec, exec, s[14:15]
	s_mov_b32 s14, 0
                                        ; implicit-def: $vgpr16
.LBB71_25:                              ;   in Loop: Header=BB71_3 Depth=1
	s_or_saveexec_b64 s[4:5], s[4:5]
	v_mov_b32_e32 v18, s14
	s_xor_b64 exec, exec, s[4:5]
	s_cbranch_execz .LBB71_27
; %bb.26:                               ;   in Loop: Header=BB71_3 Depth=1
	flat_load_dwordx2 v[14:15], v[8:9]
	v_add_u32_e32 v18, -8, v16
	v_add_co_u32_e32 v8, vcc, 8, v8
	v_addc_co_u32_e32 v9, vcc, 0, v9, vcc
	s_waitcnt vmcnt(0) lgkmcnt(0)
	v_and_b32_e32 v16, 0xff, v15
	v_and_b32_e32 v17, 0xff00, v15
	;; [unrolled: 1-line block ×4, first 2 shown]
	v_or_b32_e32 v16, v16, v17
	v_or3_b32 v14, v14, 0, 0
	v_or3_b32 v15, v16, v19, v15
.LBB71_27:                              ;   in Loop: Header=BB71_3 Depth=1
	s_or_b64 exec, exec, s[4:5]
	v_cmp_gt_u32_e32 vcc, 8, v18
                                        ; implicit-def: $vgpr16_vgpr17
                                        ; implicit-def: $sgpr14
	s_and_saveexec_b64 s[4:5], vcc
	s_xor_b64 s[4:5], exec, s[4:5]
	s_cbranch_execz .LBB71_33
; %bb.28:                               ;   in Loop: Header=BB71_3 Depth=1
	v_cmp_ne_u32_e32 vcc, 0, v18
	v_pk_mov_b32 v[16:17], 0, 0
	s_and_saveexec_b64 s[14:15], vcc
	s_cbranch_execz .LBB71_32
; %bb.29:                               ;   in Loop: Header=BB71_3 Depth=1
	s_mov_b64 s[16:17], 0
	v_pk_mov_b32 v[16:17], 0, 0
	s_mov_b64 s[18:19], 0
	s_mov_b64 s[20:21], 0
.LBB71_30:                              ;   Parent Loop BB71_3 Depth=1
                                        ; =>  This Inner Loop Header: Depth=2
	v_mov_b32_e32 v19, s21
	v_add_co_u32_e32 v20, vcc, s20, v8
	v_addc_co_u32_e32 v21, vcc, v9, v19, vcc
	flat_load_ubyte v19, v[20:21]
	s_add_u32 s20, s20, 1
	v_mov_b32_e32 v21, s22
	s_addc_u32 s21, s21, 0
	v_cmp_eq_u32_e32 vcc, s20, v18
	s_waitcnt vmcnt(0) lgkmcnt(0)
	v_and_b32_e32 v20, 0xffff, v19
	v_lshlrev_b64 v[20:21], s18, v[20:21]
	s_add_u32 s18, s18, 8
	s_addc_u32 s19, s19, 0
	v_or_b32_e32 v17, v21, v17
	s_or_b64 s[16:17], vcc, s[16:17]
	v_or_b32_e32 v16, v20, v16
	s_andn2_b64 exec, exec, s[16:17]
	s_cbranch_execnz .LBB71_30
; %bb.31:                               ;   in Loop: Header=BB71_3 Depth=1
	s_or_b64 exec, exec, s[16:17]
.LBB71_32:                              ;   in Loop: Header=BB71_3 Depth=1
	s_or_b64 exec, exec, s[14:15]
	s_mov_b32 s14, 0
                                        ; implicit-def: $vgpr18
.LBB71_33:                              ;   in Loop: Header=BB71_3 Depth=1
	s_or_saveexec_b64 s[4:5], s[4:5]
	v_mov_b32_e32 v20, s14
	s_xor_b64 exec, exec, s[4:5]
	s_cbranch_execz .LBB71_35
; %bb.34:                               ;   in Loop: Header=BB71_3 Depth=1
	flat_load_dwordx2 v[16:17], v[8:9]
	v_add_u32_e32 v20, -8, v18
	v_add_co_u32_e32 v8, vcc, 8, v8
	v_addc_co_u32_e32 v9, vcc, 0, v9, vcc
	s_waitcnt vmcnt(0) lgkmcnt(0)
	v_and_b32_e32 v18, 0xff, v17
	v_and_b32_e32 v19, 0xff00, v17
	;; [unrolled: 1-line block ×4, first 2 shown]
	v_or_b32_e32 v18, v18, v19
	v_or3_b32 v16, v16, 0, 0
	v_or3_b32 v17, v18, v21, v17
.LBB71_35:                              ;   in Loop: Header=BB71_3 Depth=1
	s_or_b64 exec, exec, s[4:5]
	v_cmp_gt_u32_e32 vcc, 8, v20
                                        ; implicit-def: $sgpr14
	s_and_saveexec_b64 s[4:5], vcc
	s_xor_b64 s[4:5], exec, s[4:5]
	s_cbranch_execz .LBB71_41
; %bb.36:                               ;   in Loop: Header=BB71_3 Depth=1
	v_cmp_ne_u32_e32 vcc, 0, v20
	v_pk_mov_b32 v[18:19], 0, 0
	s_and_saveexec_b64 s[14:15], vcc
	s_cbranch_execz .LBB71_40
; %bb.37:                               ;   in Loop: Header=BB71_3 Depth=1
	s_mov_b64 s[16:17], 0
	v_pk_mov_b32 v[18:19], 0, 0
	s_mov_b64 s[18:19], 0
	s_mov_b64 s[20:21], 0
.LBB71_38:                              ;   Parent Loop BB71_3 Depth=1
                                        ; =>  This Inner Loop Header: Depth=2
	v_mov_b32_e32 v21, s21
	v_add_co_u32_e32 v22, vcc, s20, v8
	v_addc_co_u32_e32 v23, vcc, v9, v21, vcc
	flat_load_ubyte v21, v[22:23]
	s_add_u32 s20, s20, 1
	v_mov_b32_e32 v23, s22
	s_addc_u32 s21, s21, 0
	v_cmp_eq_u32_e32 vcc, s20, v20
	s_waitcnt vmcnt(0) lgkmcnt(0)
	v_and_b32_e32 v22, 0xffff, v21
	v_lshlrev_b64 v[22:23], s18, v[22:23]
	s_add_u32 s18, s18, 8
	s_addc_u32 s19, s19, 0
	v_or_b32_e32 v19, v23, v19
	s_or_b64 s[16:17], vcc, s[16:17]
	v_or_b32_e32 v18, v22, v18
	s_andn2_b64 exec, exec, s[16:17]
	s_cbranch_execnz .LBB71_38
; %bb.39:                               ;   in Loop: Header=BB71_3 Depth=1
	s_or_b64 exec, exec, s[16:17]
.LBB71_40:                              ;   in Loop: Header=BB71_3 Depth=1
	s_or_b64 exec, exec, s[14:15]
	s_mov_b32 s14, 0
                                        ; implicit-def: $vgpr20
.LBB71_41:                              ;   in Loop: Header=BB71_3 Depth=1
	s_or_saveexec_b64 s[4:5], s[4:5]
	v_mov_b32_e32 v22, s14
	s_xor_b64 exec, exec, s[4:5]
	s_cbranch_execz .LBB71_43
; %bb.42:                               ;   in Loop: Header=BB71_3 Depth=1
	flat_load_dwordx2 v[18:19], v[8:9]
	v_add_u32_e32 v22, -8, v20
	v_add_co_u32_e32 v8, vcc, 8, v8
	v_addc_co_u32_e32 v9, vcc, 0, v9, vcc
	s_waitcnt vmcnt(0) lgkmcnt(0)
	v_and_b32_e32 v20, 0xff, v19
	v_and_b32_e32 v21, 0xff00, v19
	;; [unrolled: 1-line block ×4, first 2 shown]
	v_or_b32_e32 v20, v20, v21
	v_or3_b32 v18, v18, 0, 0
	v_or3_b32 v19, v20, v23, v19
.LBB71_43:                              ;   in Loop: Header=BB71_3 Depth=1
	s_or_b64 exec, exec, s[4:5]
	v_cmp_gt_u32_e32 vcc, 8, v22
                                        ; implicit-def: $vgpr20_vgpr21
                                        ; implicit-def: $sgpr14
	s_and_saveexec_b64 s[4:5], vcc
	s_xor_b64 s[4:5], exec, s[4:5]
	s_cbranch_execz .LBB71_49
; %bb.44:                               ;   in Loop: Header=BB71_3 Depth=1
	v_cmp_ne_u32_e32 vcc, 0, v22
	v_pk_mov_b32 v[20:21], 0, 0
	s_and_saveexec_b64 s[14:15], vcc
	s_cbranch_execz .LBB71_48
; %bb.45:                               ;   in Loop: Header=BB71_3 Depth=1
	s_mov_b64 s[16:17], 0
	v_pk_mov_b32 v[20:21], 0, 0
	s_mov_b64 s[18:19], 0
	s_mov_b64 s[20:21], 0
.LBB71_46:                              ;   Parent Loop BB71_3 Depth=1
                                        ; =>  This Inner Loop Header: Depth=2
	v_mov_b32_e32 v23, s21
	v_add_co_u32_e32 v24, vcc, s20, v8
	v_addc_co_u32_e32 v25, vcc, v9, v23, vcc
	flat_load_ubyte v23, v[24:25]
	s_add_u32 s20, s20, 1
	v_mov_b32_e32 v25, s22
	s_addc_u32 s21, s21, 0
	v_cmp_eq_u32_e32 vcc, s20, v22
	s_waitcnt vmcnt(0) lgkmcnt(0)
	v_and_b32_e32 v24, 0xffff, v23
	v_lshlrev_b64 v[24:25], s18, v[24:25]
	s_add_u32 s18, s18, 8
	s_addc_u32 s19, s19, 0
	v_or_b32_e32 v21, v25, v21
	s_or_b64 s[16:17], vcc, s[16:17]
	v_or_b32_e32 v20, v24, v20
	s_andn2_b64 exec, exec, s[16:17]
	s_cbranch_execnz .LBB71_46
; %bb.47:                               ;   in Loop: Header=BB71_3 Depth=1
	s_or_b64 exec, exec, s[16:17]
.LBB71_48:                              ;   in Loop: Header=BB71_3 Depth=1
	s_or_b64 exec, exec, s[14:15]
	s_mov_b32 s14, 0
                                        ; implicit-def: $vgpr22
.LBB71_49:                              ;   in Loop: Header=BB71_3 Depth=1
	s_or_saveexec_b64 s[4:5], s[4:5]
	v_mov_b32_e32 v24, s14
	s_xor_b64 exec, exec, s[4:5]
	s_cbranch_execz .LBB71_51
; %bb.50:                               ;   in Loop: Header=BB71_3 Depth=1
	flat_load_dwordx2 v[20:21], v[8:9]
	v_add_u32_e32 v24, -8, v22
	v_add_co_u32_e32 v8, vcc, 8, v8
	v_addc_co_u32_e32 v9, vcc, 0, v9, vcc
	s_waitcnt vmcnt(0) lgkmcnt(0)
	v_and_b32_e32 v22, 0xff, v21
	v_and_b32_e32 v23, 0xff00, v21
	;; [unrolled: 1-line block ×4, first 2 shown]
	v_or_b32_e32 v22, v22, v23
	v_or3_b32 v20, v20, 0, 0
	v_or3_b32 v21, v22, v25, v21
.LBB71_51:                              ;   in Loop: Header=BB71_3 Depth=1
	s_or_b64 exec, exec, s[4:5]
	v_cmp_gt_u32_e32 vcc, 8, v24
	s_and_saveexec_b64 s[4:5], vcc
	s_xor_b64 s[4:5], exec, s[4:5]
	s_cbranch_execz .LBB71_57
; %bb.52:                               ;   in Loop: Header=BB71_3 Depth=1
	v_cmp_ne_u32_e32 vcc, 0, v24
	v_pk_mov_b32 v[22:23], 0, 0
	s_and_saveexec_b64 s[14:15], vcc
	s_cbranch_execz .LBB71_56
; %bb.53:                               ;   in Loop: Header=BB71_3 Depth=1
	s_mov_b64 s[16:17], 0
	v_pk_mov_b32 v[22:23], 0, 0
	s_mov_b64 s[18:19], 0
.LBB71_54:                              ;   Parent Loop BB71_3 Depth=1
                                        ; =>  This Inner Loop Header: Depth=2
	flat_load_ubyte v25, v[8:9]
	v_mov_b32_e32 v27, s22
	v_add_co_u32_e32 v8, vcc, 1, v8
	v_add_u32_e32 v24, -1, v24
	v_addc_co_u32_e32 v9, vcc, 0, v9, vcc
	v_cmp_eq_u32_e32 vcc, 0, v24
	s_waitcnt vmcnt(0) lgkmcnt(0)
	v_and_b32_e32 v26, 0xffff, v25
	v_lshlrev_b64 v[26:27], s18, v[26:27]
	s_add_u32 s18, s18, 8
	s_addc_u32 s19, s19, 0
	v_or_b32_e32 v23, v27, v23
	s_or_b64 s[16:17], vcc, s[16:17]
	v_or_b32_e32 v22, v26, v22
	s_andn2_b64 exec, exec, s[16:17]
	s_cbranch_execnz .LBB71_54
; %bb.55:                               ;   in Loop: Header=BB71_3 Depth=1
	s_or_b64 exec, exec, s[16:17]
.LBB71_56:                              ;   in Loop: Header=BB71_3 Depth=1
	s_or_b64 exec, exec, s[14:15]
                                        ; implicit-def: $vgpr8_vgpr9
.LBB71_57:                              ;   in Loop: Header=BB71_3 Depth=1
	s_andn2_saveexec_b64 s[4:5], s[4:5]
	s_cbranch_execz .LBB71_59
; %bb.58:                               ;   in Loop: Header=BB71_3 Depth=1
	flat_load_dwordx2 v[8:9], v[8:9]
	s_waitcnt vmcnt(0) lgkmcnt(0)
	v_and_b32_e32 v22, 0xff, v9
	v_and_b32_e32 v23, 0xff00, v9
	;; [unrolled: 1-line block ×4, first 2 shown]
	v_or_b32_e32 v22, v22, v23
	v_or3_b32 v23, v22, v24, v9
	v_or3_b32 v22, v8, 0, 0
.LBB71_59:                              ;   in Loop: Header=BB71_3 Depth=1
	s_or_b64 exec, exec, s[4:5]
	v_readfirstlane_b32 s4, v32
	v_cmp_eq_u32_e64 s[4:5], s4, v32
	v_pk_mov_b32 v[8:9], 0, 0
	s_and_saveexec_b64 s[14:15], s[4:5]
	s_cbranch_execz .LBB71_65
; %bb.60:                               ;   in Loop: Header=BB71_3 Depth=1
	s_waitcnt lgkmcnt(0)
	global_load_dwordx2 v[26:27], v31, s[12:13] offset:24 glc
	s_waitcnt vmcnt(0)
	buffer_invl2
	buffer_wbinvl1_vol
	global_load_dwordx2 v[8:9], v31, s[12:13] offset:40
	global_load_dwordx2 v[24:25], v31, s[12:13]
	s_waitcnt vmcnt(1)
	v_and_b32_e32 v8, v8, v26
	v_and_b32_e32 v9, v9, v27
	v_mul_lo_u32 v9, v9, 24
	v_mul_hi_u32 v29, v8, 24
	v_mul_lo_u32 v8, v8, 24
	v_add_u32_e32 v9, v29, v9
	s_waitcnt vmcnt(0)
	v_add_co_u32_e32 v8, vcc, v24, v8
	v_addc_co_u32_e32 v9, vcc, v25, v9, vcc
	global_load_dwordx2 v[24:25], v[8:9], off glc
	s_waitcnt vmcnt(0)
	global_atomic_cmpswap_x2 v[8:9], v31, v[24:27], s[12:13] offset:24 glc
	s_waitcnt vmcnt(0)
	buffer_invl2
	buffer_wbinvl1_vol
	v_cmp_ne_u64_e32 vcc, v[8:9], v[26:27]
	s_and_saveexec_b64 s[16:17], vcc
	s_cbranch_execz .LBB71_64
; %bb.61:                               ;   in Loop: Header=BB71_3 Depth=1
	s_mov_b64 s[18:19], 0
.LBB71_62:                              ;   Parent Loop BB71_3 Depth=1
                                        ; =>  This Inner Loop Header: Depth=2
	s_sleep 1
	global_load_dwordx2 v[24:25], v31, s[12:13] offset:40
	global_load_dwordx2 v[36:37], v31, s[12:13]
	v_pk_mov_b32 v[26:27], v[8:9], v[8:9] op_sel:[0,1]
	s_waitcnt vmcnt(1)
	v_and_b32_e32 v8, v24, v26
	s_waitcnt vmcnt(0)
	v_mad_u64_u32 v[8:9], s[20:21], v8, 24, v[36:37]
	v_and_b32_e32 v25, v25, v27
	v_mov_b32_e32 v24, v9
	v_mad_u64_u32 v[24:25], s[20:21], v25, 24, v[24:25]
	v_mov_b32_e32 v9, v24
	global_load_dwordx2 v[24:25], v[8:9], off glc
	s_waitcnt vmcnt(0)
	global_atomic_cmpswap_x2 v[8:9], v31, v[24:27], s[12:13] offset:24 glc
	s_waitcnt vmcnt(0)
	buffer_invl2
	buffer_wbinvl1_vol
	v_cmp_eq_u64_e32 vcc, v[8:9], v[26:27]
	s_or_b64 s[18:19], vcc, s[18:19]
	s_andn2_b64 exec, exec, s[18:19]
	s_cbranch_execnz .LBB71_62
; %bb.63:                               ;   in Loop: Header=BB71_3 Depth=1
	s_or_b64 exec, exec, s[18:19]
.LBB71_64:                              ;   in Loop: Header=BB71_3 Depth=1
	s_or_b64 exec, exec, s[16:17]
.LBB71_65:                              ;   in Loop: Header=BB71_3 Depth=1
	s_or_b64 exec, exec, s[14:15]
	s_waitcnt lgkmcnt(0)
	global_load_dwordx2 v[36:37], v31, s[12:13] offset:40
	global_load_dwordx4 v[24:27], v31, s[12:13]
	v_readfirstlane_b32 s14, v8
	v_readfirstlane_b32 s15, v9
	s_mov_b64 s[16:17], exec
	s_waitcnt vmcnt(1)
	v_readfirstlane_b32 s18, v36
	v_readfirstlane_b32 s19, v37
	s_and_b64 s[18:19], s[14:15], s[18:19]
	s_mul_i32 s20, s19, 24
	s_mul_hi_u32 s21, s18, 24
	s_mul_i32 s24, s18, 24
	s_add_i32 s20, s21, s20
	v_mov_b32_e32 v8, s20
	s_waitcnt vmcnt(0)
	v_add_co_u32_e32 v36, vcc, s24, v24
	v_addc_co_u32_e32 v37, vcc, v25, v8, vcc
	s_and_saveexec_b64 s[20:21], s[4:5]
	s_cbranch_execz .LBB71_67
; %bb.66:                               ;   in Loop: Header=BB71_3 Depth=1
	v_pk_mov_b32 v[8:9], s[16:17], s[16:17] op_sel:[0,1]
	global_store_dwordx4 v[36:37], v[8:11], off offset:8
.LBB71_67:                              ;   in Loop: Header=BB71_3 Depth=1
	s_or_b64 exec, exec, s[20:21]
	s_lshl_b64 s[16:17], s[18:19], 12
	v_mov_b32_e32 v9, s17
	v_add_co_u32_e32 v8, vcc, s16, v26
	v_addc_co_u32_e32 v9, vcc, v27, v9, vcc
	v_or_b32_e32 v26, 0, v1
	v_cmp_lt_u64_e32 vcc, 56, v[4:5]
	v_or_b32_e32 v27, v0, v28
	v_cndmask_b32_e32 v1, v26, v1, vcc
	v_lshl_add_u32 v26, v34, 2, 28
	v_cndmask_b32_e32 v0, v27, v0, vcc
	v_and_b32_e32 v26, 0x1e0, v26
	v_and_or_b32 v0, v0, s23, v26
	v_lshlrev_b32_e32 v26, 6, v32
	v_readfirstlane_b32 s16, v8
	v_readfirstlane_b32 s17, v9
	s_nop 4
	global_store_dwordx4 v26, v[0:3], s[16:17]
	global_store_dwordx4 v26, v[12:15], s[16:17] offset:16
	global_store_dwordx4 v26, v[16:19], s[16:17] offset:32
	;; [unrolled: 1-line block ×3, first 2 shown]
	s_and_saveexec_b64 s[16:17], s[4:5]
	s_cbranch_execz .LBB71_75
; %bb.68:                               ;   in Loop: Header=BB71_3 Depth=1
	global_load_dwordx2 v[16:17], v31, s[12:13] offset:32 glc
	global_load_dwordx2 v[0:1], v31, s[12:13] offset:40
	v_mov_b32_e32 v14, s14
	v_mov_b32_e32 v15, s15
	s_waitcnt vmcnt(0)
	v_readfirstlane_b32 s18, v0
	v_readfirstlane_b32 s19, v1
	s_and_b64 s[18:19], s[18:19], s[14:15]
	s_mul_i32 s19, s19, 24
	s_mul_hi_u32 s20, s18, 24
	s_mul_i32 s18, s18, 24
	s_add_i32 s19, s20, s19
	v_mov_b32_e32 v0, s19
	v_add_co_u32_e32 v12, vcc, s18, v24
	v_addc_co_u32_e32 v13, vcc, v25, v0, vcc
	global_store_dwordx2 v[12:13], v[16:17], off
	buffer_wbl2
	s_waitcnt vmcnt(0)
	global_atomic_cmpswap_x2 v[2:3], v31, v[14:17], s[12:13] offset:32 glc
	s_waitcnt vmcnt(0)
	v_cmp_ne_u64_e32 vcc, v[2:3], v[16:17]
	s_and_saveexec_b64 s[18:19], vcc
	s_cbranch_execz .LBB71_71
; %bb.69:                               ;   in Loop: Header=BB71_3 Depth=1
	s_mov_b64 s[20:21], 0
.LBB71_70:                              ;   Parent Loop BB71_3 Depth=1
                                        ; =>  This Inner Loop Header: Depth=2
	s_sleep 1
	global_store_dwordx2 v[12:13], v[2:3], off
	v_mov_b32_e32 v0, s14
	v_mov_b32_e32 v1, s15
	buffer_wbl2
	s_waitcnt vmcnt(0)
	global_atomic_cmpswap_x2 v[0:1], v31, v[0:3], s[12:13] offset:32 glc
	s_waitcnt vmcnt(0)
	v_cmp_eq_u64_e32 vcc, v[0:1], v[2:3]
	s_or_b64 s[20:21], vcc, s[20:21]
	v_pk_mov_b32 v[2:3], v[0:1], v[0:1] op_sel:[0,1]
	s_andn2_b64 exec, exec, s[20:21]
	s_cbranch_execnz .LBB71_70
.LBB71_71:                              ;   in Loop: Header=BB71_3 Depth=1
	s_or_b64 exec, exec, s[18:19]
	global_load_dwordx2 v[0:1], v31, s[12:13] offset:16
	s_mov_b64 s[20:21], exec
	v_mbcnt_lo_u32_b32 v2, s20, 0
	v_mbcnt_hi_u32_b32 v2, s21, v2
	v_cmp_eq_u32_e32 vcc, 0, v2
	s_and_saveexec_b64 s[18:19], vcc
	s_cbranch_execz .LBB71_73
; %bb.72:                               ;   in Loop: Header=BB71_3 Depth=1
	s_bcnt1_i32_b64 s20, s[20:21]
	v_mov_b32_e32 v30, s20
	buffer_wbl2
	s_waitcnt vmcnt(0)
	global_atomic_add_x2 v[0:1], v[30:31], off offset:8
.LBB71_73:                              ;   in Loop: Header=BB71_3 Depth=1
	s_or_b64 exec, exec, s[18:19]
	s_waitcnt vmcnt(0)
	global_load_dwordx2 v[2:3], v[0:1], off offset:16
	s_waitcnt vmcnt(0)
	v_cmp_eq_u64_e32 vcc, 0, v[2:3]
	s_cbranch_vccnz .LBB71_75
; %bb.74:                               ;   in Loop: Header=BB71_3 Depth=1
	global_load_dword v30, v[0:1], off offset:24
	s_waitcnt vmcnt(0)
	v_and_b32_e32 v0, 0xffffff, v30
	v_readfirstlane_b32 m0, v0
	buffer_wbl2
	global_store_dwordx2 v[2:3], v[30:31], off
	s_sendmsg sendmsg(MSG_INTERRUPT)
.LBB71_75:                              ;   in Loop: Header=BB71_3 Depth=1
	s_or_b64 exec, exec, s[16:17]
	v_add_co_u32_e32 v0, vcc, v8, v26
	v_addc_co_u32_e32 v1, vcc, 0, v9, vcc
	s_branch .LBB71_79
.LBB71_76:                              ;   in Loop: Header=BB71_79 Depth=2
	s_or_b64 exec, exec, s[16:17]
	v_readfirstlane_b32 s16, v2
	s_cmp_eq_u32 s16, 0
	s_cbranch_scc1 .LBB71_78
; %bb.77:                               ;   in Loop: Header=BB71_79 Depth=2
	s_sleep 1
	s_cbranch_execnz .LBB71_79
	s_branch .LBB71_81
.LBB71_78:                              ;   in Loop: Header=BB71_3 Depth=1
	s_branch .LBB71_81
.LBB71_79:                              ;   Parent Loop BB71_3 Depth=1
                                        ; =>  This Inner Loop Header: Depth=2
	v_mov_b32_e32 v2, 1
	s_and_saveexec_b64 s[16:17], s[4:5]
	s_cbranch_execz .LBB71_76
; %bb.80:                               ;   in Loop: Header=BB71_79 Depth=2
	global_load_dword v2, v[36:37], off offset:20 glc
	s_waitcnt vmcnt(0)
	buffer_invl2
	buffer_wbinvl1_vol
	v_and_b32_e32 v2, 1, v2
	s_branch .LBB71_76
.LBB71_81:                              ;   in Loop: Header=BB71_3 Depth=1
	global_load_dwordx4 v[0:3], v[0:1], off
	s_and_saveexec_b64 s[16:17], s[4:5]
	s_cbranch_execz .LBB71_2
; %bb.82:                               ;   in Loop: Header=BB71_3 Depth=1
	global_load_dwordx2 v[2:3], v31, s[12:13] offset:40
	global_load_dwordx2 v[8:9], v31, s[12:13] offset:24 glc
	global_load_dwordx2 v[16:17], v31, s[12:13]
	v_mov_b32_e32 v13, s15
	s_waitcnt vmcnt(2)
	v_add_co_u32_e32 v15, vcc, 1, v2
	v_addc_co_u32_e32 v18, vcc, 0, v3, vcc
	v_add_co_u32_e32 v12, vcc, s14, v15
	v_addc_co_u32_e32 v13, vcc, v18, v13, vcc
	v_cmp_eq_u64_e32 vcc, 0, v[12:13]
	v_cndmask_b32_e32 v13, v13, v18, vcc
	v_cndmask_b32_e32 v12, v12, v15, vcc
	v_and_b32_e32 v3, v13, v3
	v_and_b32_e32 v2, v12, v2
	v_mul_lo_u32 v3, v3, 24
	v_mul_hi_u32 v15, v2, 24
	v_mul_lo_u32 v2, v2, 24
	v_add_u32_e32 v3, v15, v3
	s_waitcnt vmcnt(0)
	v_add_co_u32_e32 v2, vcc, v16, v2
	v_addc_co_u32_e32 v3, vcc, v17, v3, vcc
	v_mov_b32_e32 v14, v8
	global_store_dwordx2 v[2:3], v[8:9], off
	v_mov_b32_e32 v15, v9
	buffer_wbl2
	s_waitcnt vmcnt(0)
	global_atomic_cmpswap_x2 v[14:15], v31, v[12:15], s[12:13] offset:24 glc
	s_waitcnt vmcnt(0)
	v_cmp_ne_u64_e32 vcc, v[14:15], v[8:9]
	s_and_b64 exec, exec, vcc
	s_cbranch_execz .LBB71_2
; %bb.83:                               ;   in Loop: Header=BB71_3 Depth=1
	s_mov_b64 s[4:5], 0
.LBB71_84:                              ;   Parent Loop BB71_3 Depth=1
                                        ; =>  This Inner Loop Header: Depth=2
	s_sleep 1
	global_store_dwordx2 v[2:3], v[14:15], off
	buffer_wbl2
	s_waitcnt vmcnt(0)
	global_atomic_cmpswap_x2 v[8:9], v31, v[12:15], s[12:13] offset:24 glc
	s_waitcnt vmcnt(0)
	v_cmp_eq_u64_e32 vcc, v[8:9], v[14:15]
	s_or_b64 s[4:5], vcc, s[4:5]
	v_pk_mov_b32 v[14:15], v[8:9], v[8:9] op_sel:[0,1]
	s_andn2_b64 exec, exec, s[4:5]
	s_cbranch_execnz .LBB71_84
	s_branch .LBB71_2
.LBB71_85:
	s_or_b64 exec, exec, s[6:7]
                                        ; implicit-def: $vgpr3
                                        ; implicit-def: $vgpr2
.LBB71_86:
	s_andn2_saveexec_b64 s[6:7], s[10:11]
	s_cbranch_execz .LBB71_109
; %bb.87:
	s_load_dwordx2 s[8:9], s[8:9], 0x50
	s_waitcnt vmcnt(0)
	v_mbcnt_hi_u32_b32 v10, -1, v2
	v_readfirstlane_b32 s4, v10
	v_cmp_eq_u32_e64 s[4:5], s4, v10
	v_pk_mov_b32 v[8:9], 0, 0
	s_and_saveexec_b64 s[10:11], s[4:5]
	s_cbranch_execz .LBB71_93
; %bb.88:
	v_mov_b32_e32 v0, 0
	s_waitcnt lgkmcnt(0)
	global_load_dwordx2 v[6:7], v0, s[8:9] offset:24 glc
	s_waitcnt vmcnt(0)
	buffer_invl2
	buffer_wbinvl1_vol
	global_load_dwordx2 v[4:5], v0, s[8:9] offset:40
	global_load_dwordx2 v[8:9], v0, s[8:9]
	s_waitcnt vmcnt(1)
	v_and_b32_e32 v2, v4, v6
	v_and_b32_e32 v4, v5, v7
	v_mul_lo_u32 v4, v4, 24
	v_mul_hi_u32 v5, v2, 24
	v_mul_lo_u32 v2, v2, 24
	v_add_u32_e32 v5, v5, v4
	s_waitcnt vmcnt(0)
	v_add_co_u32_e32 v4, vcc, v8, v2
	v_addc_co_u32_e32 v5, vcc, v9, v5, vcc
	global_load_dwordx2 v[4:5], v[4:5], off glc
	s_waitcnt vmcnt(0)
	global_atomic_cmpswap_x2 v[8:9], v0, v[4:7], s[8:9] offset:24 glc
	s_waitcnt vmcnt(0)
	buffer_invl2
	buffer_wbinvl1_vol
	v_cmp_ne_u64_e32 vcc, v[8:9], v[6:7]
	s_and_saveexec_b64 s[12:13], vcc
	s_cbranch_execz .LBB71_92
; %bb.89:
	s_mov_b64 s[14:15], 0
.LBB71_90:                              ; =>This Inner Loop Header: Depth=1
	s_sleep 1
	global_load_dwordx2 v[4:5], v0, s[8:9] offset:40
	global_load_dwordx2 v[12:13], v0, s[8:9]
	v_pk_mov_b32 v[6:7], v[8:9], v[8:9] op_sel:[0,1]
	s_waitcnt vmcnt(1)
	v_and_b32_e32 v2, v4, v6
	v_and_b32_e32 v8, v5, v7
	s_waitcnt vmcnt(0)
	v_mad_u64_u32 v[4:5], s[16:17], v2, 24, v[12:13]
	v_mov_b32_e32 v2, v5
	v_mad_u64_u32 v[8:9], s[16:17], v8, 24, v[2:3]
	v_mov_b32_e32 v5, v8
	global_load_dwordx2 v[4:5], v[4:5], off glc
	s_waitcnt vmcnt(0)
	global_atomic_cmpswap_x2 v[8:9], v0, v[4:7], s[8:9] offset:24 glc
	s_waitcnt vmcnt(0)
	buffer_invl2
	buffer_wbinvl1_vol
	v_cmp_eq_u64_e32 vcc, v[8:9], v[6:7]
	s_or_b64 s[14:15], vcc, s[14:15]
	s_andn2_b64 exec, exec, s[14:15]
	s_cbranch_execnz .LBB71_90
; %bb.91:
	s_or_b64 exec, exec, s[14:15]
.LBB71_92:
	s_or_b64 exec, exec, s[12:13]
.LBB71_93:
	s_or_b64 exec, exec, s[10:11]
	v_mov_b32_e32 v2, 0
	s_waitcnt lgkmcnt(0)
	global_load_dwordx2 v[12:13], v2, s[8:9] offset:40
	global_load_dwordx4 v[4:7], v2, s[8:9]
	v_readfirstlane_b32 s10, v8
	v_readfirstlane_b32 s11, v9
	s_mov_b64 s[12:13], exec
	s_waitcnt vmcnt(1)
	v_readfirstlane_b32 s14, v12
	v_readfirstlane_b32 s15, v13
	s_and_b64 s[14:15], s[10:11], s[14:15]
	s_mul_i32 s16, s15, 24
	s_mul_hi_u32 s17, s14, 24
	s_mul_i32 s18, s14, 24
	s_add_i32 s16, s17, s16
	v_mov_b32_e32 v0, s16
	s_waitcnt vmcnt(0)
	v_add_co_u32_e32 v8, vcc, s18, v4
	v_addc_co_u32_e32 v9, vcc, v5, v0, vcc
	s_and_saveexec_b64 s[16:17], s[4:5]
	s_cbranch_execz .LBB71_95
; %bb.94:
	v_pk_mov_b32 v[12:13], s[12:13], s[12:13] op_sel:[0,1]
	v_mov_b32_e32 v14, 2
	v_mov_b32_e32 v15, 1
	global_store_dwordx4 v[8:9], v[12:15], off offset:8
.LBB71_95:
	s_or_b64 exec, exec, s[16:17]
	s_lshl_b64 s[12:13], s[14:15], 12
	v_mov_b32_e32 v0, s13
	v_add_co_u32_e32 v12, vcc, s12, v6
	s_movk_i32 s12, 0xff1f
	v_addc_co_u32_e32 v11, vcc, v7, v0, vcc
	v_and_or_b32 v0, v3, s12, 32
	s_mov_b32 s12, 0
	v_lshlrev_b32_e32 v10, 6, v10
	v_mov_b32_e32 v3, v2
	v_readfirstlane_b32 s16, v12
	v_readfirstlane_b32 s17, v11
	s_mov_b32 s13, s12
	v_add_co_u32_e32 v6, vcc, v12, v10
	s_mov_b32 s14, s12
	s_mov_b32 s15, s12
	s_nop 0
	global_store_dwordx4 v10, v[0:3], s[16:17]
	v_addc_co_u32_e32 v7, vcc, 0, v11, vcc
	v_pk_mov_b32 v[0:1], s[12:13], s[12:13] op_sel:[0,1]
	v_pk_mov_b32 v[2:3], s[14:15], s[14:15] op_sel:[0,1]
	global_store_dwordx4 v10, v[0:3], s[16:17] offset:16
	global_store_dwordx4 v10, v[0:3], s[16:17] offset:32
	;; [unrolled: 1-line block ×3, first 2 shown]
	s_and_saveexec_b64 s[12:13], s[4:5]
	s_cbranch_execz .LBB71_103
; %bb.96:
	v_mov_b32_e32 v10, 0
	global_load_dwordx2 v[14:15], v10, s[8:9] offset:32 glc
	global_load_dwordx2 v[0:1], v10, s[8:9] offset:40
	v_mov_b32_e32 v12, s10
	v_mov_b32_e32 v13, s11
	s_waitcnt vmcnt(0)
	v_and_b32_e32 v0, s10, v0
	v_and_b32_e32 v1, s11, v1
	v_mul_lo_u32 v1, v1, 24
	v_mul_hi_u32 v2, v0, 24
	v_mul_lo_u32 v0, v0, 24
	v_add_u32_e32 v1, v2, v1
	v_add_co_u32_e32 v4, vcc, v4, v0
	v_addc_co_u32_e32 v5, vcc, v5, v1, vcc
	global_store_dwordx2 v[4:5], v[14:15], off
	buffer_wbl2
	s_waitcnt vmcnt(0)
	global_atomic_cmpswap_x2 v[2:3], v10, v[12:15], s[8:9] offset:32 glc
	s_waitcnt vmcnt(0)
	v_cmp_ne_u64_e32 vcc, v[2:3], v[14:15]
	s_and_saveexec_b64 s[14:15], vcc
	s_cbranch_execz .LBB71_99
; %bb.97:
	s_mov_b64 s[16:17], 0
.LBB71_98:                              ; =>This Inner Loop Header: Depth=1
	s_sleep 1
	global_store_dwordx2 v[4:5], v[2:3], off
	v_mov_b32_e32 v0, s10
	v_mov_b32_e32 v1, s11
	buffer_wbl2
	s_waitcnt vmcnt(0)
	global_atomic_cmpswap_x2 v[0:1], v10, v[0:3], s[8:9] offset:32 glc
	s_waitcnt vmcnt(0)
	v_cmp_eq_u64_e32 vcc, v[0:1], v[2:3]
	s_or_b64 s[16:17], vcc, s[16:17]
	v_pk_mov_b32 v[2:3], v[0:1], v[0:1] op_sel:[0,1]
	s_andn2_b64 exec, exec, s[16:17]
	s_cbranch_execnz .LBB71_98
.LBB71_99:
	s_or_b64 exec, exec, s[14:15]
	v_mov_b32_e32 v3, 0
	global_load_dwordx2 v[0:1], v3, s[8:9] offset:16
	s_mov_b64 s[14:15], exec
	v_mbcnt_lo_u32_b32 v2, s14, 0
	v_mbcnt_hi_u32_b32 v2, s15, v2
	v_cmp_eq_u32_e32 vcc, 0, v2
	s_and_saveexec_b64 s[16:17], vcc
	s_cbranch_execz .LBB71_101
; %bb.100:
	s_bcnt1_i32_b64 s14, s[14:15]
	v_mov_b32_e32 v2, s14
	buffer_wbl2
	s_waitcnt vmcnt(0)
	global_atomic_add_x2 v[0:1], v[2:3], off offset:8
.LBB71_101:
	s_or_b64 exec, exec, s[16:17]
	s_waitcnt vmcnt(0)
	global_load_dwordx2 v[2:3], v[0:1], off offset:16
	s_waitcnt vmcnt(0)
	v_cmp_eq_u64_e32 vcc, 0, v[2:3]
	s_cbranch_vccnz .LBB71_103
; %bb.102:
	global_load_dword v0, v[0:1], off offset:24
	v_mov_b32_e32 v1, 0
	buffer_wbl2
	s_waitcnt vmcnt(0)
	global_store_dwordx2 v[2:3], v[0:1], off
	v_and_b32_e32 v0, 0xffffff, v0
	v_readfirstlane_b32 m0, v0
	s_sendmsg sendmsg(MSG_INTERRUPT)
.LBB71_103:
	s_or_b64 exec, exec, s[12:13]
	s_branch .LBB71_107
.LBB71_104:                             ;   in Loop: Header=BB71_107 Depth=1
	s_or_b64 exec, exec, s[12:13]
	v_readfirstlane_b32 s12, v0
	s_cmp_eq_u32 s12, 0
	s_cbranch_scc1 .LBB71_106
; %bb.105:                              ;   in Loop: Header=BB71_107 Depth=1
	s_sleep 1
	s_cbranch_execnz .LBB71_107
	s_branch .LBB71_110
.LBB71_106:
	s_branch .LBB71_110
.LBB71_107:                             ; =>This Inner Loop Header: Depth=1
	v_mov_b32_e32 v0, 1
	s_and_saveexec_b64 s[12:13], s[4:5]
	s_cbranch_execz .LBB71_104
; %bb.108:                              ;   in Loop: Header=BB71_107 Depth=1
	global_load_dword v0, v[8:9], off offset:20 glc
	s_waitcnt vmcnt(0)
	buffer_invl2
	buffer_wbinvl1_vol
	v_and_b32_e32 v0, 1, v0
	s_branch .LBB71_104
.LBB71_109:
	s_or_b64 exec, exec, s[6:7]
	s_waitcnt vmcnt(0) lgkmcnt(0)
	s_setpc_b64 s[30:31]
.LBB71_110:
	global_load_dwordx2 v[0:1], v[6:7], off
	s_and_saveexec_b64 s[12:13], s[4:5]
	s_cbranch_execz .LBB71_113
; %bb.111:
	v_mov_b32_e32 v8, 0
	global_load_dwordx2 v[6:7], v8, s[8:9] offset:40
	global_load_dwordx2 v[10:11], v8, s[8:9] offset:24 glc
	global_load_dwordx2 v[12:13], v8, s[8:9]
	v_mov_b32_e32 v3, s11
	s_mov_b64 s[4:5], 0
	s_waitcnt vmcnt(2)
	v_add_co_u32_e32 v5, vcc, 1, v6
	v_addc_co_u32_e32 v9, vcc, 0, v7, vcc
	v_add_co_u32_e32 v2, vcc, s10, v5
	v_addc_co_u32_e32 v3, vcc, v9, v3, vcc
	v_cmp_eq_u64_e32 vcc, 0, v[2:3]
	v_cndmask_b32_e32 v3, v3, v9, vcc
	v_cndmask_b32_e32 v2, v2, v5, vcc
	v_and_b32_e32 v5, v3, v7
	v_and_b32_e32 v6, v2, v6
	v_mul_lo_u32 v5, v5, 24
	v_mul_hi_u32 v7, v6, 24
	v_mul_lo_u32 v6, v6, 24
	v_add_u32_e32 v5, v7, v5
	s_waitcnt vmcnt(0)
	v_add_co_u32_e32 v6, vcc, v12, v6
	v_addc_co_u32_e32 v7, vcc, v13, v5, vcc
	v_mov_b32_e32 v4, v10
	global_store_dwordx2 v[6:7], v[10:11], off
	v_mov_b32_e32 v5, v11
	buffer_wbl2
	s_waitcnt vmcnt(0)
	global_atomic_cmpswap_x2 v[4:5], v8, v[2:5], s[8:9] offset:24 glc
	s_waitcnt vmcnt(0)
	v_cmp_ne_u64_e32 vcc, v[4:5], v[10:11]
	s_and_b64 exec, exec, vcc
	s_cbranch_execz .LBB71_113
.LBB71_112:                             ; =>This Inner Loop Header: Depth=1
	s_sleep 1
	global_store_dwordx2 v[6:7], v[4:5], off
	buffer_wbl2
	s_waitcnt vmcnt(0)
	global_atomic_cmpswap_x2 v[10:11], v8, v[2:5], s[8:9] offset:24 glc
	s_waitcnt vmcnt(0)
	v_cmp_eq_u64_e32 vcc, v[10:11], v[4:5]
	s_or_b64 s[4:5], vcc, s[4:5]
	v_pk_mov_b32 v[4:5], v[10:11], v[10:11] op_sel:[0,1]
	s_andn2_b64 exec, exec, s[4:5]
	s_cbranch_execnz .LBB71_112
.LBB71_113:
	s_or_b64 exec, exec, s[12:13]
	s_or_b64 exec, exec, s[6:7]
	s_waitcnt vmcnt(0) lgkmcnt(0)
	s_setpc_b64 s[30:31]
.Lfunc_end71:
	.size	__ockl_printf_append_string_n, .Lfunc_end71-__ockl_printf_append_string_n
                                        ; -- End function
	.section	.AMDGPU.csdata,"",@progbits
; Function info:
; codeLenInByte = 4376
; NumSgprs: 36
; NumVgprs: 38
; NumAgprs: 0
; TotalNumVgprs: 38
; ScratchSize: 0
; MemoryBound: 0
	.text
	.p2align	2                               ; -- Begin function __ockl_printf_append_args
	.type	__ockl_printf_append_args,@function
__ockl_printf_append_args:              ; @__ockl_printf_append_args
; %bb.0:
	s_waitcnt vmcnt(0) expcnt(0) lgkmcnt(0)
	s_load_dwordx2 s[6:7], s[8:9], 0x50
	v_mbcnt_lo_u32_b32 v5, -1, 0
	v_mbcnt_hi_u32_b32 v5, -1, v5
	v_readfirstlane_b32 s4, v5
	v_cmp_eq_u32_e64 s[4:5], s4, v5
	v_pk_mov_b32 v[10:11], 0, 0
	s_and_saveexec_b64 s[8:9], s[4:5]
	s_cbranch_execz .LBB72_6
; %bb.1:
	v_mov_b32_e32 v6, 0
	s_waitcnt lgkmcnt(0)
	global_load_dwordx2 v[12:13], v6, s[6:7] offset:24 glc
	s_waitcnt vmcnt(0)
	buffer_invl2
	buffer_wbinvl1_vol
	global_load_dwordx2 v[8:9], v6, s[6:7] offset:40
	global_load_dwordx2 v[10:11], v6, s[6:7]
	s_waitcnt vmcnt(1)
	v_and_b32_e32 v7, v8, v12
	v_and_b32_e32 v8, v9, v13
	v_mul_lo_u32 v8, v8, 24
	v_mul_hi_u32 v9, v7, 24
	v_mul_lo_u32 v7, v7, 24
	v_add_u32_e32 v9, v9, v8
	s_waitcnt vmcnt(0)
	v_add_co_u32_e32 v8, vcc, v10, v7
	v_addc_co_u32_e32 v9, vcc, v11, v9, vcc
	global_load_dwordx2 v[10:11], v[8:9], off glc
	s_waitcnt vmcnt(0)
	global_atomic_cmpswap_x2 v[10:11], v6, v[10:13], s[6:7] offset:24 glc
	s_waitcnt vmcnt(0)
	buffer_invl2
	buffer_wbinvl1_vol
	v_cmp_ne_u64_e32 vcc, v[10:11], v[12:13]
	s_and_saveexec_b64 s[10:11], vcc
	s_cbranch_execz .LBB72_5
; %bb.2:
	s_mov_b64 s[12:13], 0
.LBB72_3:                               ; =>This Inner Loop Header: Depth=1
	s_sleep 1
	global_load_dwordx2 v[8:9], v6, s[6:7] offset:40
	global_load_dwordx2 v[14:15], v6, s[6:7]
	v_pk_mov_b32 v[12:13], v[10:11], v[10:11] op_sel:[0,1]
	s_waitcnt vmcnt(1)
	v_and_b32_e32 v8, v8, v12
	v_and_b32_e32 v7, v9, v13
	s_waitcnt vmcnt(0)
	v_mad_u64_u32 v[8:9], s[14:15], v8, 24, v[14:15]
	v_mov_b32_e32 v10, v9
	v_mad_u64_u32 v[10:11], s[14:15], v7, 24, v[10:11]
	v_mov_b32_e32 v9, v10
	global_load_dwordx2 v[10:11], v[8:9], off glc
	s_waitcnt vmcnt(0)
	global_atomic_cmpswap_x2 v[10:11], v6, v[10:13], s[6:7] offset:24 glc
	s_waitcnt vmcnt(0)
	buffer_invl2
	buffer_wbinvl1_vol
	v_cmp_eq_u64_e32 vcc, v[10:11], v[12:13]
	s_or_b64 s[12:13], vcc, s[12:13]
	s_andn2_b64 exec, exec, s[12:13]
	s_cbranch_execnz .LBB72_3
; %bb.4:
	s_or_b64 exec, exec, s[12:13]
.LBB72_5:
	s_or_b64 exec, exec, s[10:11]
.LBB72_6:
	s_or_b64 exec, exec, s[8:9]
	v_mov_b32_e32 v14, 0
	s_waitcnt lgkmcnt(0)
	global_load_dwordx2 v[12:13], v14, s[6:7] offset:40
	global_load_dwordx4 v[6:9], v14, s[6:7]
	v_readfirstlane_b32 s8, v10
	v_readfirstlane_b32 s9, v11
	s_mov_b64 s[10:11], exec
	s_waitcnt vmcnt(1)
	v_readfirstlane_b32 s12, v12
	v_readfirstlane_b32 s13, v13
	s_and_b64 s[12:13], s[8:9], s[12:13]
	s_mul_i32 s14, s13, 24
	s_mul_hi_u32 s15, s12, 24
	s_mul_i32 s16, s12, 24
	s_add_i32 s14, s15, s14
	v_mov_b32_e32 v11, s14
	s_waitcnt vmcnt(0)
	v_add_co_u32_e32 v10, vcc, s16, v6
	v_addc_co_u32_e32 v11, vcc, v7, v11, vcc
	s_and_saveexec_b64 s[14:15], s[4:5]
	s_cbranch_execz .LBB72_8
; %bb.7:
	v_pk_mov_b32 v[12:13], s[10:11], s[10:11] op_sel:[0,1]
	v_mov_b32_e32 v14, 2
	v_mov_b32_e32 v15, 1
	global_store_dwordx4 v[10:11], v[12:15], off offset:8
.LBB72_8:
	s_or_b64 exec, exec, s[14:15]
	s_lshl_b64 s[10:11], s[12:13], 12
	v_mov_b32_e32 v12, s11
	v_add_co_u32_e32 v8, vcc, s10, v8
	v_addc_co_u32_e32 v9, vcc, v9, v12, vcc
	v_or_b32_e32 v12, 2, v0
	v_cmp_eq_u32_e32 vcc, 0, v4
	s_mov_b32 s12, 0
	v_cndmask_b32_e32 v0, v12, v0, vcc
	s_movk_i32 s10, 0xff1f
	v_and_or_b32 v0, v0, s10, 32
	v_lshlrev_b32_e32 v4, 6, v5
	v_readfirstlane_b32 s10, v8
	v_readfirstlane_b32 s11, v9
	s_mov_b32 s13, s12
	s_mov_b32 s14, s12
	;; [unrolled: 1-line block ×3, first 2 shown]
	s_nop 1
	global_store_dwordx4 v4, v[0:3], s[10:11]
	s_nop 0
	v_pk_mov_b32 v[0:1], s[12:13], s[12:13] op_sel:[0,1]
	v_pk_mov_b32 v[2:3], s[14:15], s[14:15] op_sel:[0,1]
	global_store_dwordx4 v4, v[0:3], s[10:11] offset:16
	global_store_dwordx4 v4, v[0:3], s[10:11] offset:32
	;; [unrolled: 1-line block ×3, first 2 shown]
	s_and_saveexec_b64 s[10:11], s[4:5]
	s_cbranch_execz .LBB72_16
; %bb.9:
	v_mov_b32_e32 v8, 0
	global_load_dwordx2 v[14:15], v8, s[6:7] offset:32 glc
	global_load_dwordx2 v[0:1], v8, s[6:7] offset:40
	v_mov_b32_e32 v12, s8
	v_mov_b32_e32 v13, s9
	s_waitcnt vmcnt(0)
	v_and_b32_e32 v0, s8, v0
	v_and_b32_e32 v1, s9, v1
	v_mul_lo_u32 v1, v1, 24
	v_mul_hi_u32 v2, v0, 24
	v_mul_lo_u32 v0, v0, 24
	v_add_u32_e32 v1, v2, v1
	v_add_co_u32_e32 v4, vcc, v6, v0
	v_addc_co_u32_e32 v5, vcc, v7, v1, vcc
	global_store_dwordx2 v[4:5], v[14:15], off
	buffer_wbl2
	s_waitcnt vmcnt(0)
	global_atomic_cmpswap_x2 v[2:3], v8, v[12:15], s[6:7] offset:32 glc
	s_waitcnt vmcnt(0)
	v_cmp_ne_u64_e32 vcc, v[2:3], v[14:15]
	s_and_saveexec_b64 s[12:13], vcc
	s_cbranch_execz .LBB72_12
; %bb.10:
	s_mov_b64 s[14:15], 0
.LBB72_11:                              ; =>This Inner Loop Header: Depth=1
	s_sleep 1
	global_store_dwordx2 v[4:5], v[2:3], off
	v_mov_b32_e32 v0, s8
	v_mov_b32_e32 v1, s9
	buffer_wbl2
	s_waitcnt vmcnt(0)
	global_atomic_cmpswap_x2 v[0:1], v8, v[0:3], s[6:7] offset:32 glc
	s_waitcnt vmcnt(0)
	v_cmp_eq_u64_e32 vcc, v[0:1], v[2:3]
	s_or_b64 s[14:15], vcc, s[14:15]
	v_pk_mov_b32 v[2:3], v[0:1], v[0:1] op_sel:[0,1]
	s_andn2_b64 exec, exec, s[14:15]
	s_cbranch_execnz .LBB72_11
.LBB72_12:
	s_or_b64 exec, exec, s[12:13]
	v_mov_b32_e32 v3, 0
	global_load_dwordx2 v[0:1], v3, s[6:7] offset:16
	s_mov_b64 s[12:13], exec
	v_mbcnt_lo_u32_b32 v2, s12, 0
	v_mbcnt_hi_u32_b32 v2, s13, v2
	v_cmp_eq_u32_e32 vcc, 0, v2
	s_and_saveexec_b64 s[14:15], vcc
	s_cbranch_execz .LBB72_14
; %bb.13:
	s_bcnt1_i32_b64 s12, s[12:13]
	v_mov_b32_e32 v2, s12
	buffer_wbl2
	s_waitcnt vmcnt(0)
	global_atomic_add_x2 v[0:1], v[2:3], off offset:8
.LBB72_14:
	s_or_b64 exec, exec, s[14:15]
	s_waitcnt vmcnt(0)
	global_load_dwordx2 v[2:3], v[0:1], off offset:16
	s_waitcnt vmcnt(0)
	v_cmp_eq_u64_e32 vcc, 0, v[2:3]
	s_cbranch_vccnz .LBB72_16
; %bb.15:
	global_load_dword v0, v[0:1], off offset:24
	v_mov_b32_e32 v1, 0
	buffer_wbl2
	s_waitcnt vmcnt(0)
	global_store_dwordx2 v[2:3], v[0:1], off
	v_and_b32_e32 v0, 0xffffff, v0
	v_readfirstlane_b32 m0, v0
	s_sendmsg sendmsg(MSG_INTERRUPT)
.LBB72_16:
	s_or_b64 exec, exec, s[10:11]
	s_branch .LBB72_20
.LBB72_17:                              ;   in Loop: Header=BB72_20 Depth=1
	s_or_b64 exec, exec, s[10:11]
	v_readfirstlane_b32 s10, v0
	s_cmp_eq_u32 s10, 0
	s_cbranch_scc1 .LBB72_19
; %bb.18:                               ;   in Loop: Header=BB72_20 Depth=1
	s_sleep 1
	s_cbranch_execnz .LBB72_20
	s_branch .LBB72_22
.LBB72_19:
	s_branch .LBB72_22
.LBB72_20:                              ; =>This Inner Loop Header: Depth=1
	v_mov_b32_e32 v0, 1
	s_and_saveexec_b64 s[10:11], s[4:5]
	s_cbranch_execz .LBB72_17
; %bb.21:                               ;   in Loop: Header=BB72_20 Depth=1
	global_load_dword v0, v[10:11], off offset:20 glc
	s_waitcnt vmcnt(0)
	buffer_invl2
	buffer_wbinvl1_vol
	v_and_b32_e32 v0, 1, v0
	s_branch .LBB72_17
.LBB72_22:
	s_and_saveexec_b64 s[10:11], s[4:5]
	s_cbranch_execz .LBB72_25
; %bb.23:
	v_mov_b32_e32 v6, 0
	global_load_dwordx2 v[4:5], v6, s[6:7] offset:40
	global_load_dwordx2 v[8:9], v6, s[6:7] offset:24 glc
	global_load_dwordx2 v[10:11], v6, s[6:7]
	v_mov_b32_e32 v1, s9
	s_mov_b64 s[4:5], 0
	s_waitcnt vmcnt(2)
	v_add_co_u32_e32 v3, vcc, 1, v4
	v_addc_co_u32_e32 v7, vcc, 0, v5, vcc
	v_add_co_u32_e32 v0, vcc, s8, v3
	v_addc_co_u32_e32 v1, vcc, v7, v1, vcc
	v_cmp_eq_u64_e32 vcc, 0, v[0:1]
	v_cndmask_b32_e32 v1, v1, v7, vcc
	v_cndmask_b32_e32 v0, v0, v3, vcc
	v_and_b32_e32 v3, v1, v5
	v_and_b32_e32 v4, v0, v4
	v_mul_lo_u32 v3, v3, 24
	v_mul_hi_u32 v5, v4, 24
	v_mul_lo_u32 v4, v4, 24
	v_add_u32_e32 v3, v5, v3
	s_waitcnt vmcnt(0)
	v_add_co_u32_e32 v4, vcc, v10, v4
	v_addc_co_u32_e32 v5, vcc, v11, v3, vcc
	v_mov_b32_e32 v2, v8
	global_store_dwordx2 v[4:5], v[8:9], off
	v_mov_b32_e32 v3, v9
	buffer_wbl2
	s_waitcnt vmcnt(0)
	global_atomic_cmpswap_x2 v[2:3], v6, v[0:3], s[6:7] offset:24 glc
	s_waitcnt vmcnt(0)
	v_cmp_ne_u64_e32 vcc, v[2:3], v[8:9]
	s_and_b64 exec, exec, vcc
	s_cbranch_execz .LBB72_25
.LBB72_24:                              ; =>This Inner Loop Header: Depth=1
	s_sleep 1
	global_store_dwordx2 v[4:5], v[2:3], off
	buffer_wbl2
	s_waitcnt vmcnt(0)
	global_atomic_cmpswap_x2 v[8:9], v6, v[0:3], s[6:7] offset:24 glc
	s_waitcnt vmcnt(0)
	v_cmp_eq_u64_e32 vcc, v[8:9], v[2:3]
	s_or_b64 s[4:5], vcc, s[4:5]
	v_pk_mov_b32 v[2:3], v[8:9], v[8:9] op_sel:[0,1]
	s_andn2_b64 exec, exec, s[4:5]
	s_cbranch_execnz .LBB72_24
.LBB72_25:
	s_or_b64 exec, exec, s[10:11]
	s_waitcnt vmcnt(0) lgkmcnt(0)
	s_setpc_b64 s[30:31]
.Lfunc_end72:
	.size	__ockl_printf_append_args, .Lfunc_end72-__ockl_printf_append_args
                                        ; -- End function
	.section	.AMDGPU.csdata,"",@progbits
; Function info:
; codeLenInByte = 1284
; NumSgprs: 36
; NumVgprs: 16
; NumAgprs: 0
; TotalNumVgprs: 16
; ScratchSize: 0
; MemoryBound: 0
	.text
	.p2align	2                               ; -- Begin function _ZL14no_device_codePKciS0_iS0_
	.type	_ZL14no_device_codePKciS0_iS0_,@function
_ZL14no_device_codePKciS0_iS0_:         ; @_ZL14no_device_codePKciS0_iS0_
; %bb.0:
	s_waitcnt vmcnt(0) expcnt(0) lgkmcnt(0)
	s_mov_b32 s25, s33
	s_mov_b32 s33, s32
	s_xor_saveexec_b64 s[4:5], -1
	buffer_store_dword v38, off, s[0:3], s33 ; 4-byte Folded Spill
	s_mov_b64 exec, s[4:5]
	v_writelane_b32 v38, s30, 0
	s_addk_i32 s32, 0x400
	v_writelane_b32 v38, s31, 1
	s_load_dwordx2 s[6:7], s[8:9], 0x50
	v_mbcnt_lo_u32_b32 v0, -1, 0
	v_mbcnt_hi_u32_b32 v35, -1, v0
	v_readfirstlane_b32 s4, v35
	s_mov_b64 s[26:27], s[8:9]
	v_cmp_eq_u32_e64 s[4:5], s4, v35
	v_pk_mov_b32 v[6:7], 0, 0
	s_and_saveexec_b64 s[10:11], s[4:5]
	s_cbranch_execz .LBB73_6
; %bb.1:
	v_mov_b32_e32 v0, 0
	s_waitcnt lgkmcnt(0)
	global_load_dwordx2 v[4:5], v0, s[6:7] offset:24 glc
	s_waitcnt vmcnt(0)
	buffer_invl2
	buffer_wbinvl1_vol
	global_load_dwordx2 v[2:3], v0, s[6:7] offset:40
	global_load_dwordx2 v[6:7], v0, s[6:7]
	s_waitcnt vmcnt(1)
	v_and_b32_e32 v1, v2, v4
	v_and_b32_e32 v2, v3, v5
	v_mul_lo_u32 v2, v2, 24
	v_mul_hi_u32 v3, v1, 24
	v_mul_lo_u32 v1, v1, 24
	v_add_u32_e32 v3, v3, v2
	s_waitcnt vmcnt(0)
	v_add_co_u32_e32 v2, vcc, v6, v1
	v_addc_co_u32_e32 v3, vcc, v7, v3, vcc
	global_load_dwordx2 v[2:3], v[2:3], off glc
	s_waitcnt vmcnt(0)
	global_atomic_cmpswap_x2 v[6:7], v0, v[2:5], s[6:7] offset:24 glc
	s_waitcnt vmcnt(0)
	buffer_invl2
	buffer_wbinvl1_vol
	v_cmp_ne_u64_e32 vcc, v[6:7], v[4:5]
	s_and_saveexec_b64 s[12:13], vcc
	s_cbranch_execz .LBB73_5
; %bb.2:
	s_mov_b64 s[14:15], 0
.LBB73_3:                               ; =>This Inner Loop Header: Depth=1
	s_sleep 1
	global_load_dwordx2 v[2:3], v0, s[6:7] offset:40
	global_load_dwordx2 v[8:9], v0, s[6:7]
	v_pk_mov_b32 v[4:5], v[6:7], v[6:7] op_sel:[0,1]
	s_waitcnt vmcnt(1)
	v_and_b32_e32 v2, v2, v4
	v_and_b32_e32 v1, v3, v5
	s_waitcnt vmcnt(0)
	v_mad_u64_u32 v[2:3], s[16:17], v2, 24, v[8:9]
	v_mov_b32_e32 v6, v3
	v_mad_u64_u32 v[6:7], s[16:17], v1, 24, v[6:7]
	v_mov_b32_e32 v3, v6
	global_load_dwordx2 v[2:3], v[2:3], off glc
	s_waitcnt vmcnt(0)
	global_atomic_cmpswap_x2 v[6:7], v0, v[2:5], s[6:7] offset:24 glc
	s_waitcnt vmcnt(0)
	buffer_invl2
	buffer_wbinvl1_vol
	v_cmp_eq_u64_e32 vcc, v[6:7], v[4:5]
	s_or_b64 s[14:15], vcc, s[14:15]
	s_andn2_b64 exec, exec, s[14:15]
	s_cbranch_execnz .LBB73_3
; %bb.4:
	s_or_b64 exec, exec, s[14:15]
.LBB73_5:
	s_or_b64 exec, exec, s[12:13]
.LBB73_6:
	s_or_b64 exec, exec, s[10:11]
	v_mov_b32_e32 v5, 0
	s_waitcnt lgkmcnt(0)
	global_load_dwordx2 v[8:9], v5, s[6:7] offset:40
	global_load_dwordx4 v[0:3], v5, s[6:7]
	v_readfirstlane_b32 s10, v6
	v_readfirstlane_b32 s11, v7
	s_mov_b64 s[12:13], exec
	s_waitcnt vmcnt(1)
	v_readfirstlane_b32 s14, v8
	v_readfirstlane_b32 s15, v9
	s_and_b64 s[14:15], s[10:11], s[14:15]
	s_mul_i32 s16, s15, 24
	s_mul_hi_u32 s17, s14, 24
	s_mul_i32 s18, s14, 24
	s_add_i32 s16, s17, s16
	v_mov_b32_e32 v4, s16
	s_waitcnt vmcnt(0)
	v_add_co_u32_e32 v8, vcc, s18, v0
	v_addc_co_u32_e32 v9, vcc, v1, v4, vcc
	s_and_saveexec_b64 s[16:17], s[4:5]
	s_cbranch_execz .LBB73_8
; %bb.7:
	v_pk_mov_b32 v[10:11], s[12:13], s[12:13] op_sel:[0,1]
	v_mov_b32_e32 v12, 2
	v_mov_b32_e32 v13, 1
	global_store_dwordx4 v[8:9], v[10:13], off offset:8
.LBB73_8:
	s_or_b64 exec, exec, s[16:17]
	s_lshl_b64 s[12:13], s[14:15], 12
	v_mov_b32_e32 v4, s13
	v_add_co_u32_e32 v2, vcc, s12, v2
	v_addc_co_u32_e32 v3, vcc, v3, v4, vcc
	s_mov_b32 s12, 0
	v_lshlrev_b32_e32 v34, 6, v35
	v_add_co_u32_e32 v10, vcc, v2, v34
	v_mov_b32_e32 v4, 33
	v_mov_b32_e32 v6, v5
	;; [unrolled: 1-line block ×3, first 2 shown]
	v_readfirstlane_b32 s16, v2
	v_readfirstlane_b32 s17, v3
	s_mov_b32 s13, s12
	v_addc_co_u32_e32 v11, vcc, 0, v3, vcc
	s_mov_b32 s14, s12
	s_mov_b32 s15, s12
	s_nop 0
	global_store_dwordx4 v34, v[4:7], s[16:17]
	v_pk_mov_b32 v[2:3], s[12:13], s[12:13] op_sel:[0,1]
	v_pk_mov_b32 v[4:5], s[14:15], s[14:15] op_sel:[0,1]
	global_store_dwordx4 v34, v[2:5], s[16:17] offset:16
	global_store_dwordx4 v34, v[2:5], s[16:17] offset:32
	;; [unrolled: 1-line block ×3, first 2 shown]
	s_and_saveexec_b64 s[12:13], s[4:5]
	s_cbranch_execz .LBB73_16
; %bb.9:
	v_mov_b32_e32 v6, 0
	global_load_dwordx2 v[14:15], v6, s[6:7] offset:32 glc
	global_load_dwordx2 v[2:3], v6, s[6:7] offset:40
	v_mov_b32_e32 v12, s10
	v_mov_b32_e32 v13, s11
	s_waitcnt vmcnt(0)
	v_and_b32_e32 v2, s10, v2
	v_and_b32_e32 v3, s11, v3
	v_mul_lo_u32 v3, v3, 24
	v_mul_hi_u32 v4, v2, 24
	v_mul_lo_u32 v2, v2, 24
	v_add_u32_e32 v3, v4, v3
	v_add_co_u32_e32 v4, vcc, v0, v2
	v_addc_co_u32_e32 v5, vcc, v1, v3, vcc
	global_store_dwordx2 v[4:5], v[14:15], off
	buffer_wbl2
	s_waitcnt vmcnt(0)
	global_atomic_cmpswap_x2 v[2:3], v6, v[12:15], s[6:7] offset:32 glc
	s_waitcnt vmcnt(0)
	v_cmp_ne_u64_e32 vcc, v[2:3], v[14:15]
	s_and_saveexec_b64 s[14:15], vcc
	s_cbranch_execz .LBB73_12
; %bb.10:
	s_mov_b64 s[16:17], 0
.LBB73_11:                              ; =>This Inner Loop Header: Depth=1
	s_sleep 1
	global_store_dwordx2 v[4:5], v[2:3], off
	v_mov_b32_e32 v0, s10
	v_mov_b32_e32 v1, s11
	buffer_wbl2
	s_waitcnt vmcnt(0)
	global_atomic_cmpswap_x2 v[0:1], v6, v[0:3], s[6:7] offset:32 glc
	s_waitcnt vmcnt(0)
	v_cmp_eq_u64_e32 vcc, v[0:1], v[2:3]
	s_or_b64 s[16:17], vcc, s[16:17]
	v_pk_mov_b32 v[2:3], v[0:1], v[0:1] op_sel:[0,1]
	s_andn2_b64 exec, exec, s[16:17]
	s_cbranch_execnz .LBB73_11
.LBB73_12:
	s_or_b64 exec, exec, s[14:15]
	v_mov_b32_e32 v3, 0
	global_load_dwordx2 v[0:1], v3, s[6:7] offset:16
	s_mov_b64 s[14:15], exec
	v_mbcnt_lo_u32_b32 v2, s14, 0
	v_mbcnt_hi_u32_b32 v2, s15, v2
	v_cmp_eq_u32_e32 vcc, 0, v2
	s_and_saveexec_b64 s[16:17], vcc
	s_cbranch_execz .LBB73_14
; %bb.13:
	s_bcnt1_i32_b64 s14, s[14:15]
	v_mov_b32_e32 v2, s14
	buffer_wbl2
	s_waitcnt vmcnt(0)
	global_atomic_add_x2 v[0:1], v[2:3], off offset:8
.LBB73_14:
	s_or_b64 exec, exec, s[16:17]
	s_waitcnt vmcnt(0)
	global_load_dwordx2 v[2:3], v[0:1], off offset:16
	s_waitcnt vmcnt(0)
	v_cmp_eq_u64_e32 vcc, 0, v[2:3]
	s_cbranch_vccnz .LBB73_16
; %bb.15:
	global_load_dword v0, v[0:1], off offset:24
	v_mov_b32_e32 v1, 0
	buffer_wbl2
	s_waitcnt vmcnt(0)
	global_store_dwordx2 v[2:3], v[0:1], off
	v_and_b32_e32 v0, 0xffffff, v0
	v_readfirstlane_b32 m0, v0
	s_sendmsg sendmsg(MSG_INTERRUPT)
.LBB73_16:
	s_or_b64 exec, exec, s[12:13]
	s_branch .LBB73_20
.LBB73_17:                              ;   in Loop: Header=BB73_20 Depth=1
	s_or_b64 exec, exec, s[12:13]
	v_readfirstlane_b32 s12, v0
	s_cmp_eq_u32 s12, 0
	s_cbranch_scc1 .LBB73_19
; %bb.18:                               ;   in Loop: Header=BB73_20 Depth=1
	s_sleep 1
	s_cbranch_execnz .LBB73_20
	s_branch .LBB73_22
.LBB73_19:
	s_branch .LBB73_22
.LBB73_20:                              ; =>This Inner Loop Header: Depth=1
	v_mov_b32_e32 v0, 1
	s_and_saveexec_b64 s[12:13], s[4:5]
	s_cbranch_execz .LBB73_17
; %bb.21:                               ;   in Loop: Header=BB73_20 Depth=1
	global_load_dword v0, v[8:9], off offset:20 glc
	s_waitcnt vmcnt(0)
	buffer_invl2
	buffer_wbinvl1_vol
	v_and_b32_e32 v0, 1, v0
	s_branch .LBB73_17
.LBB73_22:
	global_load_dwordx2 v[4:5], v[10:11], off
	s_and_saveexec_b64 s[12:13], s[4:5]
	s_cbranch_execz .LBB73_25
; %bb.23:
	v_mov_b32_e32 v8, 0
	global_load_dwordx2 v[6:7], v8, s[6:7] offset:40
	global_load_dwordx2 v[10:11], v8, s[6:7] offset:24 glc
	global_load_dwordx2 v[12:13], v8, s[6:7]
	v_mov_b32_e32 v1, s11
	s_mov_b64 s[4:5], 0
	s_waitcnt vmcnt(2)
	v_add_co_u32_e32 v3, vcc, 1, v6
	v_addc_co_u32_e32 v9, vcc, 0, v7, vcc
	v_add_co_u32_e32 v0, vcc, s10, v3
	v_addc_co_u32_e32 v1, vcc, v9, v1, vcc
	v_cmp_eq_u64_e32 vcc, 0, v[0:1]
	v_cndmask_b32_e32 v1, v1, v9, vcc
	v_cndmask_b32_e32 v0, v0, v3, vcc
	v_and_b32_e32 v3, v1, v7
	v_and_b32_e32 v6, v0, v6
	v_mul_lo_u32 v3, v3, 24
	v_mul_hi_u32 v7, v6, 24
	v_mul_lo_u32 v6, v6, 24
	v_add_u32_e32 v3, v7, v3
	s_waitcnt vmcnt(0)
	v_add_co_u32_e32 v6, vcc, v12, v6
	v_addc_co_u32_e32 v7, vcc, v13, v3, vcc
	v_mov_b32_e32 v2, v10
	global_store_dwordx2 v[6:7], v[10:11], off
	v_mov_b32_e32 v3, v11
	buffer_wbl2
	s_waitcnt vmcnt(0)
	global_atomic_cmpswap_x2 v[2:3], v8, v[0:3], s[6:7] offset:24 glc
	s_waitcnt vmcnt(0)
	v_cmp_ne_u64_e32 vcc, v[2:3], v[10:11]
	s_and_b64 exec, exec, vcc
	s_cbranch_execz .LBB73_25
.LBB73_24:                              ; =>This Inner Loop Header: Depth=1
	s_sleep 1
	global_store_dwordx2 v[6:7], v[2:3], off
	buffer_wbl2
	s_waitcnt vmcnt(0)
	global_atomic_cmpswap_x2 v[10:11], v8, v[0:3], s[6:7] offset:24 glc
	s_waitcnt vmcnt(0)
	v_cmp_eq_u64_e32 vcc, v[10:11], v[2:3]
	s_or_b64 s[4:5], vcc, s[4:5]
	v_pk_mov_b32 v[2:3], v[10:11], v[10:11] op_sel:[0,1]
	s_andn2_b64 exec, exec, s[4:5]
	s_cbranch_execnz .LBB73_24
.LBB73_25:
	s_or_b64 exec, exec, s[12:13]
	s_getpc_b64 s[10:11]
	s_add_u32 s10, s10, .str.3@rel32@lo+4
	s_addc_u32 s11, s11, .str.3@rel32@hi+12
	s_cmp_lg_u64 s[10:11], 0
	s_cbranch_scc0 .LBB73_109
; %bb.26:
	s_waitcnt vmcnt(0)
	v_and_b32_e32 v26, 2, v4
	v_mov_b32_e32 v29, 0
	v_and_b32_e32 v0, -3, v4
	v_mov_b32_e32 v1, v5
	s_mov_b64 s[12:13], 0x4d
	v_mov_b32_e32 v8, 2
	v_mov_b32_e32 v9, 1
	s_branch .LBB73_28
.LBB73_27:                              ;   in Loop: Header=BB73_28 Depth=1
	s_or_b64 exec, exec, s[18:19]
	s_sub_u32 s12, s12, s14
	s_subb_u32 s13, s13, s15
	s_add_u32 s10, s10, s14
	s_addc_u32 s11, s11, s15
	s_cmp_lg_u64 s[12:13], 0
	s_cbranch_scc0 .LBB73_110
.LBB73_28:                              ; =>This Loop Header: Depth=1
                                        ;     Child Loop BB73_31 Depth 2
                                        ;     Child Loop BB73_38 Depth 2
	;; [unrolled: 1-line block ×11, first 2 shown]
	v_cmp_lt_u64_e64 s[4:5], s[12:13], 56
	s_and_b64 s[4:5], s[4:5], exec
	v_cmp_gt_u64_e64 s[4:5], s[12:13], 7
	s_cselect_b32 s15, s13, 0
	s_cselect_b32 s14, s12, 56
	s_and_b64 vcc, exec, s[4:5]
	s_cbranch_vccnz .LBB73_33
; %bb.29:                               ;   in Loop: Header=BB73_28 Depth=1
	s_mov_b64 s[4:5], 0
	s_cmp_eq_u64 s[12:13], 0
	s_waitcnt vmcnt(0)
	v_pk_mov_b32 v[2:3], 0, 0
	s_cbranch_scc1 .LBB73_32
; %bb.30:                               ;   in Loop: Header=BB73_28 Depth=1
	s_lshl_b64 s[16:17], s[14:15], 3
	s_mov_b64 s[18:19], 0
	v_pk_mov_b32 v[2:3], 0, 0
	s_mov_b64 s[20:21], s[10:11]
.LBB73_31:                              ;   Parent Loop BB73_28 Depth=1
                                        ; =>  This Inner Loop Header: Depth=2
	global_load_ubyte v6, v29, s[20:21]
	s_waitcnt vmcnt(0)
	v_and_b32_e32 v28, 0xffff, v6
	v_lshlrev_b64 v[6:7], s18, v[28:29]
	s_add_u32 s18, s18, 8
	s_addc_u32 s19, s19, 0
	s_add_u32 s20, s20, 1
	s_addc_u32 s21, s21, 0
	v_or_b32_e32 v2, v6, v2
	s_cmp_lg_u32 s16, s18
	v_or_b32_e32 v3, v7, v3
	s_cbranch_scc1 .LBB73_31
.LBB73_32:                              ;   in Loop: Header=BB73_28 Depth=1
	s_mov_b32 s20, 0
	s_andn2_b64 vcc, exec, s[4:5]
	s_mov_b64 s[4:5], s[10:11]
	s_cbranch_vccz .LBB73_34
	s_branch .LBB73_35
.LBB73_33:                              ;   in Loop: Header=BB73_28 Depth=1
                                        ; implicit-def: $vgpr2_vgpr3
                                        ; implicit-def: $sgpr20
	s_mov_b64 s[4:5], s[10:11]
.LBB73_34:                              ;   in Loop: Header=BB73_28 Depth=1
	global_load_dwordx2 v[2:3], v29, s[10:11]
	s_add_i32 s20, s14, -8
	s_add_u32 s4, s10, 8
	s_addc_u32 s5, s11, 0
.LBB73_35:                              ;   in Loop: Header=BB73_28 Depth=1
	s_cmp_gt_u32 s20, 7
	s_cbranch_scc1 .LBB73_39
; %bb.36:                               ;   in Loop: Header=BB73_28 Depth=1
	s_cmp_eq_u32 s20, 0
	s_cbranch_scc1 .LBB73_40
; %bb.37:                               ;   in Loop: Header=BB73_28 Depth=1
	s_mov_b64 s[16:17], 0
	v_pk_mov_b32 v[10:11], 0, 0
	s_mov_b64 s[18:19], 0
.LBB73_38:                              ;   Parent Loop BB73_28 Depth=1
                                        ; =>  This Inner Loop Header: Depth=2
	s_add_u32 s22, s4, s18
	s_addc_u32 s23, s5, s19
	global_load_ubyte v6, v29, s[22:23]
	s_add_u32 s18, s18, 1
	s_addc_u32 s19, s19, 0
	s_waitcnt vmcnt(0)
	v_and_b32_e32 v28, 0xffff, v6
	v_lshlrev_b64 v[6:7], s16, v[28:29]
	s_add_u32 s16, s16, 8
	s_addc_u32 s17, s17, 0
	v_or_b32_e32 v10, v6, v10
	s_cmp_lg_u32 s20, s18
	v_or_b32_e32 v11, v7, v11
	s_cbranch_scc1 .LBB73_38
	s_branch .LBB73_41
.LBB73_39:                              ;   in Loop: Header=BB73_28 Depth=1
                                        ; implicit-def: $vgpr10_vgpr11
                                        ; implicit-def: $sgpr21
	s_branch .LBB73_42
.LBB73_40:                              ;   in Loop: Header=BB73_28 Depth=1
	v_pk_mov_b32 v[10:11], 0, 0
.LBB73_41:                              ;   in Loop: Header=BB73_28 Depth=1
	s_mov_b32 s21, 0
	s_cbranch_execnz .LBB73_43
.LBB73_42:                              ;   in Loop: Header=BB73_28 Depth=1
	global_load_dwordx2 v[10:11], v29, s[4:5]
	s_add_i32 s21, s20, -8
	s_add_u32 s4, s4, 8
	s_addc_u32 s5, s5, 0
.LBB73_43:                              ;   in Loop: Header=BB73_28 Depth=1
	s_cmp_gt_u32 s21, 7
	s_cbranch_scc1 .LBB73_47
; %bb.44:                               ;   in Loop: Header=BB73_28 Depth=1
	s_cmp_eq_u32 s21, 0
	s_cbranch_scc1 .LBB73_48
; %bb.45:                               ;   in Loop: Header=BB73_28 Depth=1
	s_mov_b64 s[16:17], 0
	v_pk_mov_b32 v[12:13], 0, 0
	s_mov_b64 s[18:19], 0
.LBB73_46:                              ;   Parent Loop BB73_28 Depth=1
                                        ; =>  This Inner Loop Header: Depth=2
	s_add_u32 s22, s4, s18
	s_addc_u32 s23, s5, s19
	global_load_ubyte v6, v29, s[22:23]
	s_add_u32 s18, s18, 1
	s_addc_u32 s19, s19, 0
	s_waitcnt vmcnt(0)
	v_and_b32_e32 v28, 0xffff, v6
	v_lshlrev_b64 v[6:7], s16, v[28:29]
	s_add_u32 s16, s16, 8
	s_addc_u32 s17, s17, 0
	v_or_b32_e32 v12, v6, v12
	s_cmp_lg_u32 s21, s18
	v_or_b32_e32 v13, v7, v13
	s_cbranch_scc1 .LBB73_46
	s_branch .LBB73_49
.LBB73_47:                              ;   in Loop: Header=BB73_28 Depth=1
                                        ; implicit-def: $sgpr20
	s_branch .LBB73_50
.LBB73_48:                              ;   in Loop: Header=BB73_28 Depth=1
	v_pk_mov_b32 v[12:13], 0, 0
.LBB73_49:                              ;   in Loop: Header=BB73_28 Depth=1
	s_mov_b32 s20, 0
	s_cbranch_execnz .LBB73_51
.LBB73_50:                              ;   in Loop: Header=BB73_28 Depth=1
	global_load_dwordx2 v[12:13], v29, s[4:5]
	s_add_i32 s20, s21, -8
	s_add_u32 s4, s4, 8
	s_addc_u32 s5, s5, 0
.LBB73_51:                              ;   in Loop: Header=BB73_28 Depth=1
	s_cmp_gt_u32 s20, 7
	s_cbranch_scc1 .LBB73_55
; %bb.52:                               ;   in Loop: Header=BB73_28 Depth=1
	s_cmp_eq_u32 s20, 0
	s_cbranch_scc1 .LBB73_56
; %bb.53:                               ;   in Loop: Header=BB73_28 Depth=1
	s_mov_b64 s[16:17], 0
	v_pk_mov_b32 v[14:15], 0, 0
	s_mov_b64 s[18:19], 0
.LBB73_54:                              ;   Parent Loop BB73_28 Depth=1
                                        ; =>  This Inner Loop Header: Depth=2
	s_add_u32 s22, s4, s18
	s_addc_u32 s23, s5, s19
	global_load_ubyte v6, v29, s[22:23]
	s_add_u32 s18, s18, 1
	s_addc_u32 s19, s19, 0
	s_waitcnt vmcnt(0)
	v_and_b32_e32 v28, 0xffff, v6
	v_lshlrev_b64 v[6:7], s16, v[28:29]
	s_add_u32 s16, s16, 8
	s_addc_u32 s17, s17, 0
	v_or_b32_e32 v14, v6, v14
	s_cmp_lg_u32 s20, s18
	v_or_b32_e32 v15, v7, v15
	s_cbranch_scc1 .LBB73_54
	s_branch .LBB73_57
.LBB73_55:                              ;   in Loop: Header=BB73_28 Depth=1
                                        ; implicit-def: $vgpr14_vgpr15
                                        ; implicit-def: $sgpr21
	s_branch .LBB73_58
.LBB73_56:                              ;   in Loop: Header=BB73_28 Depth=1
	v_pk_mov_b32 v[14:15], 0, 0
.LBB73_57:                              ;   in Loop: Header=BB73_28 Depth=1
	s_mov_b32 s21, 0
	s_cbranch_execnz .LBB73_59
.LBB73_58:                              ;   in Loop: Header=BB73_28 Depth=1
	global_load_dwordx2 v[14:15], v29, s[4:5]
	s_add_i32 s21, s20, -8
	s_add_u32 s4, s4, 8
	s_addc_u32 s5, s5, 0
.LBB73_59:                              ;   in Loop: Header=BB73_28 Depth=1
	s_cmp_gt_u32 s21, 7
	s_cbranch_scc1 .LBB73_63
; %bb.60:                               ;   in Loop: Header=BB73_28 Depth=1
	s_cmp_eq_u32 s21, 0
	s_cbranch_scc1 .LBB73_64
; %bb.61:                               ;   in Loop: Header=BB73_28 Depth=1
	s_mov_b64 s[16:17], 0
	v_pk_mov_b32 v[16:17], 0, 0
	s_mov_b64 s[18:19], 0
.LBB73_62:                              ;   Parent Loop BB73_28 Depth=1
                                        ; =>  This Inner Loop Header: Depth=2
	s_add_u32 s22, s4, s18
	s_addc_u32 s23, s5, s19
	global_load_ubyte v6, v29, s[22:23]
	s_add_u32 s18, s18, 1
	s_addc_u32 s19, s19, 0
	s_waitcnt vmcnt(0)
	v_and_b32_e32 v28, 0xffff, v6
	v_lshlrev_b64 v[6:7], s16, v[28:29]
	s_add_u32 s16, s16, 8
	s_addc_u32 s17, s17, 0
	v_or_b32_e32 v16, v6, v16
	s_cmp_lg_u32 s21, s18
	v_or_b32_e32 v17, v7, v17
	s_cbranch_scc1 .LBB73_62
	s_branch .LBB73_65
.LBB73_63:                              ;   in Loop: Header=BB73_28 Depth=1
                                        ; implicit-def: $sgpr20
	s_branch .LBB73_66
.LBB73_64:                              ;   in Loop: Header=BB73_28 Depth=1
	v_pk_mov_b32 v[16:17], 0, 0
.LBB73_65:                              ;   in Loop: Header=BB73_28 Depth=1
	s_mov_b32 s20, 0
	s_cbranch_execnz .LBB73_67
.LBB73_66:                              ;   in Loop: Header=BB73_28 Depth=1
	global_load_dwordx2 v[16:17], v29, s[4:5]
	s_add_i32 s20, s21, -8
	s_add_u32 s4, s4, 8
	s_addc_u32 s5, s5, 0
.LBB73_67:                              ;   in Loop: Header=BB73_28 Depth=1
	s_cmp_gt_u32 s20, 7
	s_cbranch_scc1 .LBB73_71
; %bb.68:                               ;   in Loop: Header=BB73_28 Depth=1
	s_cmp_eq_u32 s20, 0
	s_cbranch_scc1 .LBB73_72
; %bb.69:                               ;   in Loop: Header=BB73_28 Depth=1
	s_mov_b64 s[16:17], 0
	v_pk_mov_b32 v[18:19], 0, 0
	s_mov_b64 s[18:19], 0
.LBB73_70:                              ;   Parent Loop BB73_28 Depth=1
                                        ; =>  This Inner Loop Header: Depth=2
	s_add_u32 s22, s4, s18
	s_addc_u32 s23, s5, s19
	global_load_ubyte v6, v29, s[22:23]
	s_add_u32 s18, s18, 1
	s_addc_u32 s19, s19, 0
	s_waitcnt vmcnt(0)
	v_and_b32_e32 v28, 0xffff, v6
	v_lshlrev_b64 v[6:7], s16, v[28:29]
	s_add_u32 s16, s16, 8
	s_addc_u32 s17, s17, 0
	v_or_b32_e32 v18, v6, v18
	s_cmp_lg_u32 s20, s18
	v_or_b32_e32 v19, v7, v19
	s_cbranch_scc1 .LBB73_70
	s_branch .LBB73_73
.LBB73_71:                              ;   in Loop: Header=BB73_28 Depth=1
                                        ; implicit-def: $vgpr18_vgpr19
                                        ; implicit-def: $sgpr21
	s_branch .LBB73_74
.LBB73_72:                              ;   in Loop: Header=BB73_28 Depth=1
	v_pk_mov_b32 v[18:19], 0, 0
.LBB73_73:                              ;   in Loop: Header=BB73_28 Depth=1
	s_mov_b32 s21, 0
	s_cbranch_execnz .LBB73_75
.LBB73_74:                              ;   in Loop: Header=BB73_28 Depth=1
	global_load_dwordx2 v[18:19], v29, s[4:5]
	s_add_i32 s21, s20, -8
	s_add_u32 s4, s4, 8
	s_addc_u32 s5, s5, 0
.LBB73_75:                              ;   in Loop: Header=BB73_28 Depth=1
	s_cmp_gt_u32 s21, 7
	s_cbranch_scc1 .LBB73_79
; %bb.76:                               ;   in Loop: Header=BB73_28 Depth=1
	s_cmp_eq_u32 s21, 0
	s_cbranch_scc1 .LBB73_80
; %bb.77:                               ;   in Loop: Header=BB73_28 Depth=1
	s_mov_b64 s[16:17], 0
	v_pk_mov_b32 v[20:21], 0, 0
	s_mov_b64 s[18:19], s[4:5]
.LBB73_78:                              ;   Parent Loop BB73_28 Depth=1
                                        ; =>  This Inner Loop Header: Depth=2
	global_load_ubyte v6, v29, s[18:19]
	s_add_i32 s21, s21, -1
	s_waitcnt vmcnt(0)
	v_and_b32_e32 v28, 0xffff, v6
	v_lshlrev_b64 v[6:7], s16, v[28:29]
	s_add_u32 s16, s16, 8
	s_addc_u32 s17, s17, 0
	s_add_u32 s18, s18, 1
	s_addc_u32 s19, s19, 0
	v_or_b32_e32 v20, v6, v20
	s_cmp_lg_u32 s21, 0
	v_or_b32_e32 v21, v7, v21
	s_cbranch_scc1 .LBB73_78
	s_branch .LBB73_81
.LBB73_79:                              ;   in Loop: Header=BB73_28 Depth=1
	s_branch .LBB73_82
.LBB73_80:                              ;   in Loop: Header=BB73_28 Depth=1
	v_pk_mov_b32 v[20:21], 0, 0
.LBB73_81:                              ;   in Loop: Header=BB73_28 Depth=1
	s_cbranch_execnz .LBB73_83
.LBB73_82:                              ;   in Loop: Header=BB73_28 Depth=1
	global_load_dwordx2 v[20:21], v29, s[4:5]
.LBB73_83:                              ;   in Loop: Header=BB73_28 Depth=1
	v_readfirstlane_b32 s4, v35
	v_cmp_eq_u32_e64 s[4:5], s4, v35
	v_pk_mov_b32 v[6:7], 0, 0
	s_and_saveexec_b64 s[16:17], s[4:5]
	s_cbranch_execz .LBB73_89
; %bb.84:                               ;   in Loop: Header=BB73_28 Depth=1
	global_load_dwordx2 v[24:25], v29, s[6:7] offset:24 glc
	s_waitcnt vmcnt(0)
	buffer_invl2
	buffer_wbinvl1_vol
	global_load_dwordx2 v[6:7], v29, s[6:7] offset:40
	global_load_dwordx2 v[22:23], v29, s[6:7]
	s_waitcnt vmcnt(1)
	v_and_b32_e32 v6, v6, v24
	v_and_b32_e32 v7, v7, v25
	v_mul_lo_u32 v7, v7, 24
	v_mul_hi_u32 v27, v6, 24
	v_mul_lo_u32 v6, v6, 24
	v_add_u32_e32 v7, v27, v7
	s_waitcnt vmcnt(0)
	v_add_co_u32_e32 v6, vcc, v22, v6
	v_addc_co_u32_e32 v7, vcc, v23, v7, vcc
	global_load_dwordx2 v[22:23], v[6:7], off glc
	s_waitcnt vmcnt(0)
	global_atomic_cmpswap_x2 v[6:7], v29, v[22:25], s[6:7] offset:24 glc
	s_waitcnt vmcnt(0)
	buffer_invl2
	buffer_wbinvl1_vol
	v_cmp_ne_u64_e32 vcc, v[6:7], v[24:25]
	s_and_saveexec_b64 s[18:19], vcc
	s_cbranch_execz .LBB73_88
; %bb.85:                               ;   in Loop: Header=BB73_28 Depth=1
	s_mov_b64 s[20:21], 0
.LBB73_86:                              ;   Parent Loop BB73_28 Depth=1
                                        ; =>  This Inner Loop Header: Depth=2
	s_sleep 1
	global_load_dwordx2 v[22:23], v29, s[6:7] offset:40
	global_load_dwordx2 v[30:31], v29, s[6:7]
	v_pk_mov_b32 v[24:25], v[6:7], v[6:7] op_sel:[0,1]
	s_waitcnt vmcnt(1)
	v_and_b32_e32 v6, v22, v24
	s_waitcnt vmcnt(0)
	v_mad_u64_u32 v[6:7], s[22:23], v6, 24, v[30:31]
	v_and_b32_e32 v23, v23, v25
	v_mov_b32_e32 v22, v7
	v_mad_u64_u32 v[22:23], s[22:23], v23, 24, v[22:23]
	v_mov_b32_e32 v7, v22
	global_load_dwordx2 v[22:23], v[6:7], off glc
	s_waitcnt vmcnt(0)
	global_atomic_cmpswap_x2 v[6:7], v29, v[22:25], s[6:7] offset:24 glc
	s_waitcnt vmcnt(0)
	buffer_invl2
	buffer_wbinvl1_vol
	v_cmp_eq_u64_e32 vcc, v[6:7], v[24:25]
	s_or_b64 s[20:21], vcc, s[20:21]
	s_andn2_b64 exec, exec, s[20:21]
	s_cbranch_execnz .LBB73_86
; %bb.87:                               ;   in Loop: Header=BB73_28 Depth=1
	s_or_b64 exec, exec, s[20:21]
.LBB73_88:                              ;   in Loop: Header=BB73_28 Depth=1
	s_or_b64 exec, exec, s[18:19]
.LBB73_89:                              ;   in Loop: Header=BB73_28 Depth=1
	s_or_b64 exec, exec, s[16:17]
	global_load_dwordx2 v[30:31], v29, s[6:7] offset:40
	global_load_dwordx4 v[22:25], v29, s[6:7]
	v_readfirstlane_b32 s16, v6
	v_readfirstlane_b32 s17, v7
	s_mov_b64 s[18:19], exec
	s_waitcnt vmcnt(1)
	v_readfirstlane_b32 s20, v30
	v_readfirstlane_b32 s21, v31
	s_and_b64 s[20:21], s[16:17], s[20:21]
	s_mul_i32 s22, s21, 24
	s_mul_hi_u32 s23, s20, 24
	s_mul_i32 s24, s20, 24
	s_add_i32 s22, s23, s22
	v_mov_b32_e32 v6, s22
	s_waitcnt vmcnt(0)
	v_add_co_u32_e32 v30, vcc, s24, v22
	v_addc_co_u32_e32 v31, vcc, v23, v6, vcc
	s_and_saveexec_b64 s[22:23], s[4:5]
	s_cbranch_execz .LBB73_91
; %bb.90:                               ;   in Loop: Header=BB73_28 Depth=1
	v_pk_mov_b32 v[6:7], s[18:19], s[18:19] op_sel:[0,1]
	global_store_dwordx4 v[30:31], v[6:9], off offset:8
.LBB73_91:                              ;   in Loop: Header=BB73_28 Depth=1
	s_or_b64 exec, exec, s[22:23]
	s_lshl_b64 s[18:19], s[20:21], 12
	v_mov_b32_e32 v7, s19
	v_add_co_u32_e32 v6, vcc, s18, v24
	v_addc_co_u32_e32 v7, vcc, v25, v7, vcc
	v_or_b32_e32 v25, v0, v26
	v_cmp_gt_u64_e64 vcc, s[12:13], 56
	s_lshl_b32 s18, s14, 2
	v_cndmask_b32_e32 v0, v25, v0, vcc
	s_add_i32 s18, s18, 28
	v_or_b32_e32 v24, 0, v1
	s_and_b32 s18, s18, 0x1e0
	v_and_b32_e32 v0, 0xffffff1f, v0
	v_cndmask_b32_e32 v1, v24, v1, vcc
	v_or_b32_e32 v0, s18, v0
	v_readfirstlane_b32 s18, v6
	v_readfirstlane_b32 s19, v7
	s_nop 4
	global_store_dwordx4 v34, v[0:3], s[18:19]
	global_store_dwordx4 v34, v[10:13], s[18:19] offset:16
	global_store_dwordx4 v34, v[14:17], s[18:19] offset:32
	;; [unrolled: 1-line block ×3, first 2 shown]
	s_and_saveexec_b64 s[18:19], s[4:5]
	s_cbranch_execz .LBB73_99
; %bb.92:                               ;   in Loop: Header=BB73_28 Depth=1
	global_load_dwordx2 v[14:15], v29, s[6:7] offset:32 glc
	global_load_dwordx2 v[0:1], v29, s[6:7] offset:40
	v_mov_b32_e32 v12, s16
	v_mov_b32_e32 v13, s17
	s_waitcnt vmcnt(0)
	v_readfirstlane_b32 s20, v0
	v_readfirstlane_b32 s21, v1
	s_and_b64 s[20:21], s[20:21], s[16:17]
	s_mul_i32 s21, s21, 24
	s_mul_hi_u32 s22, s20, 24
	s_mul_i32 s20, s20, 24
	s_add_i32 s21, s22, s21
	v_mov_b32_e32 v0, s21
	v_add_co_u32_e32 v10, vcc, s20, v22
	v_addc_co_u32_e32 v11, vcc, v23, v0, vcc
	global_store_dwordx2 v[10:11], v[14:15], off
	buffer_wbl2
	s_waitcnt vmcnt(0)
	global_atomic_cmpswap_x2 v[2:3], v29, v[12:15], s[6:7] offset:32 glc
	s_waitcnt vmcnt(0)
	v_cmp_ne_u64_e32 vcc, v[2:3], v[14:15]
	s_and_saveexec_b64 s[20:21], vcc
	s_cbranch_execz .LBB73_95
; %bb.93:                               ;   in Loop: Header=BB73_28 Depth=1
	s_mov_b64 s[22:23], 0
.LBB73_94:                              ;   Parent Loop BB73_28 Depth=1
                                        ; =>  This Inner Loop Header: Depth=2
	s_sleep 1
	global_store_dwordx2 v[10:11], v[2:3], off
	v_mov_b32_e32 v0, s16
	v_mov_b32_e32 v1, s17
	buffer_wbl2
	s_waitcnt vmcnt(0)
	global_atomic_cmpswap_x2 v[0:1], v29, v[0:3], s[6:7] offset:32 glc
	s_waitcnt vmcnt(0)
	v_cmp_eq_u64_e32 vcc, v[0:1], v[2:3]
	s_or_b64 s[22:23], vcc, s[22:23]
	v_pk_mov_b32 v[2:3], v[0:1], v[0:1] op_sel:[0,1]
	s_andn2_b64 exec, exec, s[22:23]
	s_cbranch_execnz .LBB73_94
.LBB73_95:                              ;   in Loop: Header=BB73_28 Depth=1
	s_or_b64 exec, exec, s[20:21]
	global_load_dwordx2 v[0:1], v29, s[6:7] offset:16
	s_mov_b64 s[22:23], exec
	v_mbcnt_lo_u32_b32 v2, s22, 0
	v_mbcnt_hi_u32_b32 v2, s23, v2
	v_cmp_eq_u32_e32 vcc, 0, v2
	s_and_saveexec_b64 s[20:21], vcc
	s_cbranch_execz .LBB73_97
; %bb.96:                               ;   in Loop: Header=BB73_28 Depth=1
	s_bcnt1_i32_b64 s22, s[22:23]
	v_mov_b32_e32 v28, s22
	buffer_wbl2
	s_waitcnt vmcnt(0)
	global_atomic_add_x2 v[0:1], v[28:29], off offset:8
.LBB73_97:                              ;   in Loop: Header=BB73_28 Depth=1
	s_or_b64 exec, exec, s[20:21]
	s_waitcnt vmcnt(0)
	global_load_dwordx2 v[2:3], v[0:1], off offset:16
	s_waitcnt vmcnt(0)
	v_cmp_eq_u64_e32 vcc, 0, v[2:3]
	s_cbranch_vccnz .LBB73_99
; %bb.98:                               ;   in Loop: Header=BB73_28 Depth=1
	global_load_dword v28, v[0:1], off offset:24
	s_waitcnt vmcnt(0)
	v_and_b32_e32 v0, 0xffffff, v28
	v_readfirstlane_b32 m0, v0
	buffer_wbl2
	global_store_dwordx2 v[2:3], v[28:29], off
	s_sendmsg sendmsg(MSG_INTERRUPT)
.LBB73_99:                              ;   in Loop: Header=BB73_28 Depth=1
	s_or_b64 exec, exec, s[18:19]
	v_add_co_u32_e32 v0, vcc, v6, v34
	v_addc_co_u32_e32 v1, vcc, 0, v7, vcc
	s_branch .LBB73_103
.LBB73_100:                             ;   in Loop: Header=BB73_103 Depth=2
	s_or_b64 exec, exec, s[18:19]
	v_readfirstlane_b32 s18, v2
	s_cmp_eq_u32 s18, 0
	s_cbranch_scc1 .LBB73_102
; %bb.101:                              ;   in Loop: Header=BB73_103 Depth=2
	s_sleep 1
	s_cbranch_execnz .LBB73_103
	s_branch .LBB73_105
.LBB73_102:                             ;   in Loop: Header=BB73_28 Depth=1
	s_branch .LBB73_105
.LBB73_103:                             ;   Parent Loop BB73_28 Depth=1
                                        ; =>  This Inner Loop Header: Depth=2
	v_mov_b32_e32 v2, 1
	s_and_saveexec_b64 s[18:19], s[4:5]
	s_cbranch_execz .LBB73_100
; %bb.104:                              ;   in Loop: Header=BB73_103 Depth=2
	global_load_dword v2, v[30:31], off offset:20 glc
	s_waitcnt vmcnt(0)
	buffer_invl2
	buffer_wbinvl1_vol
	v_and_b32_e32 v2, 1, v2
	s_branch .LBB73_100
.LBB73_105:                             ;   in Loop: Header=BB73_28 Depth=1
	global_load_dwordx4 v[0:3], v[0:1], off
	s_and_saveexec_b64 s[18:19], s[4:5]
	s_cbranch_execz .LBB73_27
; %bb.106:                              ;   in Loop: Header=BB73_28 Depth=1
	global_load_dwordx2 v[2:3], v29, s[6:7] offset:40
	global_load_dwordx2 v[6:7], v29, s[6:7] offset:24 glc
	global_load_dwordx2 v[14:15], v29, s[6:7]
	v_mov_b32_e32 v11, s17
	s_waitcnt vmcnt(2)
	v_add_co_u32_e32 v13, vcc, 1, v2
	v_addc_co_u32_e32 v16, vcc, 0, v3, vcc
	v_add_co_u32_e32 v10, vcc, s16, v13
	v_addc_co_u32_e32 v11, vcc, v16, v11, vcc
	v_cmp_eq_u64_e32 vcc, 0, v[10:11]
	v_cndmask_b32_e32 v11, v11, v16, vcc
	v_cndmask_b32_e32 v10, v10, v13, vcc
	v_and_b32_e32 v3, v11, v3
	v_and_b32_e32 v2, v10, v2
	v_mul_lo_u32 v3, v3, 24
	v_mul_hi_u32 v13, v2, 24
	v_mul_lo_u32 v2, v2, 24
	v_add_u32_e32 v3, v13, v3
	s_waitcnt vmcnt(0)
	v_add_co_u32_e32 v2, vcc, v14, v2
	v_addc_co_u32_e32 v3, vcc, v15, v3, vcc
	v_mov_b32_e32 v12, v6
	global_store_dwordx2 v[2:3], v[6:7], off
	v_mov_b32_e32 v13, v7
	buffer_wbl2
	s_waitcnt vmcnt(0)
	global_atomic_cmpswap_x2 v[12:13], v29, v[10:13], s[6:7] offset:24 glc
	s_waitcnt vmcnt(0)
	v_cmp_ne_u64_e32 vcc, v[12:13], v[6:7]
	s_and_b64 exec, exec, vcc
	s_cbranch_execz .LBB73_27
; %bb.107:                              ;   in Loop: Header=BB73_28 Depth=1
	s_mov_b64 s[4:5], 0
.LBB73_108:                             ;   Parent Loop BB73_28 Depth=1
                                        ; =>  This Inner Loop Header: Depth=2
	s_sleep 1
	global_store_dwordx2 v[2:3], v[12:13], off
	buffer_wbl2
	s_waitcnt vmcnt(0)
	global_atomic_cmpswap_x2 v[6:7], v29, v[10:13], s[6:7] offset:24 glc
	s_waitcnt vmcnt(0)
	v_cmp_eq_u64_e32 vcc, v[6:7], v[12:13]
	s_or_b64 s[4:5], vcc, s[4:5]
	v_pk_mov_b32 v[12:13], v[6:7], v[6:7] op_sel:[0,1]
	s_andn2_b64 exec, exec, s[4:5]
	s_cbranch_execnz .LBB73_108
	s_branch .LBB73_27
.LBB73_109:
                                        ; implicit-def: $vgpr0_vgpr1
	s_cbranch_execnz .LBB73_111
	s_branch .LBB73_137
.LBB73_110:
	s_branch .LBB73_137
.LBB73_111:
	v_readfirstlane_b32 s4, v35
	v_cmp_eq_u32_e64 s[4:5], s4, v35
	v_pk_mov_b32 v[8:9], 0, 0
	s_and_saveexec_b64 s[10:11], s[4:5]
	s_cbranch_execz .LBB73_117
; %bb.112:
	s_waitcnt vmcnt(0)
	v_mov_b32_e32 v0, 0
	global_load_dwordx2 v[10:11], v0, s[6:7] offset:24 glc
	s_waitcnt vmcnt(0)
	buffer_invl2
	buffer_wbinvl1_vol
	global_load_dwordx2 v[2:3], v0, s[6:7] offset:40
	global_load_dwordx2 v[6:7], v0, s[6:7]
	s_waitcnt vmcnt(1)
	v_and_b32_e32 v1, v2, v10
	v_and_b32_e32 v2, v3, v11
	v_mul_lo_u32 v2, v2, 24
	v_mul_hi_u32 v3, v1, 24
	v_mul_lo_u32 v1, v1, 24
	v_add_u32_e32 v3, v3, v2
	s_waitcnt vmcnt(0)
	v_add_co_u32_e32 v2, vcc, v6, v1
	v_addc_co_u32_e32 v3, vcc, v7, v3, vcc
	global_load_dwordx2 v[8:9], v[2:3], off glc
	s_waitcnt vmcnt(0)
	global_atomic_cmpswap_x2 v[8:9], v0, v[8:11], s[6:7] offset:24 glc
	s_waitcnt vmcnt(0)
	buffer_invl2
	buffer_wbinvl1_vol
	v_cmp_ne_u64_e32 vcc, v[8:9], v[10:11]
	s_and_saveexec_b64 s[12:13], vcc
	s_cbranch_execz .LBB73_116
; %bb.113:
	s_mov_b64 s[14:15], 0
.LBB73_114:                             ; =>This Inner Loop Header: Depth=1
	s_sleep 1
	global_load_dwordx2 v[2:3], v0, s[6:7] offset:40
	global_load_dwordx2 v[6:7], v0, s[6:7]
	v_pk_mov_b32 v[10:11], v[8:9], v[8:9] op_sel:[0,1]
	s_waitcnt vmcnt(1)
	v_and_b32_e32 v2, v2, v10
	v_and_b32_e32 v1, v3, v11
	s_waitcnt vmcnt(0)
	v_mad_u64_u32 v[2:3], s[16:17], v2, 24, v[6:7]
	v_mov_b32_e32 v6, v3
	v_mad_u64_u32 v[6:7], s[16:17], v1, 24, v[6:7]
	v_mov_b32_e32 v3, v6
	global_load_dwordx2 v[8:9], v[2:3], off glc
	s_waitcnt vmcnt(0)
	global_atomic_cmpswap_x2 v[8:9], v0, v[8:11], s[6:7] offset:24 glc
	s_waitcnt vmcnt(0)
	buffer_invl2
	buffer_wbinvl1_vol
	v_cmp_eq_u64_e32 vcc, v[8:9], v[10:11]
	s_or_b64 s[14:15], vcc, s[14:15]
	s_andn2_b64 exec, exec, s[14:15]
	s_cbranch_execnz .LBB73_114
; %bb.115:
	s_or_b64 exec, exec, s[14:15]
.LBB73_116:
	s_or_b64 exec, exec, s[12:13]
.LBB73_117:
	s_or_b64 exec, exec, s[10:11]
	v_mov_b32_e32 v6, 0
	global_load_dwordx2 v[10:11], v6, s[6:7] offset:40
	global_load_dwordx4 v[0:3], v6, s[6:7]
	v_readfirstlane_b32 s10, v8
	v_readfirstlane_b32 s11, v9
	s_mov_b64 s[12:13], exec
	s_waitcnt vmcnt(1)
	v_readfirstlane_b32 s14, v10
	v_readfirstlane_b32 s15, v11
	s_and_b64 s[14:15], s[10:11], s[14:15]
	s_mul_i32 s16, s15, 24
	s_mul_hi_u32 s17, s14, 24
	s_mul_i32 s18, s14, 24
	s_add_i32 s16, s17, s16
	v_mov_b32_e32 v7, s16
	s_waitcnt vmcnt(0)
	v_add_co_u32_e32 v8, vcc, s18, v0
	v_addc_co_u32_e32 v9, vcc, v1, v7, vcc
	s_and_saveexec_b64 s[16:17], s[4:5]
	s_cbranch_execz .LBB73_119
; %bb.118:
	v_pk_mov_b32 v[10:11], s[12:13], s[12:13] op_sel:[0,1]
	v_mov_b32_e32 v12, 2
	v_mov_b32_e32 v13, 1
	global_store_dwordx4 v[8:9], v[10:13], off offset:8
.LBB73_119:
	s_or_b64 exec, exec, s[16:17]
	s_lshl_b64 s[12:13], s[14:15], 12
	v_mov_b32_e32 v7, s13
	v_add_co_u32_e32 v2, vcc, s12, v2
	s_movk_i32 s12, 0xff1f
	v_addc_co_u32_e32 v3, vcc, v3, v7, vcc
	v_and_or_b32 v4, v4, s12, 32
	s_mov_b32 s12, 0
	v_add_co_u32_e32 v10, vcc, v2, v34
	v_mov_b32_e32 v7, v6
	v_readfirstlane_b32 s16, v2
	v_readfirstlane_b32 s17, v3
	s_mov_b32 s13, s12
	v_addc_co_u32_e32 v11, vcc, 0, v3, vcc
	s_mov_b32 s14, s12
	s_mov_b32 s15, s12
	s_nop 0
	global_store_dwordx4 v34, v[4:7], s[16:17]
	v_pk_mov_b32 v[2:3], s[12:13], s[12:13] op_sel:[0,1]
	v_pk_mov_b32 v[4:5], s[14:15], s[14:15] op_sel:[0,1]
	global_store_dwordx4 v34, v[2:5], s[16:17] offset:16
	global_store_dwordx4 v34, v[2:5], s[16:17] offset:32
	;; [unrolled: 1-line block ×3, first 2 shown]
	s_and_saveexec_b64 s[12:13], s[4:5]
	s_cbranch_execz .LBB73_127
; %bb.120:
	v_mov_b32_e32 v6, 0
	global_load_dwordx2 v[14:15], v6, s[6:7] offset:32 glc
	global_load_dwordx2 v[2:3], v6, s[6:7] offset:40
	v_mov_b32_e32 v12, s10
	v_mov_b32_e32 v13, s11
	s_waitcnt vmcnt(0)
	v_readfirstlane_b32 s14, v2
	v_readfirstlane_b32 s15, v3
	s_and_b64 s[14:15], s[14:15], s[10:11]
	s_mul_i32 s15, s15, 24
	s_mul_hi_u32 s16, s14, 24
	s_mul_i32 s14, s14, 24
	s_add_i32 s15, s16, s15
	v_mov_b32_e32 v2, s15
	v_add_co_u32_e32 v4, vcc, s14, v0
	v_addc_co_u32_e32 v5, vcc, v1, v2, vcc
	global_store_dwordx2 v[4:5], v[14:15], off
	buffer_wbl2
	s_waitcnt vmcnt(0)
	global_atomic_cmpswap_x2 v[2:3], v6, v[12:15], s[6:7] offset:32 glc
	s_waitcnt vmcnt(0)
	v_cmp_ne_u64_e32 vcc, v[2:3], v[14:15]
	s_and_saveexec_b64 s[14:15], vcc
	s_cbranch_execz .LBB73_123
; %bb.121:
	s_mov_b64 s[16:17], 0
.LBB73_122:                             ; =>This Inner Loop Header: Depth=1
	s_sleep 1
	global_store_dwordx2 v[4:5], v[2:3], off
	v_mov_b32_e32 v0, s10
	v_mov_b32_e32 v1, s11
	buffer_wbl2
	s_waitcnt vmcnt(0)
	global_atomic_cmpswap_x2 v[0:1], v6, v[0:3], s[6:7] offset:32 glc
	s_waitcnt vmcnt(0)
	v_cmp_eq_u64_e32 vcc, v[0:1], v[2:3]
	s_or_b64 s[16:17], vcc, s[16:17]
	v_pk_mov_b32 v[2:3], v[0:1], v[0:1] op_sel:[0,1]
	s_andn2_b64 exec, exec, s[16:17]
	s_cbranch_execnz .LBB73_122
.LBB73_123:
	s_or_b64 exec, exec, s[14:15]
	v_mov_b32_e32 v3, 0
	global_load_dwordx2 v[0:1], v3, s[6:7] offset:16
	s_mov_b64 s[14:15], exec
	v_mbcnt_lo_u32_b32 v2, s14, 0
	v_mbcnt_hi_u32_b32 v2, s15, v2
	v_cmp_eq_u32_e32 vcc, 0, v2
	s_and_saveexec_b64 s[16:17], vcc
	s_cbranch_execz .LBB73_125
; %bb.124:
	s_bcnt1_i32_b64 s14, s[14:15]
	v_mov_b32_e32 v2, s14
	buffer_wbl2
	s_waitcnt vmcnt(0)
	global_atomic_add_x2 v[0:1], v[2:3], off offset:8
.LBB73_125:
	s_or_b64 exec, exec, s[16:17]
	s_waitcnt vmcnt(0)
	global_load_dwordx2 v[2:3], v[0:1], off offset:16
	s_waitcnt vmcnt(0)
	v_cmp_eq_u64_e32 vcc, 0, v[2:3]
	s_cbranch_vccnz .LBB73_127
; %bb.126:
	global_load_dword v0, v[0:1], off offset:24
	v_mov_b32_e32 v1, 0
	buffer_wbl2
	s_waitcnt vmcnt(0)
	global_store_dwordx2 v[2:3], v[0:1], off
	v_and_b32_e32 v0, 0xffffff, v0
	v_readfirstlane_b32 m0, v0
	s_sendmsg sendmsg(MSG_INTERRUPT)
.LBB73_127:
	s_or_b64 exec, exec, s[12:13]
	s_branch .LBB73_131
.LBB73_128:                             ;   in Loop: Header=BB73_131 Depth=1
	s_or_b64 exec, exec, s[12:13]
	v_readfirstlane_b32 s12, v0
	s_cmp_eq_u32 s12, 0
	s_cbranch_scc1 .LBB73_130
; %bb.129:                              ;   in Loop: Header=BB73_131 Depth=1
	s_sleep 1
	s_cbranch_execnz .LBB73_131
	s_branch .LBB73_133
.LBB73_130:
	s_branch .LBB73_133
.LBB73_131:                             ; =>This Inner Loop Header: Depth=1
	v_mov_b32_e32 v0, 1
	s_and_saveexec_b64 s[12:13], s[4:5]
	s_cbranch_execz .LBB73_128
; %bb.132:                              ;   in Loop: Header=BB73_131 Depth=1
	global_load_dword v0, v[8:9], off offset:20 glc
	s_waitcnt vmcnt(0)
	buffer_invl2
	buffer_wbinvl1_vol
	v_and_b32_e32 v0, 1, v0
	s_branch .LBB73_128
.LBB73_133:
	global_load_dwordx2 v[0:1], v[10:11], off
	s_and_saveexec_b64 s[12:13], s[4:5]
	s_cbranch_execz .LBB73_136
; %bb.134:
	v_mov_b32_e32 v8, 0
	global_load_dwordx2 v[6:7], v8, s[6:7] offset:40
	global_load_dwordx2 v[10:11], v8, s[6:7] offset:24 glc
	global_load_dwordx2 v[12:13], v8, s[6:7]
	v_mov_b32_e32 v3, s11
	s_mov_b64 s[4:5], 0
	s_waitcnt vmcnt(2)
	v_add_co_u32_e32 v5, vcc, 1, v6
	v_addc_co_u32_e32 v9, vcc, 0, v7, vcc
	v_add_co_u32_e32 v2, vcc, s10, v5
	v_addc_co_u32_e32 v3, vcc, v9, v3, vcc
	v_cmp_eq_u64_e32 vcc, 0, v[2:3]
	v_cndmask_b32_e32 v3, v3, v9, vcc
	v_cndmask_b32_e32 v2, v2, v5, vcc
	v_and_b32_e32 v5, v3, v7
	v_and_b32_e32 v6, v2, v6
	v_mul_lo_u32 v5, v5, 24
	v_mul_hi_u32 v7, v6, 24
	v_mul_lo_u32 v6, v6, 24
	v_add_u32_e32 v5, v7, v5
	s_waitcnt vmcnt(0)
	v_add_co_u32_e32 v6, vcc, v12, v6
	v_addc_co_u32_e32 v7, vcc, v13, v5, vcc
	v_mov_b32_e32 v4, v10
	global_store_dwordx2 v[6:7], v[10:11], off
	v_mov_b32_e32 v5, v11
	buffer_wbl2
	s_waitcnt vmcnt(0)
	global_atomic_cmpswap_x2 v[4:5], v8, v[2:5], s[6:7] offset:24 glc
	s_waitcnt vmcnt(0)
	v_cmp_ne_u64_e32 vcc, v[4:5], v[10:11]
	s_and_b64 exec, exec, vcc
	s_cbranch_execz .LBB73_136
.LBB73_135:                             ; =>This Inner Loop Header: Depth=1
	s_sleep 1
	global_store_dwordx2 v[6:7], v[4:5], off
	buffer_wbl2
	s_waitcnt vmcnt(0)
	global_atomic_cmpswap_x2 v[10:11], v8, v[2:5], s[6:7] offset:24 glc
	s_waitcnt vmcnt(0)
	v_cmp_eq_u64_e32 vcc, v[10:11], v[4:5]
	s_or_b64 s[4:5], vcc, s[4:5]
	v_pk_mov_b32 v[4:5], v[10:11], v[10:11] op_sel:[0,1]
	s_andn2_b64 exec, exec, s[4:5]
	s_cbranch_execnz .LBB73_135
.LBB73_136:
	s_or_b64 exec, exec, s[12:13]
.LBB73_137:
	s_getpc_b64 s[10:11]
	s_add_u32 s10, s10, .str.1@rel32@lo+4
	s_addc_u32 s11, s11, .str.1@rel32@hi+12
	s_cmp_lg_u64 s[10:11], 0
	s_cselect_b64 s[4:5], -1, 0
	s_cmp_eq_u64 s[10:11], 0
	s_mov_b64 s[10:11], 0
	s_cbranch_scc1 .LBB73_141
; %bb.138:
	s_waitcnt vmcnt(0)
	v_mov_b32_e32 v2, 0
	s_getpc_b64 s[10:11]
	s_add_u32 s10, s10, .str.1@rel32@lo+3
	s_addc_u32 s11, s11, .str.1@rel32@hi+11
.LBB73_139:                             ; =>This Inner Loop Header: Depth=1
	global_load_ubyte v3, v2, s[10:11] offset:1
	s_add_u32 s12, s10, 1
	s_addc_u32 s13, s11, 0
	s_mov_b64 s[10:11], s[12:13]
	s_waitcnt vmcnt(0)
	v_cmp_ne_u16_e32 vcc, 0, v3
	s_cbranch_vccnz .LBB73_139
; %bb.140:
	s_getpc_b64 s[10:11]
	s_add_u32 s10, s10, .str.1@rel32@lo+4
	s_addc_u32 s11, s11, .str.1@rel32@hi+12
	s_sub_u32 s10, s12, s10
	s_subb_u32 s11, s13, s11
	s_add_u32 s10, s10, 1
	s_addc_u32 s11, s11, 0
.LBB73_141:
	s_and_b64 vcc, exec, s[4:5]
	s_cbranch_vccz .LBB73_225
; %bb.142:
	s_waitcnt vmcnt(0)
	v_and_b32_e32 v28, 2, v0
	v_mov_b32_e32 v31, 0
	v_and_b32_e32 v2, -3, v0
	v_mov_b32_e32 v3, v1
	v_mov_b32_e32 v6, 2
	;; [unrolled: 1-line block ×3, first 2 shown]
	s_getpc_b64 s[12:13]
	s_add_u32 s12, s12, .str.1@rel32@lo+4
	s_addc_u32 s13, s13, .str.1@rel32@hi+12
	s_branch .LBB73_144
.LBB73_143:                             ;   in Loop: Header=BB73_144 Depth=1
	s_or_b64 exec, exec, s[18:19]
	s_sub_u32 s10, s10, s14
	s_subb_u32 s11, s11, s15
	s_add_u32 s12, s12, s14
	s_addc_u32 s13, s13, s15
	s_cmp_lg_u64 s[10:11], 0
	s_cbranch_scc0 .LBB73_226
.LBB73_144:                             ; =>This Loop Header: Depth=1
                                        ;     Child Loop BB73_147 Depth 2
                                        ;     Child Loop BB73_154 Depth 2
	;; [unrolled: 1-line block ×11, first 2 shown]
	v_cmp_lt_u64_e64 s[4:5], s[10:11], 56
	s_and_b64 s[4:5], s[4:5], exec
	v_cmp_gt_u64_e64 s[4:5], s[10:11], 7
	s_cselect_b32 s15, s11, 0
	s_cselect_b32 s14, s10, 56
	s_and_b64 vcc, exec, s[4:5]
	s_cbranch_vccnz .LBB73_149
; %bb.145:                              ;   in Loop: Header=BB73_144 Depth=1
	s_mov_b64 s[4:5], 0
	s_cmp_eq_u64 s[10:11], 0
	v_pk_mov_b32 v[10:11], 0, 0
	s_cbranch_scc1 .LBB73_148
; %bb.146:                              ;   in Loop: Header=BB73_144 Depth=1
	s_lshl_b64 s[16:17], s[14:15], 3
	s_mov_b64 s[18:19], 0
	v_pk_mov_b32 v[10:11], 0, 0
	s_mov_b64 s[20:21], s[12:13]
.LBB73_147:                             ;   Parent Loop BB73_144 Depth=1
                                        ; =>  This Inner Loop Header: Depth=2
	global_load_ubyte v4, v31, s[20:21]
	s_waitcnt vmcnt(0)
	v_and_b32_e32 v30, 0xffff, v4
	v_lshlrev_b64 v[4:5], s18, v[30:31]
	s_add_u32 s18, s18, 8
	s_addc_u32 s19, s19, 0
	s_add_u32 s20, s20, 1
	s_addc_u32 s21, s21, 0
	v_or_b32_e32 v10, v4, v10
	s_cmp_lg_u32 s16, s18
	v_or_b32_e32 v11, v5, v11
	s_cbranch_scc1 .LBB73_147
.LBB73_148:                             ;   in Loop: Header=BB73_144 Depth=1
	s_mov_b32 s20, 0
	s_andn2_b64 vcc, exec, s[4:5]
	s_mov_b64 s[4:5], s[12:13]
	s_cbranch_vccz .LBB73_150
	s_branch .LBB73_151
.LBB73_149:                             ;   in Loop: Header=BB73_144 Depth=1
                                        ; implicit-def: $vgpr10_vgpr11
                                        ; implicit-def: $sgpr20
	s_mov_b64 s[4:5], s[12:13]
.LBB73_150:                             ;   in Loop: Header=BB73_144 Depth=1
	global_load_dwordx2 v[10:11], v31, s[12:13]
	s_add_i32 s20, s14, -8
	s_add_u32 s4, s12, 8
	s_addc_u32 s5, s13, 0
.LBB73_151:                             ;   in Loop: Header=BB73_144 Depth=1
	s_cmp_gt_u32 s20, 7
	s_cbranch_scc1 .LBB73_155
; %bb.152:                              ;   in Loop: Header=BB73_144 Depth=1
	s_cmp_eq_u32 s20, 0
	s_cbranch_scc1 .LBB73_156
; %bb.153:                              ;   in Loop: Header=BB73_144 Depth=1
	s_mov_b64 s[16:17], 0
	v_pk_mov_b32 v[12:13], 0, 0
	s_mov_b64 s[18:19], 0
.LBB73_154:                             ;   Parent Loop BB73_144 Depth=1
                                        ; =>  This Inner Loop Header: Depth=2
	s_add_u32 s22, s4, s18
	s_addc_u32 s23, s5, s19
	global_load_ubyte v4, v31, s[22:23]
	s_add_u32 s18, s18, 1
	s_addc_u32 s19, s19, 0
	s_waitcnt vmcnt(0)
	v_and_b32_e32 v30, 0xffff, v4
	v_lshlrev_b64 v[4:5], s16, v[30:31]
	s_add_u32 s16, s16, 8
	s_addc_u32 s17, s17, 0
	v_or_b32_e32 v12, v4, v12
	s_cmp_lg_u32 s20, s18
	v_or_b32_e32 v13, v5, v13
	s_cbranch_scc1 .LBB73_154
	s_branch .LBB73_157
.LBB73_155:                             ;   in Loop: Header=BB73_144 Depth=1
                                        ; implicit-def: $vgpr12_vgpr13
                                        ; implicit-def: $sgpr21
	s_branch .LBB73_158
.LBB73_156:                             ;   in Loop: Header=BB73_144 Depth=1
	v_pk_mov_b32 v[12:13], 0, 0
.LBB73_157:                             ;   in Loop: Header=BB73_144 Depth=1
	s_mov_b32 s21, 0
	s_cbranch_execnz .LBB73_159
.LBB73_158:                             ;   in Loop: Header=BB73_144 Depth=1
	global_load_dwordx2 v[12:13], v31, s[4:5]
	s_add_i32 s21, s20, -8
	s_add_u32 s4, s4, 8
	s_addc_u32 s5, s5, 0
.LBB73_159:                             ;   in Loop: Header=BB73_144 Depth=1
	s_cmp_gt_u32 s21, 7
	s_cbranch_scc1 .LBB73_163
; %bb.160:                              ;   in Loop: Header=BB73_144 Depth=1
	s_cmp_eq_u32 s21, 0
	s_cbranch_scc1 .LBB73_164
; %bb.161:                              ;   in Loop: Header=BB73_144 Depth=1
	s_mov_b64 s[16:17], 0
	v_pk_mov_b32 v[14:15], 0, 0
	s_mov_b64 s[18:19], 0
.LBB73_162:                             ;   Parent Loop BB73_144 Depth=1
                                        ; =>  This Inner Loop Header: Depth=2
	s_add_u32 s22, s4, s18
	s_addc_u32 s23, s5, s19
	global_load_ubyte v4, v31, s[22:23]
	s_add_u32 s18, s18, 1
	s_addc_u32 s19, s19, 0
	s_waitcnt vmcnt(0)
	v_and_b32_e32 v30, 0xffff, v4
	v_lshlrev_b64 v[4:5], s16, v[30:31]
	s_add_u32 s16, s16, 8
	s_addc_u32 s17, s17, 0
	v_or_b32_e32 v14, v4, v14
	s_cmp_lg_u32 s21, s18
	v_or_b32_e32 v15, v5, v15
	s_cbranch_scc1 .LBB73_162
	s_branch .LBB73_165
.LBB73_163:                             ;   in Loop: Header=BB73_144 Depth=1
                                        ; implicit-def: $sgpr20
	s_branch .LBB73_166
.LBB73_164:                             ;   in Loop: Header=BB73_144 Depth=1
	v_pk_mov_b32 v[14:15], 0, 0
.LBB73_165:                             ;   in Loop: Header=BB73_144 Depth=1
	s_mov_b32 s20, 0
	s_cbranch_execnz .LBB73_167
.LBB73_166:                             ;   in Loop: Header=BB73_144 Depth=1
	global_load_dwordx2 v[14:15], v31, s[4:5]
	s_add_i32 s20, s21, -8
	s_add_u32 s4, s4, 8
	s_addc_u32 s5, s5, 0
.LBB73_167:                             ;   in Loop: Header=BB73_144 Depth=1
	s_cmp_gt_u32 s20, 7
	s_cbranch_scc1 .LBB73_171
; %bb.168:                              ;   in Loop: Header=BB73_144 Depth=1
	s_cmp_eq_u32 s20, 0
	s_cbranch_scc1 .LBB73_172
; %bb.169:                              ;   in Loop: Header=BB73_144 Depth=1
	s_mov_b64 s[16:17], 0
	v_pk_mov_b32 v[16:17], 0, 0
	s_mov_b64 s[18:19], 0
.LBB73_170:                             ;   Parent Loop BB73_144 Depth=1
                                        ; =>  This Inner Loop Header: Depth=2
	s_add_u32 s22, s4, s18
	s_addc_u32 s23, s5, s19
	global_load_ubyte v4, v31, s[22:23]
	s_add_u32 s18, s18, 1
	s_addc_u32 s19, s19, 0
	s_waitcnt vmcnt(0)
	v_and_b32_e32 v30, 0xffff, v4
	v_lshlrev_b64 v[4:5], s16, v[30:31]
	s_add_u32 s16, s16, 8
	s_addc_u32 s17, s17, 0
	v_or_b32_e32 v16, v4, v16
	s_cmp_lg_u32 s20, s18
	v_or_b32_e32 v17, v5, v17
	s_cbranch_scc1 .LBB73_170
	s_branch .LBB73_173
.LBB73_171:                             ;   in Loop: Header=BB73_144 Depth=1
                                        ; implicit-def: $vgpr16_vgpr17
                                        ; implicit-def: $sgpr21
	s_branch .LBB73_174
.LBB73_172:                             ;   in Loop: Header=BB73_144 Depth=1
	v_pk_mov_b32 v[16:17], 0, 0
.LBB73_173:                             ;   in Loop: Header=BB73_144 Depth=1
	s_mov_b32 s21, 0
	s_cbranch_execnz .LBB73_175
.LBB73_174:                             ;   in Loop: Header=BB73_144 Depth=1
	global_load_dwordx2 v[16:17], v31, s[4:5]
	s_add_i32 s21, s20, -8
	s_add_u32 s4, s4, 8
	s_addc_u32 s5, s5, 0
.LBB73_175:                             ;   in Loop: Header=BB73_144 Depth=1
	s_cmp_gt_u32 s21, 7
	s_cbranch_scc1 .LBB73_179
; %bb.176:                              ;   in Loop: Header=BB73_144 Depth=1
	s_cmp_eq_u32 s21, 0
	s_cbranch_scc1 .LBB73_180
; %bb.177:                              ;   in Loop: Header=BB73_144 Depth=1
	s_mov_b64 s[16:17], 0
	v_pk_mov_b32 v[18:19], 0, 0
	s_mov_b64 s[18:19], 0
.LBB73_178:                             ;   Parent Loop BB73_144 Depth=1
                                        ; =>  This Inner Loop Header: Depth=2
	s_add_u32 s22, s4, s18
	s_addc_u32 s23, s5, s19
	global_load_ubyte v4, v31, s[22:23]
	s_add_u32 s18, s18, 1
	s_addc_u32 s19, s19, 0
	s_waitcnt vmcnt(0)
	v_and_b32_e32 v30, 0xffff, v4
	v_lshlrev_b64 v[4:5], s16, v[30:31]
	s_add_u32 s16, s16, 8
	s_addc_u32 s17, s17, 0
	v_or_b32_e32 v18, v4, v18
	s_cmp_lg_u32 s21, s18
	v_or_b32_e32 v19, v5, v19
	s_cbranch_scc1 .LBB73_178
	s_branch .LBB73_181
.LBB73_179:                             ;   in Loop: Header=BB73_144 Depth=1
                                        ; implicit-def: $sgpr20
	s_branch .LBB73_182
.LBB73_180:                             ;   in Loop: Header=BB73_144 Depth=1
	v_pk_mov_b32 v[18:19], 0, 0
.LBB73_181:                             ;   in Loop: Header=BB73_144 Depth=1
	s_mov_b32 s20, 0
	s_cbranch_execnz .LBB73_183
.LBB73_182:                             ;   in Loop: Header=BB73_144 Depth=1
	global_load_dwordx2 v[18:19], v31, s[4:5]
	s_add_i32 s20, s21, -8
	s_add_u32 s4, s4, 8
	s_addc_u32 s5, s5, 0
.LBB73_183:                             ;   in Loop: Header=BB73_144 Depth=1
	s_cmp_gt_u32 s20, 7
	s_cbranch_scc1 .LBB73_187
; %bb.184:                              ;   in Loop: Header=BB73_144 Depth=1
	s_cmp_eq_u32 s20, 0
	s_cbranch_scc1 .LBB73_188
; %bb.185:                              ;   in Loop: Header=BB73_144 Depth=1
	s_mov_b64 s[16:17], 0
	v_pk_mov_b32 v[20:21], 0, 0
	s_mov_b64 s[18:19], 0
.LBB73_186:                             ;   Parent Loop BB73_144 Depth=1
                                        ; =>  This Inner Loop Header: Depth=2
	s_add_u32 s22, s4, s18
	s_addc_u32 s23, s5, s19
	global_load_ubyte v4, v31, s[22:23]
	s_add_u32 s18, s18, 1
	s_addc_u32 s19, s19, 0
	s_waitcnt vmcnt(0)
	v_and_b32_e32 v30, 0xffff, v4
	v_lshlrev_b64 v[4:5], s16, v[30:31]
	s_add_u32 s16, s16, 8
	s_addc_u32 s17, s17, 0
	v_or_b32_e32 v20, v4, v20
	s_cmp_lg_u32 s20, s18
	v_or_b32_e32 v21, v5, v21
	s_cbranch_scc1 .LBB73_186
	s_branch .LBB73_189
.LBB73_187:                             ;   in Loop: Header=BB73_144 Depth=1
                                        ; implicit-def: $vgpr20_vgpr21
                                        ; implicit-def: $sgpr21
	s_branch .LBB73_190
.LBB73_188:                             ;   in Loop: Header=BB73_144 Depth=1
	v_pk_mov_b32 v[20:21], 0, 0
.LBB73_189:                             ;   in Loop: Header=BB73_144 Depth=1
	s_mov_b32 s21, 0
	s_cbranch_execnz .LBB73_191
.LBB73_190:                             ;   in Loop: Header=BB73_144 Depth=1
	global_load_dwordx2 v[20:21], v31, s[4:5]
	s_add_i32 s21, s20, -8
	s_add_u32 s4, s4, 8
	s_addc_u32 s5, s5, 0
.LBB73_191:                             ;   in Loop: Header=BB73_144 Depth=1
	s_cmp_gt_u32 s21, 7
	s_cbranch_scc1 .LBB73_195
; %bb.192:                              ;   in Loop: Header=BB73_144 Depth=1
	s_cmp_eq_u32 s21, 0
	s_cbranch_scc1 .LBB73_196
; %bb.193:                              ;   in Loop: Header=BB73_144 Depth=1
	s_mov_b64 s[16:17], 0
	v_pk_mov_b32 v[22:23], 0, 0
	s_mov_b64 s[18:19], s[4:5]
.LBB73_194:                             ;   Parent Loop BB73_144 Depth=1
                                        ; =>  This Inner Loop Header: Depth=2
	global_load_ubyte v4, v31, s[18:19]
	s_add_i32 s21, s21, -1
	s_waitcnt vmcnt(0)
	v_and_b32_e32 v30, 0xffff, v4
	v_lshlrev_b64 v[4:5], s16, v[30:31]
	s_add_u32 s16, s16, 8
	s_addc_u32 s17, s17, 0
	s_add_u32 s18, s18, 1
	s_addc_u32 s19, s19, 0
	v_or_b32_e32 v22, v4, v22
	s_cmp_lg_u32 s21, 0
	v_or_b32_e32 v23, v5, v23
	s_cbranch_scc1 .LBB73_194
	s_branch .LBB73_197
.LBB73_195:                             ;   in Loop: Header=BB73_144 Depth=1
	s_branch .LBB73_198
.LBB73_196:                             ;   in Loop: Header=BB73_144 Depth=1
	v_pk_mov_b32 v[22:23], 0, 0
.LBB73_197:                             ;   in Loop: Header=BB73_144 Depth=1
	s_cbranch_execnz .LBB73_199
.LBB73_198:                             ;   in Loop: Header=BB73_144 Depth=1
	global_load_dwordx2 v[22:23], v31, s[4:5]
.LBB73_199:                             ;   in Loop: Header=BB73_144 Depth=1
	v_readfirstlane_b32 s4, v35
	v_cmp_eq_u32_e64 s[4:5], s4, v35
	s_waitcnt vmcnt(0)
	v_pk_mov_b32 v[4:5], 0, 0
	s_and_saveexec_b64 s[16:17], s[4:5]
	s_cbranch_execz .LBB73_205
; %bb.200:                              ;   in Loop: Header=BB73_144 Depth=1
	global_load_dwordx2 v[26:27], v31, s[6:7] offset:24 glc
	s_waitcnt vmcnt(0)
	buffer_invl2
	buffer_wbinvl1_vol
	global_load_dwordx2 v[4:5], v31, s[6:7] offset:40
	global_load_dwordx2 v[8:9], v31, s[6:7]
	s_waitcnt vmcnt(1)
	v_and_b32_e32 v4, v4, v26
	v_and_b32_e32 v5, v5, v27
	v_mul_lo_u32 v5, v5, 24
	v_mul_hi_u32 v24, v4, 24
	v_mul_lo_u32 v4, v4, 24
	v_add_u32_e32 v5, v24, v5
	s_waitcnt vmcnt(0)
	v_add_co_u32_e32 v4, vcc, v8, v4
	v_addc_co_u32_e32 v5, vcc, v9, v5, vcc
	global_load_dwordx2 v[24:25], v[4:5], off glc
	s_waitcnt vmcnt(0)
	global_atomic_cmpswap_x2 v[4:5], v31, v[24:27], s[6:7] offset:24 glc
	s_waitcnt vmcnt(0)
	buffer_invl2
	buffer_wbinvl1_vol
	v_cmp_ne_u64_e32 vcc, v[4:5], v[26:27]
	s_and_saveexec_b64 s[18:19], vcc
	s_cbranch_execz .LBB73_204
; %bb.201:                              ;   in Loop: Header=BB73_144 Depth=1
	s_mov_b64 s[20:21], 0
.LBB73_202:                             ;   Parent Loop BB73_144 Depth=1
                                        ; =>  This Inner Loop Header: Depth=2
	s_sleep 1
	global_load_dwordx2 v[8:9], v31, s[6:7] offset:40
	global_load_dwordx2 v[24:25], v31, s[6:7]
	v_pk_mov_b32 v[26:27], v[4:5], v[4:5] op_sel:[0,1]
	s_waitcnt vmcnt(1)
	v_and_b32_e32 v4, v8, v26
	s_waitcnt vmcnt(0)
	v_mad_u64_u32 v[4:5], s[22:23], v4, 24, v[24:25]
	v_and_b32_e32 v9, v9, v27
	v_mov_b32_e32 v8, v5
	v_mad_u64_u32 v[8:9], s[22:23], v9, 24, v[8:9]
	v_mov_b32_e32 v5, v8
	global_load_dwordx2 v[24:25], v[4:5], off glc
	s_waitcnt vmcnt(0)
	global_atomic_cmpswap_x2 v[4:5], v31, v[24:27], s[6:7] offset:24 glc
	s_waitcnt vmcnt(0)
	buffer_invl2
	buffer_wbinvl1_vol
	v_cmp_eq_u64_e32 vcc, v[4:5], v[26:27]
	s_or_b64 s[20:21], vcc, s[20:21]
	s_andn2_b64 exec, exec, s[20:21]
	s_cbranch_execnz .LBB73_202
; %bb.203:                              ;   in Loop: Header=BB73_144 Depth=1
	s_or_b64 exec, exec, s[20:21]
.LBB73_204:                             ;   in Loop: Header=BB73_144 Depth=1
	s_or_b64 exec, exec, s[18:19]
.LBB73_205:                             ;   in Loop: Header=BB73_144 Depth=1
	s_or_b64 exec, exec, s[16:17]
	global_load_dwordx2 v[8:9], v31, s[6:7] offset:40
	global_load_dwordx4 v[24:27], v31, s[6:7]
	v_readfirstlane_b32 s16, v4
	v_readfirstlane_b32 s17, v5
	s_mov_b64 s[18:19], exec
	s_waitcnt vmcnt(1)
	v_readfirstlane_b32 s20, v8
	v_readfirstlane_b32 s21, v9
	s_and_b64 s[20:21], s[16:17], s[20:21]
	s_mul_i32 s22, s21, 24
	s_mul_hi_u32 s23, s20, 24
	s_mul_i32 s24, s20, 24
	s_add_i32 s22, s23, s22
	v_mov_b32_e32 v4, s22
	s_waitcnt vmcnt(0)
	v_add_co_u32_e32 v32, vcc, s24, v24
	v_addc_co_u32_e32 v33, vcc, v25, v4, vcc
	s_and_saveexec_b64 s[22:23], s[4:5]
	s_cbranch_execz .LBB73_207
; %bb.206:                              ;   in Loop: Header=BB73_144 Depth=1
	v_pk_mov_b32 v[4:5], s[18:19], s[18:19] op_sel:[0,1]
	global_store_dwordx4 v[32:33], v[4:7], off offset:8
.LBB73_207:                             ;   in Loop: Header=BB73_144 Depth=1
	s_or_b64 exec, exec, s[22:23]
	s_lshl_b64 s[18:19], s[20:21], 12
	v_mov_b32_e32 v4, s19
	v_add_co_u32_e32 v26, vcc, s18, v26
	v_addc_co_u32_e32 v27, vcc, v27, v4, vcc
	v_or_b32_e32 v5, v2, v28
	v_cmp_gt_u64_e64 vcc, s[10:11], 56
	s_lshl_b32 s18, s14, 2
	v_cndmask_b32_e32 v2, v5, v2, vcc
	s_add_i32 s18, s18, 28
	v_or_b32_e32 v4, 0, v3
	s_and_b32 s18, s18, 0x1e0
	v_and_b32_e32 v2, 0xffffff1f, v2
	v_cndmask_b32_e32 v9, v4, v3, vcc
	v_or_b32_e32 v8, s18, v2
	v_readfirstlane_b32 s18, v26
	v_readfirstlane_b32 s19, v27
	s_nop 4
	global_store_dwordx4 v34, v[8:11], s[18:19]
	global_store_dwordx4 v34, v[12:15], s[18:19] offset:16
	global_store_dwordx4 v34, v[16:19], s[18:19] offset:32
	;; [unrolled: 1-line block ×3, first 2 shown]
	s_and_saveexec_b64 s[18:19], s[4:5]
	s_cbranch_execz .LBB73_215
; %bb.208:                              ;   in Loop: Header=BB73_144 Depth=1
	global_load_dwordx2 v[12:13], v31, s[6:7] offset:32 glc
	global_load_dwordx2 v[2:3], v31, s[6:7] offset:40
	v_mov_b32_e32 v10, s16
	v_mov_b32_e32 v11, s17
	s_waitcnt vmcnt(0)
	v_readfirstlane_b32 s20, v2
	v_readfirstlane_b32 s21, v3
	s_and_b64 s[20:21], s[20:21], s[16:17]
	s_mul_i32 s21, s21, 24
	s_mul_hi_u32 s22, s20, 24
	s_mul_i32 s20, s20, 24
	s_add_i32 s21, s22, s21
	v_mov_b32_e32 v2, s21
	v_add_co_u32_e32 v8, vcc, s20, v24
	v_addc_co_u32_e32 v9, vcc, v25, v2, vcc
	global_store_dwordx2 v[8:9], v[12:13], off
	buffer_wbl2
	s_waitcnt vmcnt(0)
	global_atomic_cmpswap_x2 v[4:5], v31, v[10:13], s[6:7] offset:32 glc
	s_waitcnt vmcnt(0)
	v_cmp_ne_u64_e32 vcc, v[4:5], v[12:13]
	s_and_saveexec_b64 s[20:21], vcc
	s_cbranch_execz .LBB73_211
; %bb.209:                              ;   in Loop: Header=BB73_144 Depth=1
	s_mov_b64 s[22:23], 0
.LBB73_210:                             ;   Parent Loop BB73_144 Depth=1
                                        ; =>  This Inner Loop Header: Depth=2
	s_sleep 1
	global_store_dwordx2 v[8:9], v[4:5], off
	v_mov_b32_e32 v2, s16
	v_mov_b32_e32 v3, s17
	buffer_wbl2
	s_waitcnt vmcnt(0)
	global_atomic_cmpswap_x2 v[2:3], v31, v[2:5], s[6:7] offset:32 glc
	s_waitcnt vmcnt(0)
	v_cmp_eq_u64_e32 vcc, v[2:3], v[4:5]
	s_or_b64 s[22:23], vcc, s[22:23]
	v_pk_mov_b32 v[4:5], v[2:3], v[2:3] op_sel:[0,1]
	s_andn2_b64 exec, exec, s[22:23]
	s_cbranch_execnz .LBB73_210
.LBB73_211:                             ;   in Loop: Header=BB73_144 Depth=1
	s_or_b64 exec, exec, s[20:21]
	global_load_dwordx2 v[2:3], v31, s[6:7] offset:16
	s_mov_b64 s[22:23], exec
	v_mbcnt_lo_u32_b32 v4, s22, 0
	v_mbcnt_hi_u32_b32 v4, s23, v4
	v_cmp_eq_u32_e32 vcc, 0, v4
	s_and_saveexec_b64 s[20:21], vcc
	s_cbranch_execz .LBB73_213
; %bb.212:                              ;   in Loop: Header=BB73_144 Depth=1
	s_bcnt1_i32_b64 s22, s[22:23]
	v_mov_b32_e32 v30, s22
	buffer_wbl2
	s_waitcnt vmcnt(0)
	global_atomic_add_x2 v[2:3], v[30:31], off offset:8
.LBB73_213:                             ;   in Loop: Header=BB73_144 Depth=1
	s_or_b64 exec, exec, s[20:21]
	s_waitcnt vmcnt(0)
	global_load_dwordx2 v[4:5], v[2:3], off offset:16
	s_waitcnt vmcnt(0)
	v_cmp_eq_u64_e32 vcc, 0, v[4:5]
	s_cbranch_vccnz .LBB73_215
; %bb.214:                              ;   in Loop: Header=BB73_144 Depth=1
	global_load_dword v30, v[2:3], off offset:24
	s_waitcnt vmcnt(0)
	v_and_b32_e32 v2, 0xffffff, v30
	v_readfirstlane_b32 m0, v2
	buffer_wbl2
	global_store_dwordx2 v[4:5], v[30:31], off
	s_sendmsg sendmsg(MSG_INTERRUPT)
.LBB73_215:                             ;   in Loop: Header=BB73_144 Depth=1
	s_or_b64 exec, exec, s[18:19]
	v_add_co_u32_e32 v2, vcc, v26, v34
	v_addc_co_u32_e32 v3, vcc, 0, v27, vcc
	s_branch .LBB73_219
.LBB73_216:                             ;   in Loop: Header=BB73_219 Depth=2
	s_or_b64 exec, exec, s[18:19]
	v_readfirstlane_b32 s18, v4
	s_cmp_eq_u32 s18, 0
	s_cbranch_scc1 .LBB73_218
; %bb.217:                              ;   in Loop: Header=BB73_219 Depth=2
	s_sleep 1
	s_cbranch_execnz .LBB73_219
	s_branch .LBB73_221
.LBB73_218:                             ;   in Loop: Header=BB73_144 Depth=1
	s_branch .LBB73_221
.LBB73_219:                             ;   Parent Loop BB73_144 Depth=1
                                        ; =>  This Inner Loop Header: Depth=2
	v_mov_b32_e32 v4, 1
	s_and_saveexec_b64 s[18:19], s[4:5]
	s_cbranch_execz .LBB73_216
; %bb.220:                              ;   in Loop: Header=BB73_219 Depth=2
	global_load_dword v4, v[32:33], off offset:20 glc
	s_waitcnt vmcnt(0)
	buffer_invl2
	buffer_wbinvl1_vol
	v_and_b32_e32 v4, 1, v4
	s_branch .LBB73_216
.LBB73_221:                             ;   in Loop: Header=BB73_144 Depth=1
	global_load_dwordx4 v[2:5], v[2:3], off
	s_and_saveexec_b64 s[18:19], s[4:5]
	s_cbranch_execz .LBB73_143
; %bb.222:                              ;   in Loop: Header=BB73_144 Depth=1
	global_load_dwordx2 v[4:5], v31, s[6:7] offset:40
	global_load_dwordx2 v[12:13], v31, s[6:7] offset:24 glc
	global_load_dwordx2 v[14:15], v31, s[6:7]
	v_mov_b32_e32 v9, s17
	s_waitcnt vmcnt(2)
	v_add_co_u32_e32 v11, vcc, 1, v4
	v_addc_co_u32_e32 v16, vcc, 0, v5, vcc
	v_add_co_u32_e32 v8, vcc, s16, v11
	v_addc_co_u32_e32 v9, vcc, v16, v9, vcc
	v_cmp_eq_u64_e32 vcc, 0, v[8:9]
	v_cndmask_b32_e32 v9, v9, v16, vcc
	v_cndmask_b32_e32 v8, v8, v11, vcc
	v_and_b32_e32 v5, v9, v5
	v_and_b32_e32 v4, v8, v4
	v_mul_lo_u32 v5, v5, 24
	v_mul_hi_u32 v11, v4, 24
	v_mul_lo_u32 v4, v4, 24
	v_add_u32_e32 v5, v11, v5
	s_waitcnt vmcnt(0)
	v_add_co_u32_e32 v4, vcc, v14, v4
	v_addc_co_u32_e32 v5, vcc, v15, v5, vcc
	v_mov_b32_e32 v10, v12
	global_store_dwordx2 v[4:5], v[12:13], off
	v_mov_b32_e32 v11, v13
	buffer_wbl2
	s_waitcnt vmcnt(0)
	global_atomic_cmpswap_x2 v[10:11], v31, v[8:11], s[6:7] offset:24 glc
	s_waitcnt vmcnt(0)
	v_cmp_ne_u64_e32 vcc, v[10:11], v[12:13]
	s_and_b64 exec, exec, vcc
	s_cbranch_execz .LBB73_143
; %bb.223:                              ;   in Loop: Header=BB73_144 Depth=1
	s_mov_b64 s[4:5], 0
.LBB73_224:                             ;   Parent Loop BB73_144 Depth=1
                                        ; =>  This Inner Loop Header: Depth=2
	s_sleep 1
	global_store_dwordx2 v[4:5], v[10:11], off
	buffer_wbl2
	s_waitcnt vmcnt(0)
	global_atomic_cmpswap_x2 v[12:13], v31, v[8:11], s[6:7] offset:24 glc
	s_waitcnt vmcnt(0)
	v_cmp_eq_u64_e32 vcc, v[12:13], v[10:11]
	s_or_b64 s[4:5], vcc, s[4:5]
	v_pk_mov_b32 v[10:11], v[12:13], v[12:13] op_sel:[0,1]
	s_andn2_b64 exec, exec, s[4:5]
	s_cbranch_execnz .LBB73_224
	s_branch .LBB73_143
.LBB73_225:
                                        ; implicit-def: $vgpr2_vgpr3
	s_cbranch_execnz .LBB73_227
	s_branch .LBB73_253
.LBB73_226:
	s_branch .LBB73_253
.LBB73_227:
	v_readfirstlane_b32 s4, v35
	v_cmp_eq_u32_e64 s[4:5], s4, v35
	v_pk_mov_b32 v[8:9], 0, 0
	s_and_saveexec_b64 s[10:11], s[4:5]
	s_cbranch_execz .LBB73_233
; %bb.228:
	s_waitcnt vmcnt(0)
	v_mov_b32_e32 v2, 0
	global_load_dwordx2 v[6:7], v2, s[6:7] offset:24 glc
	s_waitcnt vmcnt(0)
	buffer_invl2
	buffer_wbinvl1_vol
	global_load_dwordx2 v[4:5], v2, s[6:7] offset:40
	global_load_dwordx2 v[8:9], v2, s[6:7]
	s_waitcnt vmcnt(1)
	v_and_b32_e32 v3, v4, v6
	v_and_b32_e32 v4, v5, v7
	v_mul_lo_u32 v4, v4, 24
	v_mul_hi_u32 v5, v3, 24
	v_mul_lo_u32 v3, v3, 24
	v_add_u32_e32 v5, v5, v4
	s_waitcnt vmcnt(0)
	v_add_co_u32_e32 v4, vcc, v8, v3
	v_addc_co_u32_e32 v5, vcc, v9, v5, vcc
	global_load_dwordx2 v[4:5], v[4:5], off glc
	s_waitcnt vmcnt(0)
	global_atomic_cmpswap_x2 v[8:9], v2, v[4:7], s[6:7] offset:24 glc
	s_waitcnt vmcnt(0)
	buffer_invl2
	buffer_wbinvl1_vol
	v_cmp_ne_u64_e32 vcc, v[8:9], v[6:7]
	s_and_saveexec_b64 s[12:13], vcc
	s_cbranch_execz .LBB73_232
; %bb.229:
	s_mov_b64 s[14:15], 0
.LBB73_230:                             ; =>This Inner Loop Header: Depth=1
	s_sleep 1
	global_load_dwordx2 v[4:5], v2, s[6:7] offset:40
	global_load_dwordx2 v[10:11], v2, s[6:7]
	v_pk_mov_b32 v[6:7], v[8:9], v[8:9] op_sel:[0,1]
	s_waitcnt vmcnt(1)
	v_and_b32_e32 v4, v4, v6
	v_and_b32_e32 v3, v5, v7
	s_waitcnt vmcnt(0)
	v_mad_u64_u32 v[4:5], s[16:17], v4, 24, v[10:11]
	v_mov_b32_e32 v8, v5
	v_mad_u64_u32 v[8:9], s[16:17], v3, 24, v[8:9]
	v_mov_b32_e32 v5, v8
	global_load_dwordx2 v[4:5], v[4:5], off glc
	s_waitcnt vmcnt(0)
	global_atomic_cmpswap_x2 v[8:9], v2, v[4:7], s[6:7] offset:24 glc
	s_waitcnt vmcnt(0)
	buffer_invl2
	buffer_wbinvl1_vol
	v_cmp_eq_u64_e32 vcc, v[8:9], v[6:7]
	s_or_b64 s[14:15], vcc, s[14:15]
	s_andn2_b64 exec, exec, s[14:15]
	s_cbranch_execnz .LBB73_230
; %bb.231:
	s_or_b64 exec, exec, s[14:15]
.LBB73_232:
	s_or_b64 exec, exec, s[12:13]
.LBB73_233:
	s_or_b64 exec, exec, s[10:11]
	s_waitcnt vmcnt(0)
	v_mov_b32_e32 v2, 0
	global_load_dwordx2 v[10:11], v2, s[6:7] offset:40
	global_load_dwordx4 v[4:7], v2, s[6:7]
	v_readfirstlane_b32 s10, v8
	v_readfirstlane_b32 s11, v9
	s_mov_b64 s[12:13], exec
	s_waitcnt vmcnt(1)
	v_readfirstlane_b32 s14, v10
	v_readfirstlane_b32 s15, v11
	s_and_b64 s[14:15], s[10:11], s[14:15]
	s_mul_i32 s16, s15, 24
	s_mul_hi_u32 s17, s14, 24
	s_mul_i32 s18, s14, 24
	s_add_i32 s16, s17, s16
	v_mov_b32_e32 v3, s16
	s_waitcnt vmcnt(0)
	v_add_co_u32_e32 v8, vcc, s18, v4
	v_addc_co_u32_e32 v9, vcc, v5, v3, vcc
	s_and_saveexec_b64 s[16:17], s[4:5]
	s_cbranch_execz .LBB73_235
; %bb.234:
	v_pk_mov_b32 v[10:11], s[12:13], s[12:13] op_sel:[0,1]
	v_mov_b32_e32 v12, 2
	v_mov_b32_e32 v13, 1
	global_store_dwordx4 v[8:9], v[10:13], off offset:8
.LBB73_235:
	s_or_b64 exec, exec, s[16:17]
	s_lshl_b64 s[12:13], s[14:15], 12
	v_mov_b32_e32 v3, s13
	v_add_co_u32_e32 v10, vcc, s12, v6
	s_movk_i32 s12, 0xff1f
	v_addc_co_u32_e32 v11, vcc, v7, v3, vcc
	v_and_or_b32 v0, v0, s12, 32
	s_mov_b32 s12, 0
	v_mov_b32_e32 v3, v2
	v_readfirstlane_b32 s16, v10
	v_readfirstlane_b32 s17, v11
	s_mov_b32 s13, s12
	v_add_co_u32_e32 v6, vcc, v10, v34
	s_mov_b32 s14, s12
	s_mov_b32 s15, s12
	s_nop 0
	global_store_dwordx4 v34, v[0:3], s[16:17]
	v_addc_co_u32_e32 v7, vcc, 0, v11, vcc
	v_pk_mov_b32 v[0:1], s[12:13], s[12:13] op_sel:[0,1]
	v_pk_mov_b32 v[2:3], s[14:15], s[14:15] op_sel:[0,1]
	global_store_dwordx4 v34, v[0:3], s[16:17] offset:16
	global_store_dwordx4 v34, v[0:3], s[16:17] offset:32
	;; [unrolled: 1-line block ×3, first 2 shown]
	s_and_saveexec_b64 s[12:13], s[4:5]
	s_cbranch_execz .LBB73_243
; %bb.236:
	v_mov_b32_e32 v10, 0
	global_load_dwordx2 v[14:15], v10, s[6:7] offset:32 glc
	global_load_dwordx2 v[0:1], v10, s[6:7] offset:40
	v_mov_b32_e32 v12, s10
	v_mov_b32_e32 v13, s11
	s_waitcnt vmcnt(0)
	v_readfirstlane_b32 s14, v0
	v_readfirstlane_b32 s15, v1
	s_and_b64 s[14:15], s[14:15], s[10:11]
	s_mul_i32 s15, s15, 24
	s_mul_hi_u32 s16, s14, 24
	s_mul_i32 s14, s14, 24
	s_add_i32 s15, s16, s15
	v_mov_b32_e32 v0, s15
	v_add_co_u32_e32 v4, vcc, s14, v4
	v_addc_co_u32_e32 v5, vcc, v5, v0, vcc
	global_store_dwordx2 v[4:5], v[14:15], off
	buffer_wbl2
	s_waitcnt vmcnt(0)
	global_atomic_cmpswap_x2 v[2:3], v10, v[12:15], s[6:7] offset:32 glc
	s_waitcnt vmcnt(0)
	v_cmp_ne_u64_e32 vcc, v[2:3], v[14:15]
	s_and_saveexec_b64 s[14:15], vcc
	s_cbranch_execz .LBB73_239
; %bb.237:
	s_mov_b64 s[16:17], 0
.LBB73_238:                             ; =>This Inner Loop Header: Depth=1
	s_sleep 1
	global_store_dwordx2 v[4:5], v[2:3], off
	v_mov_b32_e32 v0, s10
	v_mov_b32_e32 v1, s11
	buffer_wbl2
	s_waitcnt vmcnt(0)
	global_atomic_cmpswap_x2 v[0:1], v10, v[0:3], s[6:7] offset:32 glc
	s_waitcnt vmcnt(0)
	v_cmp_eq_u64_e32 vcc, v[0:1], v[2:3]
	s_or_b64 s[16:17], vcc, s[16:17]
	v_pk_mov_b32 v[2:3], v[0:1], v[0:1] op_sel:[0,1]
	s_andn2_b64 exec, exec, s[16:17]
	s_cbranch_execnz .LBB73_238
.LBB73_239:
	s_or_b64 exec, exec, s[14:15]
	v_mov_b32_e32 v3, 0
	global_load_dwordx2 v[0:1], v3, s[6:7] offset:16
	s_mov_b64 s[14:15], exec
	v_mbcnt_lo_u32_b32 v2, s14, 0
	v_mbcnt_hi_u32_b32 v2, s15, v2
	v_cmp_eq_u32_e32 vcc, 0, v2
	s_and_saveexec_b64 s[16:17], vcc
	s_cbranch_execz .LBB73_241
; %bb.240:
	s_bcnt1_i32_b64 s14, s[14:15]
	v_mov_b32_e32 v2, s14
	buffer_wbl2
	s_waitcnt vmcnt(0)
	global_atomic_add_x2 v[0:1], v[2:3], off offset:8
.LBB73_241:
	s_or_b64 exec, exec, s[16:17]
	s_waitcnt vmcnt(0)
	global_load_dwordx2 v[2:3], v[0:1], off offset:16
	s_waitcnt vmcnt(0)
	v_cmp_eq_u64_e32 vcc, 0, v[2:3]
	s_cbranch_vccnz .LBB73_243
; %bb.242:
	global_load_dword v0, v[0:1], off offset:24
	v_mov_b32_e32 v1, 0
	buffer_wbl2
	s_waitcnt vmcnt(0)
	global_store_dwordx2 v[2:3], v[0:1], off
	v_and_b32_e32 v0, 0xffffff, v0
	v_readfirstlane_b32 m0, v0
	s_sendmsg sendmsg(MSG_INTERRUPT)
.LBB73_243:
	s_or_b64 exec, exec, s[12:13]
	s_branch .LBB73_247
.LBB73_244:                             ;   in Loop: Header=BB73_247 Depth=1
	s_or_b64 exec, exec, s[12:13]
	v_readfirstlane_b32 s12, v0
	s_cmp_eq_u32 s12, 0
	s_cbranch_scc1 .LBB73_246
; %bb.245:                              ;   in Loop: Header=BB73_247 Depth=1
	s_sleep 1
	s_cbranch_execnz .LBB73_247
	s_branch .LBB73_249
.LBB73_246:
	s_branch .LBB73_249
.LBB73_247:                             ; =>This Inner Loop Header: Depth=1
	v_mov_b32_e32 v0, 1
	s_and_saveexec_b64 s[12:13], s[4:5]
	s_cbranch_execz .LBB73_244
; %bb.248:                              ;   in Loop: Header=BB73_247 Depth=1
	global_load_dword v0, v[8:9], off offset:20 glc
	s_waitcnt vmcnt(0)
	buffer_invl2
	buffer_wbinvl1_vol
	v_and_b32_e32 v0, 1, v0
	s_branch .LBB73_244
.LBB73_249:
	global_load_dwordx2 v[2:3], v[6:7], off
	s_and_saveexec_b64 s[12:13], s[4:5]
	s_cbranch_execz .LBB73_252
; %bb.250:
	v_mov_b32_e32 v8, 0
	global_load_dwordx2 v[0:1], v8, s[6:7] offset:40
	global_load_dwordx2 v[10:11], v8, s[6:7] offset:24 glc
	global_load_dwordx2 v[12:13], v8, s[6:7]
	v_mov_b32_e32 v5, s11
	s_mov_b64 s[4:5], 0
	s_waitcnt vmcnt(2)
	v_add_co_u32_e32 v7, vcc, 1, v0
	v_addc_co_u32_e32 v9, vcc, 0, v1, vcc
	v_add_co_u32_e32 v4, vcc, s10, v7
	v_addc_co_u32_e32 v5, vcc, v9, v5, vcc
	v_cmp_eq_u64_e32 vcc, 0, v[4:5]
	v_cndmask_b32_e32 v5, v5, v9, vcc
	v_cndmask_b32_e32 v4, v4, v7, vcc
	v_and_b32_e32 v1, v5, v1
	v_and_b32_e32 v0, v4, v0
	v_mul_lo_u32 v1, v1, 24
	v_mul_hi_u32 v7, v0, 24
	v_mul_lo_u32 v0, v0, 24
	v_add_u32_e32 v1, v7, v1
	s_waitcnt vmcnt(0)
	v_add_co_u32_e32 v0, vcc, v12, v0
	v_addc_co_u32_e32 v1, vcc, v13, v1, vcc
	v_mov_b32_e32 v6, v10
	global_store_dwordx2 v[0:1], v[10:11], off
	v_mov_b32_e32 v7, v11
	buffer_wbl2
	s_waitcnt vmcnt(0)
	global_atomic_cmpswap_x2 v[6:7], v8, v[4:7], s[6:7] offset:24 glc
	s_waitcnt vmcnt(0)
	v_cmp_ne_u64_e32 vcc, v[6:7], v[10:11]
	s_and_b64 exec, exec, vcc
	s_cbranch_execz .LBB73_252
.LBB73_251:                             ; =>This Inner Loop Header: Depth=1
	s_sleep 1
	global_store_dwordx2 v[0:1], v[6:7], off
	buffer_wbl2
	s_waitcnt vmcnt(0)
	global_atomic_cmpswap_x2 v[10:11], v8, v[4:7], s[6:7] offset:24 glc
	s_waitcnt vmcnt(0)
	v_cmp_eq_u64_e32 vcc, v[10:11], v[6:7]
	s_or_b64 s[4:5], vcc, s[4:5]
	v_pk_mov_b32 v[6:7], v[10:11], v[10:11] op_sel:[0,1]
	s_andn2_b64 exec, exec, s[4:5]
	s_cbranch_execnz .LBB73_251
.LBB73_252:
	s_or_b64 exec, exec, s[12:13]
.LBB73_253:
	v_readfirstlane_b32 s4, v35
	v_cmp_eq_u32_e64 s[4:5], s4, v35
	s_waitcnt vmcnt(0)
	v_pk_mov_b32 v[0:1], 0, 0
	s_and_saveexec_b64 s[10:11], s[4:5]
	s_cbranch_execz .LBB73_259
; %bb.254:
	v_mov_b32_e32 v4, 0
	global_load_dwordx2 v[8:9], v4, s[6:7] offset:24 glc
	s_waitcnt vmcnt(0)
	buffer_invl2
	buffer_wbinvl1_vol
	global_load_dwordx2 v[0:1], v4, s[6:7] offset:40
	global_load_dwordx2 v[6:7], v4, s[6:7]
	s_waitcnt vmcnt(1)
	v_and_b32_e32 v0, v0, v8
	v_and_b32_e32 v1, v1, v9
	v_mul_lo_u32 v1, v1, 24
	v_mul_hi_u32 v5, v0, 24
	v_mul_lo_u32 v0, v0, 24
	v_add_u32_e32 v1, v5, v1
	s_waitcnt vmcnt(0)
	v_add_co_u32_e32 v0, vcc, v6, v0
	v_addc_co_u32_e32 v1, vcc, v7, v1, vcc
	global_load_dwordx2 v[6:7], v[0:1], off glc
	s_waitcnt vmcnt(0)
	global_atomic_cmpswap_x2 v[0:1], v4, v[6:9], s[6:7] offset:24 glc
	s_waitcnt vmcnt(0)
	buffer_invl2
	buffer_wbinvl1_vol
	v_cmp_ne_u64_e32 vcc, v[0:1], v[8:9]
	s_and_saveexec_b64 s[12:13], vcc
	s_cbranch_execz .LBB73_258
; %bb.255:
	s_mov_b64 s[14:15], 0
.LBB73_256:                             ; =>This Inner Loop Header: Depth=1
	s_sleep 1
	global_load_dwordx2 v[6:7], v4, s[6:7] offset:40
	global_load_dwordx2 v[10:11], v4, s[6:7]
	v_pk_mov_b32 v[8:9], v[0:1], v[0:1] op_sel:[0,1]
	s_waitcnt vmcnt(1)
	v_and_b32_e32 v0, v6, v8
	s_waitcnt vmcnt(0)
	v_mad_u64_u32 v[0:1], s[16:17], v0, 24, v[10:11]
	v_and_b32_e32 v5, v7, v9
	v_mov_b32_e32 v6, v1
	v_mad_u64_u32 v[6:7], s[16:17], v5, 24, v[6:7]
	v_mov_b32_e32 v1, v6
	global_load_dwordx2 v[6:7], v[0:1], off glc
	s_waitcnt vmcnt(0)
	global_atomic_cmpswap_x2 v[0:1], v4, v[6:9], s[6:7] offset:24 glc
	s_waitcnt vmcnt(0)
	buffer_invl2
	buffer_wbinvl1_vol
	v_cmp_eq_u64_e32 vcc, v[0:1], v[8:9]
	s_or_b64 s[14:15], vcc, s[14:15]
	s_andn2_b64 exec, exec, s[14:15]
	s_cbranch_execnz .LBB73_256
; %bb.257:
	s_or_b64 exec, exec, s[14:15]
.LBB73_258:
	s_or_b64 exec, exec, s[12:13]
.LBB73_259:
	s_or_b64 exec, exec, s[10:11]
	v_mov_b32_e32 v5, 0
	global_load_dwordx2 v[10:11], v5, s[6:7] offset:40
	global_load_dwordx4 v[6:9], v5, s[6:7]
	v_readfirstlane_b32 s10, v0
	v_readfirstlane_b32 s11, v1
	s_mov_b64 s[12:13], exec
	s_waitcnt vmcnt(1)
	v_readfirstlane_b32 s14, v10
	v_readfirstlane_b32 s15, v11
	s_and_b64 s[14:15], s[10:11], s[14:15]
	s_mul_i32 s16, s15, 24
	s_mul_hi_u32 s17, s14, 24
	s_mul_i32 s18, s14, 24
	s_add_i32 s16, s17, s16
	v_mov_b32_e32 v0, s16
	s_waitcnt vmcnt(0)
	v_add_co_u32_e32 v10, vcc, s18, v6
	v_addc_co_u32_e32 v11, vcc, v7, v0, vcc
	s_and_saveexec_b64 s[16:17], s[4:5]
	s_cbranch_execz .LBB73_261
; %bb.260:
	v_pk_mov_b32 v[12:13], s[12:13], s[12:13] op_sel:[0,1]
	v_mov_b32_e32 v14, 2
	v_mov_b32_e32 v15, 1
	global_store_dwordx4 v[10:11], v[12:15], off offset:8
.LBB73_261:
	s_or_b64 exec, exec, s[16:17]
	s_lshl_b64 s[12:13], s[14:15], 12
	v_mov_b32_e32 v1, s13
	v_add_co_u32_e32 v0, vcc, s12, v8
	s_movk_i32 s12, 0xff1f
	v_addc_co_u32_e32 v1, vcc, v9, v1, vcc
	v_and_or_b32 v2, v2, s12, 32
	s_mov_b32 s12, 0
	v_add_co_u32_e32 v8, vcc, v0, v34
	v_mov_b32_e32 v4, 0x347
	v_readfirstlane_b32 s16, v0
	v_readfirstlane_b32 s17, v1
	s_mov_b32 s13, s12
	v_addc_co_u32_e32 v9, vcc, 0, v1, vcc
	s_mov_b32 s14, s12
	s_mov_b32 s15, s12
	s_nop 0
	global_store_dwordx4 v34, v[2:5], s[16:17]
	v_pk_mov_b32 v[0:1], s[12:13], s[12:13] op_sel:[0,1]
	v_pk_mov_b32 v[2:3], s[14:15], s[14:15] op_sel:[0,1]
	global_store_dwordx4 v34, v[0:3], s[16:17] offset:16
	global_store_dwordx4 v34, v[0:3], s[16:17] offset:32
	;; [unrolled: 1-line block ×3, first 2 shown]
	s_and_saveexec_b64 s[12:13], s[4:5]
	s_cbranch_execz .LBB73_269
; %bb.262:
	v_mov_b32_e32 v12, 0
	global_load_dwordx2 v[16:17], v12, s[6:7] offset:32 glc
	global_load_dwordx2 v[0:1], v12, s[6:7] offset:40
	v_mov_b32_e32 v14, s10
	v_mov_b32_e32 v15, s11
	s_waitcnt vmcnt(0)
	v_readfirstlane_b32 s14, v0
	v_readfirstlane_b32 s15, v1
	s_and_b64 s[14:15], s[14:15], s[10:11]
	s_mul_i32 s15, s15, 24
	s_mul_hi_u32 s16, s14, 24
	s_mul_i32 s14, s14, 24
	s_add_i32 s15, s16, s15
	v_mov_b32_e32 v0, s15
	v_add_co_u32_e32 v4, vcc, s14, v6
	v_addc_co_u32_e32 v5, vcc, v7, v0, vcc
	global_store_dwordx2 v[4:5], v[16:17], off
	buffer_wbl2
	s_waitcnt vmcnt(0)
	global_atomic_cmpswap_x2 v[2:3], v12, v[14:17], s[6:7] offset:32 glc
	s_waitcnt vmcnt(0)
	v_cmp_ne_u64_e32 vcc, v[2:3], v[16:17]
	s_and_saveexec_b64 s[14:15], vcc
	s_cbranch_execz .LBB73_265
; %bb.263:
	s_mov_b64 s[16:17], 0
.LBB73_264:                             ; =>This Inner Loop Header: Depth=1
	s_sleep 1
	global_store_dwordx2 v[4:5], v[2:3], off
	v_mov_b32_e32 v0, s10
	v_mov_b32_e32 v1, s11
	buffer_wbl2
	s_waitcnt vmcnt(0)
	global_atomic_cmpswap_x2 v[0:1], v12, v[0:3], s[6:7] offset:32 glc
	s_waitcnt vmcnt(0)
	v_cmp_eq_u64_e32 vcc, v[0:1], v[2:3]
	s_or_b64 s[16:17], vcc, s[16:17]
	v_pk_mov_b32 v[2:3], v[0:1], v[0:1] op_sel:[0,1]
	s_andn2_b64 exec, exec, s[16:17]
	s_cbranch_execnz .LBB73_264
.LBB73_265:
	s_or_b64 exec, exec, s[14:15]
	v_mov_b32_e32 v3, 0
	global_load_dwordx2 v[0:1], v3, s[6:7] offset:16
	s_mov_b64 s[14:15], exec
	v_mbcnt_lo_u32_b32 v2, s14, 0
	v_mbcnt_hi_u32_b32 v2, s15, v2
	v_cmp_eq_u32_e32 vcc, 0, v2
	s_and_saveexec_b64 s[16:17], vcc
	s_cbranch_execz .LBB73_267
; %bb.266:
	s_bcnt1_i32_b64 s14, s[14:15]
	v_mov_b32_e32 v2, s14
	buffer_wbl2
	s_waitcnt vmcnt(0)
	global_atomic_add_x2 v[0:1], v[2:3], off offset:8
.LBB73_267:
	s_or_b64 exec, exec, s[16:17]
	s_waitcnt vmcnt(0)
	global_load_dwordx2 v[2:3], v[0:1], off offset:16
	s_waitcnt vmcnt(0)
	v_cmp_eq_u64_e32 vcc, 0, v[2:3]
	s_cbranch_vccnz .LBB73_269
; %bb.268:
	global_load_dword v0, v[0:1], off offset:24
	v_mov_b32_e32 v1, 0
	buffer_wbl2
	s_waitcnt vmcnt(0)
	global_store_dwordx2 v[2:3], v[0:1], off
	v_and_b32_e32 v0, 0xffffff, v0
	v_readfirstlane_b32 m0, v0
	s_sendmsg sendmsg(MSG_INTERRUPT)
.LBB73_269:
	s_or_b64 exec, exec, s[12:13]
	s_branch .LBB73_273
.LBB73_270:                             ;   in Loop: Header=BB73_273 Depth=1
	s_or_b64 exec, exec, s[12:13]
	v_readfirstlane_b32 s12, v0
	s_cmp_eq_u32 s12, 0
	s_cbranch_scc1 .LBB73_272
; %bb.271:                              ;   in Loop: Header=BB73_273 Depth=1
	s_sleep 1
	s_cbranch_execnz .LBB73_273
	s_branch .LBB73_275
.LBB73_272:
	s_branch .LBB73_275
.LBB73_273:                             ; =>This Inner Loop Header: Depth=1
	v_mov_b32_e32 v0, 1
	s_and_saveexec_b64 s[12:13], s[4:5]
	s_cbranch_execz .LBB73_270
; %bb.274:                              ;   in Loop: Header=BB73_273 Depth=1
	global_load_dword v0, v[10:11], off offset:20 glc
	s_waitcnt vmcnt(0)
	buffer_invl2
	buffer_wbinvl1_vol
	v_and_b32_e32 v0, 1, v0
	s_branch .LBB73_270
.LBB73_275:
	global_load_dwordx2 v[0:1], v[8:9], off
	s_and_saveexec_b64 s[12:13], s[4:5]
	s_cbranch_execz .LBB73_278
; %bb.276:
	v_mov_b32_e32 v8, 0
	global_load_dwordx2 v[6:7], v8, s[6:7] offset:40
	global_load_dwordx2 v[10:11], v8, s[6:7] offset:24 glc
	global_load_dwordx2 v[12:13], v8, s[6:7]
	v_mov_b32_e32 v3, s11
	s_mov_b64 s[4:5], 0
	s_waitcnt vmcnt(2)
	v_add_co_u32_e32 v5, vcc, 1, v6
	v_addc_co_u32_e32 v9, vcc, 0, v7, vcc
	v_add_co_u32_e32 v2, vcc, s10, v5
	v_addc_co_u32_e32 v3, vcc, v9, v3, vcc
	v_cmp_eq_u64_e32 vcc, 0, v[2:3]
	v_cndmask_b32_e32 v3, v3, v9, vcc
	v_cndmask_b32_e32 v2, v2, v5, vcc
	v_and_b32_e32 v5, v3, v7
	v_and_b32_e32 v6, v2, v6
	v_mul_lo_u32 v5, v5, 24
	v_mul_hi_u32 v7, v6, 24
	v_mul_lo_u32 v6, v6, 24
	v_add_u32_e32 v5, v7, v5
	s_waitcnt vmcnt(0)
	v_add_co_u32_e32 v6, vcc, v12, v6
	v_addc_co_u32_e32 v7, vcc, v13, v5, vcc
	v_mov_b32_e32 v4, v10
	global_store_dwordx2 v[6:7], v[10:11], off
	v_mov_b32_e32 v5, v11
	buffer_wbl2
	s_waitcnt vmcnt(0)
	global_atomic_cmpswap_x2 v[4:5], v8, v[2:5], s[6:7] offset:24 glc
	s_waitcnt vmcnt(0)
	v_cmp_ne_u64_e32 vcc, v[4:5], v[10:11]
	s_and_b64 exec, exec, vcc
	s_cbranch_execz .LBB73_278
.LBB73_277:                             ; =>This Inner Loop Header: Depth=1
	s_sleep 1
	global_store_dwordx2 v[6:7], v[4:5], off
	buffer_wbl2
	s_waitcnt vmcnt(0)
	global_atomic_cmpswap_x2 v[10:11], v8, v[2:5], s[6:7] offset:24 glc
	s_waitcnt vmcnt(0)
	v_cmp_eq_u64_e32 vcc, v[10:11], v[4:5]
	s_or_b64 s[4:5], vcc, s[4:5]
	v_pk_mov_b32 v[4:5], v[10:11], v[10:11] op_sel:[0,1]
	s_andn2_b64 exec, exec, s[4:5]
	s_cbranch_execnz .LBB73_277
.LBB73_278:
	s_or_b64 exec, exec, s[12:13]
	s_getpc_b64 s[4:5]
	s_add_u32 s4, s4, __FUNCTION__._ZL15flash_attn_tileILi64ELi64ELi8ELi8ELb1EEvPKcS1_S1_S1_S1_PKiPfP15HIP_vector_typeIfLj2EEffffjfiS5_IjLj3EEiiiiiiiiiiiliiliiiiil@rel32@lo+4
	s_addc_u32 s5, s5, __FUNCTION__._ZL15flash_attn_tileILi64ELi64ELi8ELi8ELb1EEvPKcS1_S1_S1_S1_PKiPfP15HIP_vector_typeIfLj2EEffffjfiS5_IjLj3EEiiiiiiiiiiiliiliiiiil@rel32@hi+12
	s_cmp_lg_u64 s[4:5], 0
	s_cselect_b64 s[6:7], -1, 0
	v_cndmask_b32_e64 v2, 0, 1, s[6:7]
	v_lshlrev_b32_e32 v4, 4, v2
	s_mov_b64 s[8:9], s[26:27]
	v_mov_b32_e32 v2, s4
	v_mov_b32_e32 v3, s5
	v_mov_b32_e32 v5, 0
	s_getpc_b64 s[6:7]
	s_add_u32 s6, s6, __ockl_printf_append_string_n@rel32@lo+4
	s_addc_u32 s7, s7, __ockl_printf_append_string_n@rel32@hi+12
	s_swappc_b64 s[30:31], s[6:7]
	s_mov_b64 s[8:9], s[26:27]
	v_mov_b32_e32 v2, 0x514
	v_mov_b32_e32 v3, 0
	;; [unrolled: 1-line block ×3, first 2 shown]
	s_getpc_b64 s[4:5]
	s_add_u32 s4, s4, __ockl_printf_append_args@rel32@lo+4
	s_addc_u32 s5, s5, __ockl_printf_append_args@rel32@hi+12
	s_swappc_b64 s[30:31], s[4:5]
	s_trap 2
.Lfunc_end73:
	.size	_ZL14no_device_codePKciS0_iS0_, .Lfunc_end73-_ZL14no_device_codePKciS0_iS0_
                                        ; -- End function
	.section	.AMDGPU.csdata,"",@progbits
; Function info:
; codeLenInByte = 9996
; NumSgprs: 38
; NumVgprs: 39
; NumAgprs: 0
; TotalNumVgprs: 39
; ScratchSize: 16
; MemoryBound: 0
	.section	.text._ZL15flash_attn_tileILi64ELi64ELi8ELi8ELb1EEvPKcS1_S1_S1_S1_PKiPfP15HIP_vector_typeIfLj2EEffffjfiS5_IjLj3EEiiiiiiiiiiiliiliiiiil,"axG",@progbits,_ZL15flash_attn_tileILi64ELi64ELi8ELi8ELb1EEvPKcS1_S1_S1_S1_PKiPfP15HIP_vector_typeIfLj2EEffffjfiS5_IjLj3EEiiiiiiiiiiiliiliiiiil,comdat
	.globl	_ZL15flash_attn_tileILi64ELi64ELi8ELi8ELb1EEvPKcS1_S1_S1_S1_PKiPfP15HIP_vector_typeIfLj2EEffffjfiS5_IjLj3EEiiiiiiiiiiiliiliiiiil ; -- Begin function _ZL15flash_attn_tileILi64ELi64ELi8ELi8ELb1EEvPKcS1_S1_S1_S1_PKiPfP15HIP_vector_typeIfLj2EEffffjfiS5_IjLj3EEiiiiiiiiiiiliiliiiiil
	.p2align	8
	.type	_ZL15flash_attn_tileILi64ELi64ELi8ELi8ELb1EEvPKcS1_S1_S1_S1_PKiPfP15HIP_vector_typeIfLj2EEffffjfiS5_IjLj3EEiiiiiiiiiiiliiliiiiil,@function
_ZL15flash_attn_tileILi64ELi64ELi8ELi8ELb1EEvPKcS1_S1_S1_S1_PKiPfP15HIP_vector_typeIfLj2EEffffjfiS5_IjLj3EEiiiiiiiiiiiliiliiiiil: ; @_ZL15flash_attn_tileILi64ELi64ELi8ELi8ELb1EEvPKcS1_S1_S1_S1_PKiPfP15HIP_vector_typeIfLj2EEffffjfiS5_IjLj3EEiiiiiiiiiiiliiliiiiil
; %bb.0:
	s_add_u32 flat_scratch_lo, s6, s9
	s_addc_u32 flat_scratch_hi, s7, 0
	s_add_u32 s0, s0, s9
	s_addc_u32 s1, s1, 0
	s_add_u32 s8, s4, 0xd0
	s_addc_u32 s9, s5, 0
	s_mov_b32 s32, 0
	s_getpc_b64 s[4:5]
	s_add_u32 s4, s4, _ZL14no_device_codePKciS0_iS0_@rel32@lo+4
	s_addc_u32 s5, s5, _ZL14no_device_codePKciS0_iS0_@rel32@hi+12
	s_swappc_b64 s[30:31], s[4:5]
	.section	.rodata,"a",@progbits
	.p2align	6, 0x0
	.amdhsa_kernel _ZL15flash_attn_tileILi64ELi64ELi8ELi8ELb1EEvPKcS1_S1_S1_S1_PKiPfP15HIP_vector_typeIfLj2EEffffjfiS5_IjLj3EEiiiiiiiiiiiliiliiiiil
		.amdhsa_group_segment_fixed_size 0
		.amdhsa_private_segment_fixed_size 16
		.amdhsa_kernarg_size 464
		.amdhsa_user_sgpr_count 8
		.amdhsa_user_sgpr_private_segment_buffer 1
		.amdhsa_user_sgpr_dispatch_ptr 0
		.amdhsa_user_sgpr_queue_ptr 0
		.amdhsa_user_sgpr_kernarg_segment_ptr 1
		.amdhsa_user_sgpr_dispatch_id 0
		.amdhsa_user_sgpr_flat_scratch_init 1
		.amdhsa_user_sgpr_kernarg_preload_length 0
		.amdhsa_user_sgpr_kernarg_preload_offset 0
		.amdhsa_user_sgpr_private_segment_size 0
		.amdhsa_uses_dynamic_stack 0
		.amdhsa_system_sgpr_private_segment_wavefront_offset 1
		.amdhsa_system_sgpr_workgroup_id_x 1
		.amdhsa_system_sgpr_workgroup_id_y 0
		.amdhsa_system_sgpr_workgroup_id_z 0
		.amdhsa_system_sgpr_workgroup_info 0
		.amdhsa_system_vgpr_workitem_id 0
		.amdhsa_next_free_vgpr 39
		.amdhsa_next_free_sgpr 34
		.amdhsa_accum_offset 40
		.amdhsa_reserve_vcc 1
		.amdhsa_reserve_flat_scratch 1
		.amdhsa_float_round_mode_32 0
		.amdhsa_float_round_mode_16_64 0
		.amdhsa_float_denorm_mode_32 3
		.amdhsa_float_denorm_mode_16_64 3
		.amdhsa_dx10_clamp 1
		.amdhsa_ieee_mode 1
		.amdhsa_fp16_overflow 0
		.amdhsa_tg_split 0
		.amdhsa_exception_fp_ieee_invalid_op 0
		.amdhsa_exception_fp_denorm_src 0
		.amdhsa_exception_fp_ieee_div_zero 0
		.amdhsa_exception_fp_ieee_overflow 0
		.amdhsa_exception_fp_ieee_underflow 0
		.amdhsa_exception_fp_ieee_inexact 0
		.amdhsa_exception_int_div_zero 0
	.end_amdhsa_kernel
	.section	.text._ZL15flash_attn_tileILi64ELi64ELi8ELi8ELb1EEvPKcS1_S1_S1_S1_PKiPfP15HIP_vector_typeIfLj2EEffffjfiS5_IjLj3EEiiiiiiiiiiiliiliiiiil,"axG",@progbits,_ZL15flash_attn_tileILi64ELi64ELi8ELi8ELb1EEvPKcS1_S1_S1_S1_PKiPfP15HIP_vector_typeIfLj2EEffffjfiS5_IjLj3EEiiiiiiiiiiiliiliiiiil,comdat
.Lfunc_end74:
	.size	_ZL15flash_attn_tileILi64ELi64ELi8ELi8ELb1EEvPKcS1_S1_S1_S1_PKiPfP15HIP_vector_typeIfLj2EEffffjfiS5_IjLj3EEiiiiiiiiiiiliiliiiiil, .Lfunc_end74-_ZL15flash_attn_tileILi64ELi64ELi8ELi8ELb1EEvPKcS1_S1_S1_S1_PKiPfP15HIP_vector_typeIfLj2EEffffjfiS5_IjLj3EEiiiiiiiiiiiliiliiiiil
                                        ; -- End function
	.section	.AMDGPU.csdata,"",@progbits
; Kernel info:
; codeLenInByte = 56
; NumSgprs: 40
; NumVgprs: 39
; NumAgprs: 0
; TotalNumVgprs: 39
; ScratchSize: 16
; MemoryBound: 0
; FloatMode: 240
; IeeeMode: 1
; LDSByteSize: 0 bytes/workgroup (compile time only)
; SGPRBlocks: 4
; VGPRBlocks: 4
; NumSGPRsForWavesPerEU: 40
; NumVGPRsForWavesPerEU: 39
; AccumOffset: 40
; Occupancy: 8
; WaveLimiterHint : 1
; COMPUTE_PGM_RSRC2:SCRATCH_EN: 1
; COMPUTE_PGM_RSRC2:USER_SGPR: 8
; COMPUTE_PGM_RSRC2:TRAP_HANDLER: 0
; COMPUTE_PGM_RSRC2:TGID_X_EN: 1
; COMPUTE_PGM_RSRC2:TGID_Y_EN: 0
; COMPUTE_PGM_RSRC2:TGID_Z_EN: 0
; COMPUTE_PGM_RSRC2:TIDIG_COMP_CNT: 0
; COMPUTE_PGM_RSRC3_GFX90A:ACCUM_OFFSET: 9
; COMPUTE_PGM_RSRC3_GFX90A:TG_SPLIT: 0
	.section	.text._ZL15flash_attn_tileILi64ELi64ELi4ELi8ELb1EEvPKcS1_S1_S1_S1_PKiPfP15HIP_vector_typeIfLj2EEffffjfiS5_IjLj3EEiiiiiiiiiiiliiliiiiil,"axG",@progbits,_ZL15flash_attn_tileILi64ELi64ELi4ELi8ELb1EEvPKcS1_S1_S1_S1_PKiPfP15HIP_vector_typeIfLj2EEffffjfiS5_IjLj3EEiiiiiiiiiiiliiliiiiil,comdat
	.globl	_ZL15flash_attn_tileILi64ELi64ELi4ELi8ELb1EEvPKcS1_S1_S1_S1_PKiPfP15HIP_vector_typeIfLj2EEffffjfiS5_IjLj3EEiiiiiiiiiiiliiliiiiil ; -- Begin function _ZL15flash_attn_tileILi64ELi64ELi4ELi8ELb1EEvPKcS1_S1_S1_S1_PKiPfP15HIP_vector_typeIfLj2EEffffjfiS5_IjLj3EEiiiiiiiiiiiliiliiiiil
	.p2align	8
	.type	_ZL15flash_attn_tileILi64ELi64ELi4ELi8ELb1EEvPKcS1_S1_S1_S1_PKiPfP15HIP_vector_typeIfLj2EEffffjfiS5_IjLj3EEiiiiiiiiiiiliiliiiiil,@function
_ZL15flash_attn_tileILi64ELi64ELi4ELi8ELb1EEvPKcS1_S1_S1_S1_PKiPfP15HIP_vector_typeIfLj2EEffffjfiS5_IjLj3EEiiiiiiiiiiiliiliiiiil: ; @_ZL15flash_attn_tileILi64ELi64ELi4ELi8ELb1EEvPKcS1_S1_S1_S1_PKiPfP15HIP_vector_typeIfLj2EEffffjfiS5_IjLj3EEiiiiiiiiiiiliiliiiiil
; %bb.0:
	s_add_u32 flat_scratch_lo, s6, s9
	s_addc_u32 flat_scratch_hi, s7, 0
	s_add_u32 s0, s0, s9
	s_addc_u32 s1, s1, 0
	s_add_u32 s8, s4, 0xd0
	s_addc_u32 s9, s5, 0
	s_mov_b32 s32, 0
	s_getpc_b64 s[4:5]
	s_add_u32 s4, s4, _ZL14no_device_codePKciS0_iS0_@rel32@lo+4
	s_addc_u32 s5, s5, _ZL14no_device_codePKciS0_iS0_@rel32@hi+12
	s_swappc_b64 s[30:31], s[4:5]
	.section	.rodata,"a",@progbits
	.p2align	6, 0x0
	.amdhsa_kernel _ZL15flash_attn_tileILi64ELi64ELi4ELi8ELb1EEvPKcS1_S1_S1_S1_PKiPfP15HIP_vector_typeIfLj2EEffffjfiS5_IjLj3EEiiiiiiiiiiiliiliiiiil
		.amdhsa_group_segment_fixed_size 0
		.amdhsa_private_segment_fixed_size 16
		.amdhsa_kernarg_size 464
		.amdhsa_user_sgpr_count 8
		.amdhsa_user_sgpr_private_segment_buffer 1
		.amdhsa_user_sgpr_dispatch_ptr 0
		.amdhsa_user_sgpr_queue_ptr 0
		.amdhsa_user_sgpr_kernarg_segment_ptr 1
		.amdhsa_user_sgpr_dispatch_id 0
		.amdhsa_user_sgpr_flat_scratch_init 1
		.amdhsa_user_sgpr_kernarg_preload_length 0
		.amdhsa_user_sgpr_kernarg_preload_offset 0
		.amdhsa_user_sgpr_private_segment_size 0
		.amdhsa_uses_dynamic_stack 0
		.amdhsa_system_sgpr_private_segment_wavefront_offset 1
		.amdhsa_system_sgpr_workgroup_id_x 1
		.amdhsa_system_sgpr_workgroup_id_y 0
		.amdhsa_system_sgpr_workgroup_id_z 0
		.amdhsa_system_sgpr_workgroup_info 0
		.amdhsa_system_vgpr_workitem_id 0
		.amdhsa_next_free_vgpr 39
		.amdhsa_next_free_sgpr 34
		.amdhsa_accum_offset 40
		.amdhsa_reserve_vcc 1
		.amdhsa_reserve_flat_scratch 1
		.amdhsa_float_round_mode_32 0
		.amdhsa_float_round_mode_16_64 0
		.amdhsa_float_denorm_mode_32 3
		.amdhsa_float_denorm_mode_16_64 3
		.amdhsa_dx10_clamp 1
		.amdhsa_ieee_mode 1
		.amdhsa_fp16_overflow 0
		.amdhsa_tg_split 0
		.amdhsa_exception_fp_ieee_invalid_op 0
		.amdhsa_exception_fp_denorm_src 0
		.amdhsa_exception_fp_ieee_div_zero 0
		.amdhsa_exception_fp_ieee_overflow 0
		.amdhsa_exception_fp_ieee_underflow 0
		.amdhsa_exception_fp_ieee_inexact 0
		.amdhsa_exception_int_div_zero 0
	.end_amdhsa_kernel
	.section	.text._ZL15flash_attn_tileILi64ELi64ELi4ELi8ELb1EEvPKcS1_S1_S1_S1_PKiPfP15HIP_vector_typeIfLj2EEffffjfiS5_IjLj3EEiiiiiiiiiiiliiliiiiil,"axG",@progbits,_ZL15flash_attn_tileILi64ELi64ELi4ELi8ELb1EEvPKcS1_S1_S1_S1_PKiPfP15HIP_vector_typeIfLj2EEffffjfiS5_IjLj3EEiiiiiiiiiiiliiliiiiil,comdat
.Lfunc_end75:
	.size	_ZL15flash_attn_tileILi64ELi64ELi4ELi8ELb1EEvPKcS1_S1_S1_S1_PKiPfP15HIP_vector_typeIfLj2EEffffjfiS5_IjLj3EEiiiiiiiiiiiliiliiiiil, .Lfunc_end75-_ZL15flash_attn_tileILi64ELi64ELi4ELi8ELb1EEvPKcS1_S1_S1_S1_PKiPfP15HIP_vector_typeIfLj2EEffffjfiS5_IjLj3EEiiiiiiiiiiiliiliiiiil
                                        ; -- End function
	.section	.AMDGPU.csdata,"",@progbits
; Kernel info:
; codeLenInByte = 56
; NumSgprs: 40
; NumVgprs: 39
; NumAgprs: 0
; TotalNumVgprs: 39
; ScratchSize: 16
; MemoryBound: 0
; FloatMode: 240
; IeeeMode: 1
; LDSByteSize: 0 bytes/workgroup (compile time only)
; SGPRBlocks: 4
; VGPRBlocks: 4
; NumSGPRsForWavesPerEU: 40
; NumVGPRsForWavesPerEU: 39
; AccumOffset: 40
; Occupancy: 8
; WaveLimiterHint : 1
; COMPUTE_PGM_RSRC2:SCRATCH_EN: 1
; COMPUTE_PGM_RSRC2:USER_SGPR: 8
; COMPUTE_PGM_RSRC2:TRAP_HANDLER: 0
; COMPUTE_PGM_RSRC2:TGID_X_EN: 1
; COMPUTE_PGM_RSRC2:TGID_Y_EN: 0
; COMPUTE_PGM_RSRC2:TGID_Z_EN: 0
; COMPUTE_PGM_RSRC2:TIDIG_COMP_CNT: 0
; COMPUTE_PGM_RSRC3_GFX90A:ACCUM_OFFSET: 9
; COMPUTE_PGM_RSRC3_GFX90A:TG_SPLIT: 0
	.section	.text._ZL15flash_attn_tileILi64ELi64ELi2ELi8ELb1EEvPKcS1_S1_S1_S1_PKiPfP15HIP_vector_typeIfLj2EEffffjfiS5_IjLj3EEiiiiiiiiiiiliiliiiiil,"axG",@progbits,_ZL15flash_attn_tileILi64ELi64ELi2ELi8ELb1EEvPKcS1_S1_S1_S1_PKiPfP15HIP_vector_typeIfLj2EEffffjfiS5_IjLj3EEiiiiiiiiiiiliiliiiiil,comdat
	.globl	_ZL15flash_attn_tileILi64ELi64ELi2ELi8ELb1EEvPKcS1_S1_S1_S1_PKiPfP15HIP_vector_typeIfLj2EEffffjfiS5_IjLj3EEiiiiiiiiiiiliiliiiiil ; -- Begin function _ZL15flash_attn_tileILi64ELi64ELi2ELi8ELb1EEvPKcS1_S1_S1_S1_PKiPfP15HIP_vector_typeIfLj2EEffffjfiS5_IjLj3EEiiiiiiiiiiiliiliiiiil
	.p2align	8
	.type	_ZL15flash_attn_tileILi64ELi64ELi2ELi8ELb1EEvPKcS1_S1_S1_S1_PKiPfP15HIP_vector_typeIfLj2EEffffjfiS5_IjLj3EEiiiiiiiiiiiliiliiiiil,@function
_ZL15flash_attn_tileILi64ELi64ELi2ELi8ELb1EEvPKcS1_S1_S1_S1_PKiPfP15HIP_vector_typeIfLj2EEffffjfiS5_IjLj3EEiiiiiiiiiiiliiliiiiil: ; @_ZL15flash_attn_tileILi64ELi64ELi2ELi8ELb1EEvPKcS1_S1_S1_S1_PKiPfP15HIP_vector_typeIfLj2EEffffjfiS5_IjLj3EEiiiiiiiiiiiliiliiiiil
; %bb.0:
	s_add_u32 flat_scratch_lo, s6, s9
	s_addc_u32 flat_scratch_hi, s7, 0
	s_add_u32 s0, s0, s9
	s_addc_u32 s1, s1, 0
	s_add_u32 s8, s4, 0xd0
	s_addc_u32 s9, s5, 0
	s_mov_b32 s32, 0
	s_getpc_b64 s[4:5]
	s_add_u32 s4, s4, _ZL14no_device_codePKciS0_iS0_@rel32@lo+4
	s_addc_u32 s5, s5, _ZL14no_device_codePKciS0_iS0_@rel32@hi+12
	s_swappc_b64 s[30:31], s[4:5]
	.section	.rodata,"a",@progbits
	.p2align	6, 0x0
	.amdhsa_kernel _ZL15flash_attn_tileILi64ELi64ELi2ELi8ELb1EEvPKcS1_S1_S1_S1_PKiPfP15HIP_vector_typeIfLj2EEffffjfiS5_IjLj3EEiiiiiiiiiiiliiliiiiil
		.amdhsa_group_segment_fixed_size 0
		.amdhsa_private_segment_fixed_size 16
		.amdhsa_kernarg_size 464
		.amdhsa_user_sgpr_count 8
		.amdhsa_user_sgpr_private_segment_buffer 1
		.amdhsa_user_sgpr_dispatch_ptr 0
		.amdhsa_user_sgpr_queue_ptr 0
		.amdhsa_user_sgpr_kernarg_segment_ptr 1
		.amdhsa_user_sgpr_dispatch_id 0
		.amdhsa_user_sgpr_flat_scratch_init 1
		.amdhsa_user_sgpr_kernarg_preload_length 0
		.amdhsa_user_sgpr_kernarg_preload_offset 0
		.amdhsa_user_sgpr_private_segment_size 0
		.amdhsa_uses_dynamic_stack 0
		.amdhsa_system_sgpr_private_segment_wavefront_offset 1
		.amdhsa_system_sgpr_workgroup_id_x 1
		.amdhsa_system_sgpr_workgroup_id_y 0
		.amdhsa_system_sgpr_workgroup_id_z 0
		.amdhsa_system_sgpr_workgroup_info 0
		.amdhsa_system_vgpr_workitem_id 0
		.amdhsa_next_free_vgpr 39
		.amdhsa_next_free_sgpr 34
		.amdhsa_accum_offset 40
		.amdhsa_reserve_vcc 1
		.amdhsa_reserve_flat_scratch 1
		.amdhsa_float_round_mode_32 0
		.amdhsa_float_round_mode_16_64 0
		.amdhsa_float_denorm_mode_32 3
		.amdhsa_float_denorm_mode_16_64 3
		.amdhsa_dx10_clamp 1
		.amdhsa_ieee_mode 1
		.amdhsa_fp16_overflow 0
		.amdhsa_tg_split 0
		.amdhsa_exception_fp_ieee_invalid_op 0
		.amdhsa_exception_fp_denorm_src 0
		.amdhsa_exception_fp_ieee_div_zero 0
		.amdhsa_exception_fp_ieee_overflow 0
		.amdhsa_exception_fp_ieee_underflow 0
		.amdhsa_exception_fp_ieee_inexact 0
		.amdhsa_exception_int_div_zero 0
	.end_amdhsa_kernel
	.section	.text._ZL15flash_attn_tileILi64ELi64ELi2ELi8ELb1EEvPKcS1_S1_S1_S1_PKiPfP15HIP_vector_typeIfLj2EEffffjfiS5_IjLj3EEiiiiiiiiiiiliiliiiiil,"axG",@progbits,_ZL15flash_attn_tileILi64ELi64ELi2ELi8ELb1EEvPKcS1_S1_S1_S1_PKiPfP15HIP_vector_typeIfLj2EEffffjfiS5_IjLj3EEiiiiiiiiiiiliiliiiiil,comdat
.Lfunc_end76:
	.size	_ZL15flash_attn_tileILi64ELi64ELi2ELi8ELb1EEvPKcS1_S1_S1_S1_PKiPfP15HIP_vector_typeIfLj2EEffffjfiS5_IjLj3EEiiiiiiiiiiiliiliiiiil, .Lfunc_end76-_ZL15flash_attn_tileILi64ELi64ELi2ELi8ELb1EEvPKcS1_S1_S1_S1_PKiPfP15HIP_vector_typeIfLj2EEffffjfiS5_IjLj3EEiiiiiiiiiiiliiliiiiil
                                        ; -- End function
	.section	.AMDGPU.csdata,"",@progbits
; Kernel info:
; codeLenInByte = 56
; NumSgprs: 40
; NumVgprs: 39
; NumAgprs: 0
; TotalNumVgprs: 39
; ScratchSize: 16
; MemoryBound: 0
; FloatMode: 240
; IeeeMode: 1
; LDSByteSize: 0 bytes/workgroup (compile time only)
; SGPRBlocks: 4
; VGPRBlocks: 4
; NumSGPRsForWavesPerEU: 40
; NumVGPRsForWavesPerEU: 39
; AccumOffset: 40
; Occupancy: 8
; WaveLimiterHint : 1
; COMPUTE_PGM_RSRC2:SCRATCH_EN: 1
; COMPUTE_PGM_RSRC2:USER_SGPR: 8
; COMPUTE_PGM_RSRC2:TRAP_HANDLER: 0
; COMPUTE_PGM_RSRC2:TGID_X_EN: 1
; COMPUTE_PGM_RSRC2:TGID_Y_EN: 0
; COMPUTE_PGM_RSRC2:TGID_Z_EN: 0
; COMPUTE_PGM_RSRC2:TIDIG_COMP_CNT: 0
; COMPUTE_PGM_RSRC3_GFX90A:ACCUM_OFFSET: 9
; COMPUTE_PGM_RSRC3_GFX90A:TG_SPLIT: 0
	.section	.text._ZL15flash_attn_tileILi64ELi64ELi1ELi8ELb1EEvPKcS1_S1_S1_S1_PKiPfP15HIP_vector_typeIfLj2EEffffjfiS5_IjLj3EEiiiiiiiiiiiliiliiiiil,"axG",@progbits,_ZL15flash_attn_tileILi64ELi64ELi1ELi8ELb1EEvPKcS1_S1_S1_S1_PKiPfP15HIP_vector_typeIfLj2EEffffjfiS5_IjLj3EEiiiiiiiiiiiliiliiiiil,comdat
	.globl	_ZL15flash_attn_tileILi64ELi64ELi1ELi8ELb1EEvPKcS1_S1_S1_S1_PKiPfP15HIP_vector_typeIfLj2EEffffjfiS5_IjLj3EEiiiiiiiiiiiliiliiiiil ; -- Begin function _ZL15flash_attn_tileILi64ELi64ELi1ELi8ELb1EEvPKcS1_S1_S1_S1_PKiPfP15HIP_vector_typeIfLj2EEffffjfiS5_IjLj3EEiiiiiiiiiiiliiliiiiil
	.p2align	8
	.type	_ZL15flash_attn_tileILi64ELi64ELi1ELi8ELb1EEvPKcS1_S1_S1_S1_PKiPfP15HIP_vector_typeIfLj2EEffffjfiS5_IjLj3EEiiiiiiiiiiiliiliiiiil,@function
_ZL15flash_attn_tileILi64ELi64ELi1ELi8ELb1EEvPKcS1_S1_S1_S1_PKiPfP15HIP_vector_typeIfLj2EEffffjfiS5_IjLj3EEiiiiiiiiiiiliiliiiiil: ; @_ZL15flash_attn_tileILi64ELi64ELi1ELi8ELb1EEvPKcS1_S1_S1_S1_PKiPfP15HIP_vector_typeIfLj2EEffffjfiS5_IjLj3EEiiiiiiiiiiiliiliiiiil
; %bb.0:
	s_add_u32 flat_scratch_lo, s6, s9
	s_addc_u32 flat_scratch_hi, s7, 0
	s_add_u32 s0, s0, s9
	s_addc_u32 s1, s1, 0
	s_add_u32 s8, s4, 0xd0
	s_addc_u32 s9, s5, 0
	s_mov_b32 s32, 0
	s_getpc_b64 s[4:5]
	s_add_u32 s4, s4, _ZL14no_device_codePKciS0_iS0_@rel32@lo+4
	s_addc_u32 s5, s5, _ZL14no_device_codePKciS0_iS0_@rel32@hi+12
	s_swappc_b64 s[30:31], s[4:5]
	.section	.rodata,"a",@progbits
	.p2align	6, 0x0
	.amdhsa_kernel _ZL15flash_attn_tileILi64ELi64ELi1ELi8ELb1EEvPKcS1_S1_S1_S1_PKiPfP15HIP_vector_typeIfLj2EEffffjfiS5_IjLj3EEiiiiiiiiiiiliiliiiiil
		.amdhsa_group_segment_fixed_size 0
		.amdhsa_private_segment_fixed_size 16
		.amdhsa_kernarg_size 464
		.amdhsa_user_sgpr_count 8
		.amdhsa_user_sgpr_private_segment_buffer 1
		.amdhsa_user_sgpr_dispatch_ptr 0
		.amdhsa_user_sgpr_queue_ptr 0
		.amdhsa_user_sgpr_kernarg_segment_ptr 1
		.amdhsa_user_sgpr_dispatch_id 0
		.amdhsa_user_sgpr_flat_scratch_init 1
		.amdhsa_user_sgpr_kernarg_preload_length 0
		.amdhsa_user_sgpr_kernarg_preload_offset 0
		.amdhsa_user_sgpr_private_segment_size 0
		.amdhsa_uses_dynamic_stack 0
		.amdhsa_system_sgpr_private_segment_wavefront_offset 1
		.amdhsa_system_sgpr_workgroup_id_x 1
		.amdhsa_system_sgpr_workgroup_id_y 0
		.amdhsa_system_sgpr_workgroup_id_z 0
		.amdhsa_system_sgpr_workgroup_info 0
		.amdhsa_system_vgpr_workitem_id 0
		.amdhsa_next_free_vgpr 39
		.amdhsa_next_free_sgpr 34
		.amdhsa_accum_offset 40
		.amdhsa_reserve_vcc 1
		.amdhsa_reserve_flat_scratch 1
		.amdhsa_float_round_mode_32 0
		.amdhsa_float_round_mode_16_64 0
		.amdhsa_float_denorm_mode_32 3
		.amdhsa_float_denorm_mode_16_64 3
		.amdhsa_dx10_clamp 1
		.amdhsa_ieee_mode 1
		.amdhsa_fp16_overflow 0
		.amdhsa_tg_split 0
		.amdhsa_exception_fp_ieee_invalid_op 0
		.amdhsa_exception_fp_denorm_src 0
		.amdhsa_exception_fp_ieee_div_zero 0
		.amdhsa_exception_fp_ieee_overflow 0
		.amdhsa_exception_fp_ieee_underflow 0
		.amdhsa_exception_fp_ieee_inexact 0
		.amdhsa_exception_int_div_zero 0
	.end_amdhsa_kernel
	.section	.text._ZL15flash_attn_tileILi64ELi64ELi1ELi8ELb1EEvPKcS1_S1_S1_S1_PKiPfP15HIP_vector_typeIfLj2EEffffjfiS5_IjLj3EEiiiiiiiiiiiliiliiiiil,"axG",@progbits,_ZL15flash_attn_tileILi64ELi64ELi1ELi8ELb1EEvPKcS1_S1_S1_S1_PKiPfP15HIP_vector_typeIfLj2EEffffjfiS5_IjLj3EEiiiiiiiiiiiliiliiiiil,comdat
.Lfunc_end77:
	.size	_ZL15flash_attn_tileILi64ELi64ELi1ELi8ELb1EEvPKcS1_S1_S1_S1_PKiPfP15HIP_vector_typeIfLj2EEffffjfiS5_IjLj3EEiiiiiiiiiiiliiliiiiil, .Lfunc_end77-_ZL15flash_attn_tileILi64ELi64ELi1ELi8ELb1EEvPKcS1_S1_S1_S1_PKiPfP15HIP_vector_typeIfLj2EEffffjfiS5_IjLj3EEiiiiiiiiiiiliiliiiiil
                                        ; -- End function
	.section	.AMDGPU.csdata,"",@progbits
; Kernel info:
; codeLenInByte = 56
; NumSgprs: 40
; NumVgprs: 39
; NumAgprs: 0
; TotalNumVgprs: 39
; ScratchSize: 16
; MemoryBound: 0
; FloatMode: 240
; IeeeMode: 1
; LDSByteSize: 0 bytes/workgroup (compile time only)
; SGPRBlocks: 4
; VGPRBlocks: 4
; NumSGPRsForWavesPerEU: 40
; NumVGPRsForWavesPerEU: 39
; AccumOffset: 40
; Occupancy: 8
; WaveLimiterHint : 1
; COMPUTE_PGM_RSRC2:SCRATCH_EN: 1
; COMPUTE_PGM_RSRC2:USER_SGPR: 8
; COMPUTE_PGM_RSRC2:TRAP_HANDLER: 0
; COMPUTE_PGM_RSRC2:TGID_X_EN: 1
; COMPUTE_PGM_RSRC2:TGID_Y_EN: 0
; COMPUTE_PGM_RSRC2:TGID_Z_EN: 0
; COMPUTE_PGM_RSRC2:TIDIG_COMP_CNT: 0
; COMPUTE_PGM_RSRC3_GFX90A:ACCUM_OFFSET: 9
; COMPUTE_PGM_RSRC3_GFX90A:TG_SPLIT: 0
	.section	.text._ZL15flash_attn_tileILi64ELi64ELi16ELi4ELb1EEvPKcS1_S1_S1_S1_PKiPfP15HIP_vector_typeIfLj2EEffffjfiS5_IjLj3EEiiiiiiiiiiiliiliiiiil,"axG",@progbits,_ZL15flash_attn_tileILi64ELi64ELi16ELi4ELb1EEvPKcS1_S1_S1_S1_PKiPfP15HIP_vector_typeIfLj2EEffffjfiS5_IjLj3EEiiiiiiiiiiiliiliiiiil,comdat
	.globl	_ZL15flash_attn_tileILi64ELi64ELi16ELi4ELb1EEvPKcS1_S1_S1_S1_PKiPfP15HIP_vector_typeIfLj2EEffffjfiS5_IjLj3EEiiiiiiiiiiiliiliiiiil ; -- Begin function _ZL15flash_attn_tileILi64ELi64ELi16ELi4ELb1EEvPKcS1_S1_S1_S1_PKiPfP15HIP_vector_typeIfLj2EEffffjfiS5_IjLj3EEiiiiiiiiiiiliiliiiiil
	.p2align	8
	.type	_ZL15flash_attn_tileILi64ELi64ELi16ELi4ELb1EEvPKcS1_S1_S1_S1_PKiPfP15HIP_vector_typeIfLj2EEffffjfiS5_IjLj3EEiiiiiiiiiiiliiliiiiil,@function
_ZL15flash_attn_tileILi64ELi64ELi16ELi4ELb1EEvPKcS1_S1_S1_S1_PKiPfP15HIP_vector_typeIfLj2EEffffjfiS5_IjLj3EEiiiiiiiiiiiliiliiiiil: ; @_ZL15flash_attn_tileILi64ELi64ELi16ELi4ELb1EEvPKcS1_S1_S1_S1_PKiPfP15HIP_vector_typeIfLj2EEffffjfiS5_IjLj3EEiiiiiiiiiiiliiliiiiil
; %bb.0:
	s_add_u32 flat_scratch_lo, s6, s9
	s_addc_u32 flat_scratch_hi, s7, 0
	s_add_u32 s0, s0, s9
	s_addc_u32 s1, s1, 0
	s_add_u32 s8, s4, 0xd0
	s_addc_u32 s9, s5, 0
	s_mov_b32 s32, 0
	s_getpc_b64 s[4:5]
	s_add_u32 s4, s4, _ZL14no_device_codePKciS0_iS0_@rel32@lo+4
	s_addc_u32 s5, s5, _ZL14no_device_codePKciS0_iS0_@rel32@hi+12
	s_swappc_b64 s[30:31], s[4:5]
	.section	.rodata,"a",@progbits
	.p2align	6, 0x0
	.amdhsa_kernel _ZL15flash_attn_tileILi64ELi64ELi16ELi4ELb1EEvPKcS1_S1_S1_S1_PKiPfP15HIP_vector_typeIfLj2EEffffjfiS5_IjLj3EEiiiiiiiiiiiliiliiiiil
		.amdhsa_group_segment_fixed_size 0
		.amdhsa_private_segment_fixed_size 16
		.amdhsa_kernarg_size 464
		.amdhsa_user_sgpr_count 8
		.amdhsa_user_sgpr_private_segment_buffer 1
		.amdhsa_user_sgpr_dispatch_ptr 0
		.amdhsa_user_sgpr_queue_ptr 0
		.amdhsa_user_sgpr_kernarg_segment_ptr 1
		.amdhsa_user_sgpr_dispatch_id 0
		.amdhsa_user_sgpr_flat_scratch_init 1
		.amdhsa_user_sgpr_kernarg_preload_length 0
		.amdhsa_user_sgpr_kernarg_preload_offset 0
		.amdhsa_user_sgpr_private_segment_size 0
		.amdhsa_uses_dynamic_stack 0
		.amdhsa_system_sgpr_private_segment_wavefront_offset 1
		.amdhsa_system_sgpr_workgroup_id_x 1
		.amdhsa_system_sgpr_workgroup_id_y 0
		.amdhsa_system_sgpr_workgroup_id_z 0
		.amdhsa_system_sgpr_workgroup_info 0
		.amdhsa_system_vgpr_workitem_id 0
		.amdhsa_next_free_vgpr 39
		.amdhsa_next_free_sgpr 34
		.amdhsa_accum_offset 40
		.amdhsa_reserve_vcc 1
		.amdhsa_reserve_flat_scratch 1
		.amdhsa_float_round_mode_32 0
		.amdhsa_float_round_mode_16_64 0
		.amdhsa_float_denorm_mode_32 3
		.amdhsa_float_denorm_mode_16_64 3
		.amdhsa_dx10_clamp 1
		.amdhsa_ieee_mode 1
		.amdhsa_fp16_overflow 0
		.amdhsa_tg_split 0
		.amdhsa_exception_fp_ieee_invalid_op 0
		.amdhsa_exception_fp_denorm_src 0
		.amdhsa_exception_fp_ieee_div_zero 0
		.amdhsa_exception_fp_ieee_overflow 0
		.amdhsa_exception_fp_ieee_underflow 0
		.amdhsa_exception_fp_ieee_inexact 0
		.amdhsa_exception_int_div_zero 0
	.end_amdhsa_kernel
	.section	.text._ZL15flash_attn_tileILi64ELi64ELi16ELi4ELb1EEvPKcS1_S1_S1_S1_PKiPfP15HIP_vector_typeIfLj2EEffffjfiS5_IjLj3EEiiiiiiiiiiiliiliiiiil,"axG",@progbits,_ZL15flash_attn_tileILi64ELi64ELi16ELi4ELb1EEvPKcS1_S1_S1_S1_PKiPfP15HIP_vector_typeIfLj2EEffffjfiS5_IjLj3EEiiiiiiiiiiiliiliiiiil,comdat
.Lfunc_end78:
	.size	_ZL15flash_attn_tileILi64ELi64ELi16ELi4ELb1EEvPKcS1_S1_S1_S1_PKiPfP15HIP_vector_typeIfLj2EEffffjfiS5_IjLj3EEiiiiiiiiiiiliiliiiiil, .Lfunc_end78-_ZL15flash_attn_tileILi64ELi64ELi16ELi4ELb1EEvPKcS1_S1_S1_S1_PKiPfP15HIP_vector_typeIfLj2EEffffjfiS5_IjLj3EEiiiiiiiiiiiliiliiiiil
                                        ; -- End function
	.section	.AMDGPU.csdata,"",@progbits
; Kernel info:
; codeLenInByte = 56
; NumSgprs: 40
; NumVgprs: 39
; NumAgprs: 0
; TotalNumVgprs: 39
; ScratchSize: 16
; MemoryBound: 0
; FloatMode: 240
; IeeeMode: 1
; LDSByteSize: 0 bytes/workgroup (compile time only)
; SGPRBlocks: 4
; VGPRBlocks: 4
; NumSGPRsForWavesPerEU: 40
; NumVGPRsForWavesPerEU: 39
; AccumOffset: 40
; Occupancy: 8
; WaveLimiterHint : 1
; COMPUTE_PGM_RSRC2:SCRATCH_EN: 1
; COMPUTE_PGM_RSRC2:USER_SGPR: 8
; COMPUTE_PGM_RSRC2:TRAP_HANDLER: 0
; COMPUTE_PGM_RSRC2:TGID_X_EN: 1
; COMPUTE_PGM_RSRC2:TGID_Y_EN: 0
; COMPUTE_PGM_RSRC2:TGID_Z_EN: 0
; COMPUTE_PGM_RSRC2:TIDIG_COMP_CNT: 0
; COMPUTE_PGM_RSRC3_GFX90A:ACCUM_OFFSET: 9
; COMPUTE_PGM_RSRC3_GFX90A:TG_SPLIT: 0
	.section	.text._ZL15flash_attn_tileILi64ELi64ELi8ELi4ELb1EEvPKcS1_S1_S1_S1_PKiPfP15HIP_vector_typeIfLj2EEffffjfiS5_IjLj3EEiiiiiiiiiiiliiliiiiil,"axG",@progbits,_ZL15flash_attn_tileILi64ELi64ELi8ELi4ELb1EEvPKcS1_S1_S1_S1_PKiPfP15HIP_vector_typeIfLj2EEffffjfiS5_IjLj3EEiiiiiiiiiiiliiliiiiil,comdat
	.globl	_ZL15flash_attn_tileILi64ELi64ELi8ELi4ELb1EEvPKcS1_S1_S1_S1_PKiPfP15HIP_vector_typeIfLj2EEffffjfiS5_IjLj3EEiiiiiiiiiiiliiliiiiil ; -- Begin function _ZL15flash_attn_tileILi64ELi64ELi8ELi4ELb1EEvPKcS1_S1_S1_S1_PKiPfP15HIP_vector_typeIfLj2EEffffjfiS5_IjLj3EEiiiiiiiiiiiliiliiiiil
	.p2align	8
	.type	_ZL15flash_attn_tileILi64ELi64ELi8ELi4ELb1EEvPKcS1_S1_S1_S1_PKiPfP15HIP_vector_typeIfLj2EEffffjfiS5_IjLj3EEiiiiiiiiiiiliiliiiiil,@function
_ZL15flash_attn_tileILi64ELi64ELi8ELi4ELb1EEvPKcS1_S1_S1_S1_PKiPfP15HIP_vector_typeIfLj2EEffffjfiS5_IjLj3EEiiiiiiiiiiiliiliiiiil: ; @_ZL15flash_attn_tileILi64ELi64ELi8ELi4ELb1EEvPKcS1_S1_S1_S1_PKiPfP15HIP_vector_typeIfLj2EEffffjfiS5_IjLj3EEiiiiiiiiiiiliiliiiiil
; %bb.0:
	s_add_u32 flat_scratch_lo, s6, s9
	s_addc_u32 flat_scratch_hi, s7, 0
	s_add_u32 s0, s0, s9
	s_addc_u32 s1, s1, 0
	s_add_u32 s8, s4, 0xd0
	s_addc_u32 s9, s5, 0
	s_mov_b32 s32, 0
	s_getpc_b64 s[4:5]
	s_add_u32 s4, s4, _ZL14no_device_codePKciS0_iS0_@rel32@lo+4
	s_addc_u32 s5, s5, _ZL14no_device_codePKciS0_iS0_@rel32@hi+12
	s_swappc_b64 s[30:31], s[4:5]
	.section	.rodata,"a",@progbits
	.p2align	6, 0x0
	.amdhsa_kernel _ZL15flash_attn_tileILi64ELi64ELi8ELi4ELb1EEvPKcS1_S1_S1_S1_PKiPfP15HIP_vector_typeIfLj2EEffffjfiS5_IjLj3EEiiiiiiiiiiiliiliiiiil
		.amdhsa_group_segment_fixed_size 0
		.amdhsa_private_segment_fixed_size 16
		.amdhsa_kernarg_size 464
		.amdhsa_user_sgpr_count 8
		.amdhsa_user_sgpr_private_segment_buffer 1
		.amdhsa_user_sgpr_dispatch_ptr 0
		.amdhsa_user_sgpr_queue_ptr 0
		.amdhsa_user_sgpr_kernarg_segment_ptr 1
		.amdhsa_user_sgpr_dispatch_id 0
		.amdhsa_user_sgpr_flat_scratch_init 1
		.amdhsa_user_sgpr_kernarg_preload_length 0
		.amdhsa_user_sgpr_kernarg_preload_offset 0
		.amdhsa_user_sgpr_private_segment_size 0
		.amdhsa_uses_dynamic_stack 0
		.amdhsa_system_sgpr_private_segment_wavefront_offset 1
		.amdhsa_system_sgpr_workgroup_id_x 1
		.amdhsa_system_sgpr_workgroup_id_y 0
		.amdhsa_system_sgpr_workgroup_id_z 0
		.amdhsa_system_sgpr_workgroup_info 0
		.amdhsa_system_vgpr_workitem_id 0
		.amdhsa_next_free_vgpr 39
		.amdhsa_next_free_sgpr 34
		.amdhsa_accum_offset 40
		.amdhsa_reserve_vcc 1
		.amdhsa_reserve_flat_scratch 1
		.amdhsa_float_round_mode_32 0
		.amdhsa_float_round_mode_16_64 0
		.amdhsa_float_denorm_mode_32 3
		.amdhsa_float_denorm_mode_16_64 3
		.amdhsa_dx10_clamp 1
		.amdhsa_ieee_mode 1
		.amdhsa_fp16_overflow 0
		.amdhsa_tg_split 0
		.amdhsa_exception_fp_ieee_invalid_op 0
		.amdhsa_exception_fp_denorm_src 0
		.amdhsa_exception_fp_ieee_div_zero 0
		.amdhsa_exception_fp_ieee_overflow 0
		.amdhsa_exception_fp_ieee_underflow 0
		.amdhsa_exception_fp_ieee_inexact 0
		.amdhsa_exception_int_div_zero 0
	.end_amdhsa_kernel
	.section	.text._ZL15flash_attn_tileILi64ELi64ELi8ELi4ELb1EEvPKcS1_S1_S1_S1_PKiPfP15HIP_vector_typeIfLj2EEffffjfiS5_IjLj3EEiiiiiiiiiiiliiliiiiil,"axG",@progbits,_ZL15flash_attn_tileILi64ELi64ELi8ELi4ELb1EEvPKcS1_S1_S1_S1_PKiPfP15HIP_vector_typeIfLj2EEffffjfiS5_IjLj3EEiiiiiiiiiiiliiliiiiil,comdat
.Lfunc_end79:
	.size	_ZL15flash_attn_tileILi64ELi64ELi8ELi4ELb1EEvPKcS1_S1_S1_S1_PKiPfP15HIP_vector_typeIfLj2EEffffjfiS5_IjLj3EEiiiiiiiiiiiliiliiiiil, .Lfunc_end79-_ZL15flash_attn_tileILi64ELi64ELi8ELi4ELb1EEvPKcS1_S1_S1_S1_PKiPfP15HIP_vector_typeIfLj2EEffffjfiS5_IjLj3EEiiiiiiiiiiiliiliiiiil
                                        ; -- End function
	.section	.AMDGPU.csdata,"",@progbits
; Kernel info:
; codeLenInByte = 56
; NumSgprs: 40
; NumVgprs: 39
; NumAgprs: 0
; TotalNumVgprs: 39
; ScratchSize: 16
; MemoryBound: 0
; FloatMode: 240
; IeeeMode: 1
; LDSByteSize: 0 bytes/workgroup (compile time only)
; SGPRBlocks: 4
; VGPRBlocks: 4
; NumSGPRsForWavesPerEU: 40
; NumVGPRsForWavesPerEU: 39
; AccumOffset: 40
; Occupancy: 8
; WaveLimiterHint : 1
; COMPUTE_PGM_RSRC2:SCRATCH_EN: 1
; COMPUTE_PGM_RSRC2:USER_SGPR: 8
; COMPUTE_PGM_RSRC2:TRAP_HANDLER: 0
; COMPUTE_PGM_RSRC2:TGID_X_EN: 1
; COMPUTE_PGM_RSRC2:TGID_Y_EN: 0
; COMPUTE_PGM_RSRC2:TGID_Z_EN: 0
; COMPUTE_PGM_RSRC2:TIDIG_COMP_CNT: 0
; COMPUTE_PGM_RSRC3_GFX90A:ACCUM_OFFSET: 9
; COMPUTE_PGM_RSRC3_GFX90A:TG_SPLIT: 0
	.section	.text._ZL15flash_attn_tileILi64ELi64ELi4ELi4ELb1EEvPKcS1_S1_S1_S1_PKiPfP15HIP_vector_typeIfLj2EEffffjfiS5_IjLj3EEiiiiiiiiiiiliiliiiiil,"axG",@progbits,_ZL15flash_attn_tileILi64ELi64ELi4ELi4ELb1EEvPKcS1_S1_S1_S1_PKiPfP15HIP_vector_typeIfLj2EEffffjfiS5_IjLj3EEiiiiiiiiiiiliiliiiiil,comdat
	.globl	_ZL15flash_attn_tileILi64ELi64ELi4ELi4ELb1EEvPKcS1_S1_S1_S1_PKiPfP15HIP_vector_typeIfLj2EEffffjfiS5_IjLj3EEiiiiiiiiiiiliiliiiiil ; -- Begin function _ZL15flash_attn_tileILi64ELi64ELi4ELi4ELb1EEvPKcS1_S1_S1_S1_PKiPfP15HIP_vector_typeIfLj2EEffffjfiS5_IjLj3EEiiiiiiiiiiiliiliiiiil
	.p2align	8
	.type	_ZL15flash_attn_tileILi64ELi64ELi4ELi4ELb1EEvPKcS1_S1_S1_S1_PKiPfP15HIP_vector_typeIfLj2EEffffjfiS5_IjLj3EEiiiiiiiiiiiliiliiiiil,@function
_ZL15flash_attn_tileILi64ELi64ELi4ELi4ELb1EEvPKcS1_S1_S1_S1_PKiPfP15HIP_vector_typeIfLj2EEffffjfiS5_IjLj3EEiiiiiiiiiiiliiliiiiil: ; @_ZL15flash_attn_tileILi64ELi64ELi4ELi4ELb1EEvPKcS1_S1_S1_S1_PKiPfP15HIP_vector_typeIfLj2EEffffjfiS5_IjLj3EEiiiiiiiiiiiliiliiiiil
; %bb.0:
	s_add_u32 flat_scratch_lo, s6, s9
	s_addc_u32 flat_scratch_hi, s7, 0
	s_add_u32 s0, s0, s9
	s_addc_u32 s1, s1, 0
	s_add_u32 s8, s4, 0xd0
	s_addc_u32 s9, s5, 0
	s_mov_b32 s32, 0
	s_getpc_b64 s[4:5]
	s_add_u32 s4, s4, _ZL14no_device_codePKciS0_iS0_@rel32@lo+4
	s_addc_u32 s5, s5, _ZL14no_device_codePKciS0_iS0_@rel32@hi+12
	s_swappc_b64 s[30:31], s[4:5]
	.section	.rodata,"a",@progbits
	.p2align	6, 0x0
	.amdhsa_kernel _ZL15flash_attn_tileILi64ELi64ELi4ELi4ELb1EEvPKcS1_S1_S1_S1_PKiPfP15HIP_vector_typeIfLj2EEffffjfiS5_IjLj3EEiiiiiiiiiiiliiliiiiil
		.amdhsa_group_segment_fixed_size 0
		.amdhsa_private_segment_fixed_size 16
		.amdhsa_kernarg_size 464
		.amdhsa_user_sgpr_count 8
		.amdhsa_user_sgpr_private_segment_buffer 1
		.amdhsa_user_sgpr_dispatch_ptr 0
		.amdhsa_user_sgpr_queue_ptr 0
		.amdhsa_user_sgpr_kernarg_segment_ptr 1
		.amdhsa_user_sgpr_dispatch_id 0
		.amdhsa_user_sgpr_flat_scratch_init 1
		.amdhsa_user_sgpr_kernarg_preload_length 0
		.amdhsa_user_sgpr_kernarg_preload_offset 0
		.amdhsa_user_sgpr_private_segment_size 0
		.amdhsa_uses_dynamic_stack 0
		.amdhsa_system_sgpr_private_segment_wavefront_offset 1
		.amdhsa_system_sgpr_workgroup_id_x 1
		.amdhsa_system_sgpr_workgroup_id_y 0
		.amdhsa_system_sgpr_workgroup_id_z 0
		.amdhsa_system_sgpr_workgroup_info 0
		.amdhsa_system_vgpr_workitem_id 0
		.amdhsa_next_free_vgpr 39
		.amdhsa_next_free_sgpr 34
		.amdhsa_accum_offset 40
		.amdhsa_reserve_vcc 1
		.amdhsa_reserve_flat_scratch 1
		.amdhsa_float_round_mode_32 0
		.amdhsa_float_round_mode_16_64 0
		.amdhsa_float_denorm_mode_32 3
		.amdhsa_float_denorm_mode_16_64 3
		.amdhsa_dx10_clamp 1
		.amdhsa_ieee_mode 1
		.amdhsa_fp16_overflow 0
		.amdhsa_tg_split 0
		.amdhsa_exception_fp_ieee_invalid_op 0
		.amdhsa_exception_fp_denorm_src 0
		.amdhsa_exception_fp_ieee_div_zero 0
		.amdhsa_exception_fp_ieee_overflow 0
		.amdhsa_exception_fp_ieee_underflow 0
		.amdhsa_exception_fp_ieee_inexact 0
		.amdhsa_exception_int_div_zero 0
	.end_amdhsa_kernel
	.section	.text._ZL15flash_attn_tileILi64ELi64ELi4ELi4ELb1EEvPKcS1_S1_S1_S1_PKiPfP15HIP_vector_typeIfLj2EEffffjfiS5_IjLj3EEiiiiiiiiiiiliiliiiiil,"axG",@progbits,_ZL15flash_attn_tileILi64ELi64ELi4ELi4ELb1EEvPKcS1_S1_S1_S1_PKiPfP15HIP_vector_typeIfLj2EEffffjfiS5_IjLj3EEiiiiiiiiiiiliiliiiiil,comdat
.Lfunc_end80:
	.size	_ZL15flash_attn_tileILi64ELi64ELi4ELi4ELb1EEvPKcS1_S1_S1_S1_PKiPfP15HIP_vector_typeIfLj2EEffffjfiS5_IjLj3EEiiiiiiiiiiiliiliiiiil, .Lfunc_end80-_ZL15flash_attn_tileILi64ELi64ELi4ELi4ELb1EEvPKcS1_S1_S1_S1_PKiPfP15HIP_vector_typeIfLj2EEffffjfiS5_IjLj3EEiiiiiiiiiiiliiliiiiil
                                        ; -- End function
	.section	.AMDGPU.csdata,"",@progbits
; Kernel info:
; codeLenInByte = 56
; NumSgprs: 40
; NumVgprs: 39
; NumAgprs: 0
; TotalNumVgprs: 39
; ScratchSize: 16
; MemoryBound: 0
; FloatMode: 240
; IeeeMode: 1
; LDSByteSize: 0 bytes/workgroup (compile time only)
; SGPRBlocks: 4
; VGPRBlocks: 4
; NumSGPRsForWavesPerEU: 40
; NumVGPRsForWavesPerEU: 39
; AccumOffset: 40
; Occupancy: 8
; WaveLimiterHint : 1
; COMPUTE_PGM_RSRC2:SCRATCH_EN: 1
; COMPUTE_PGM_RSRC2:USER_SGPR: 8
; COMPUTE_PGM_RSRC2:TRAP_HANDLER: 0
; COMPUTE_PGM_RSRC2:TGID_X_EN: 1
; COMPUTE_PGM_RSRC2:TGID_Y_EN: 0
; COMPUTE_PGM_RSRC2:TGID_Z_EN: 0
; COMPUTE_PGM_RSRC2:TIDIG_COMP_CNT: 0
; COMPUTE_PGM_RSRC3_GFX90A:ACCUM_OFFSET: 9
; COMPUTE_PGM_RSRC3_GFX90A:TG_SPLIT: 0
	.section	.text._ZL15flash_attn_tileILi64ELi64ELi2ELi4ELb1EEvPKcS1_S1_S1_S1_PKiPfP15HIP_vector_typeIfLj2EEffffjfiS5_IjLj3EEiiiiiiiiiiiliiliiiiil,"axG",@progbits,_ZL15flash_attn_tileILi64ELi64ELi2ELi4ELb1EEvPKcS1_S1_S1_S1_PKiPfP15HIP_vector_typeIfLj2EEffffjfiS5_IjLj3EEiiiiiiiiiiiliiliiiiil,comdat
	.globl	_ZL15flash_attn_tileILi64ELi64ELi2ELi4ELb1EEvPKcS1_S1_S1_S1_PKiPfP15HIP_vector_typeIfLj2EEffffjfiS5_IjLj3EEiiiiiiiiiiiliiliiiiil ; -- Begin function _ZL15flash_attn_tileILi64ELi64ELi2ELi4ELb1EEvPKcS1_S1_S1_S1_PKiPfP15HIP_vector_typeIfLj2EEffffjfiS5_IjLj3EEiiiiiiiiiiiliiliiiiil
	.p2align	8
	.type	_ZL15flash_attn_tileILi64ELi64ELi2ELi4ELb1EEvPKcS1_S1_S1_S1_PKiPfP15HIP_vector_typeIfLj2EEffffjfiS5_IjLj3EEiiiiiiiiiiiliiliiiiil,@function
_ZL15flash_attn_tileILi64ELi64ELi2ELi4ELb1EEvPKcS1_S1_S1_S1_PKiPfP15HIP_vector_typeIfLj2EEffffjfiS5_IjLj3EEiiiiiiiiiiiliiliiiiil: ; @_ZL15flash_attn_tileILi64ELi64ELi2ELi4ELb1EEvPKcS1_S1_S1_S1_PKiPfP15HIP_vector_typeIfLj2EEffffjfiS5_IjLj3EEiiiiiiiiiiiliiliiiiil
; %bb.0:
	s_add_u32 flat_scratch_lo, s6, s9
	s_addc_u32 flat_scratch_hi, s7, 0
	s_add_u32 s0, s0, s9
	s_addc_u32 s1, s1, 0
	s_add_u32 s8, s4, 0xd0
	s_addc_u32 s9, s5, 0
	s_mov_b32 s32, 0
	s_getpc_b64 s[4:5]
	s_add_u32 s4, s4, _ZL14no_device_codePKciS0_iS0_@rel32@lo+4
	s_addc_u32 s5, s5, _ZL14no_device_codePKciS0_iS0_@rel32@hi+12
	s_swappc_b64 s[30:31], s[4:5]
	.section	.rodata,"a",@progbits
	.p2align	6, 0x0
	.amdhsa_kernel _ZL15flash_attn_tileILi64ELi64ELi2ELi4ELb1EEvPKcS1_S1_S1_S1_PKiPfP15HIP_vector_typeIfLj2EEffffjfiS5_IjLj3EEiiiiiiiiiiiliiliiiiil
		.amdhsa_group_segment_fixed_size 0
		.amdhsa_private_segment_fixed_size 16
		.amdhsa_kernarg_size 464
		.amdhsa_user_sgpr_count 8
		.amdhsa_user_sgpr_private_segment_buffer 1
		.amdhsa_user_sgpr_dispatch_ptr 0
		.amdhsa_user_sgpr_queue_ptr 0
		.amdhsa_user_sgpr_kernarg_segment_ptr 1
		.amdhsa_user_sgpr_dispatch_id 0
		.amdhsa_user_sgpr_flat_scratch_init 1
		.amdhsa_user_sgpr_kernarg_preload_length 0
		.amdhsa_user_sgpr_kernarg_preload_offset 0
		.amdhsa_user_sgpr_private_segment_size 0
		.amdhsa_uses_dynamic_stack 0
		.amdhsa_system_sgpr_private_segment_wavefront_offset 1
		.amdhsa_system_sgpr_workgroup_id_x 1
		.amdhsa_system_sgpr_workgroup_id_y 0
		.amdhsa_system_sgpr_workgroup_id_z 0
		.amdhsa_system_sgpr_workgroup_info 0
		.amdhsa_system_vgpr_workitem_id 0
		.amdhsa_next_free_vgpr 39
		.amdhsa_next_free_sgpr 34
		.amdhsa_accum_offset 40
		.amdhsa_reserve_vcc 1
		.amdhsa_reserve_flat_scratch 1
		.amdhsa_float_round_mode_32 0
		.amdhsa_float_round_mode_16_64 0
		.amdhsa_float_denorm_mode_32 3
		.amdhsa_float_denorm_mode_16_64 3
		.amdhsa_dx10_clamp 1
		.amdhsa_ieee_mode 1
		.amdhsa_fp16_overflow 0
		.amdhsa_tg_split 0
		.amdhsa_exception_fp_ieee_invalid_op 0
		.amdhsa_exception_fp_denorm_src 0
		.amdhsa_exception_fp_ieee_div_zero 0
		.amdhsa_exception_fp_ieee_overflow 0
		.amdhsa_exception_fp_ieee_underflow 0
		.amdhsa_exception_fp_ieee_inexact 0
		.amdhsa_exception_int_div_zero 0
	.end_amdhsa_kernel
	.section	.text._ZL15flash_attn_tileILi64ELi64ELi2ELi4ELb1EEvPKcS1_S1_S1_S1_PKiPfP15HIP_vector_typeIfLj2EEffffjfiS5_IjLj3EEiiiiiiiiiiiliiliiiiil,"axG",@progbits,_ZL15flash_attn_tileILi64ELi64ELi2ELi4ELb1EEvPKcS1_S1_S1_S1_PKiPfP15HIP_vector_typeIfLj2EEffffjfiS5_IjLj3EEiiiiiiiiiiiliiliiiiil,comdat
.Lfunc_end81:
	.size	_ZL15flash_attn_tileILi64ELi64ELi2ELi4ELb1EEvPKcS1_S1_S1_S1_PKiPfP15HIP_vector_typeIfLj2EEffffjfiS5_IjLj3EEiiiiiiiiiiiliiliiiiil, .Lfunc_end81-_ZL15flash_attn_tileILi64ELi64ELi2ELi4ELb1EEvPKcS1_S1_S1_S1_PKiPfP15HIP_vector_typeIfLj2EEffffjfiS5_IjLj3EEiiiiiiiiiiiliiliiiiil
                                        ; -- End function
	.section	.AMDGPU.csdata,"",@progbits
; Kernel info:
; codeLenInByte = 56
; NumSgprs: 40
; NumVgprs: 39
; NumAgprs: 0
; TotalNumVgprs: 39
; ScratchSize: 16
; MemoryBound: 0
; FloatMode: 240
; IeeeMode: 1
; LDSByteSize: 0 bytes/workgroup (compile time only)
; SGPRBlocks: 4
; VGPRBlocks: 4
; NumSGPRsForWavesPerEU: 40
; NumVGPRsForWavesPerEU: 39
; AccumOffset: 40
; Occupancy: 8
; WaveLimiterHint : 1
; COMPUTE_PGM_RSRC2:SCRATCH_EN: 1
; COMPUTE_PGM_RSRC2:USER_SGPR: 8
; COMPUTE_PGM_RSRC2:TRAP_HANDLER: 0
; COMPUTE_PGM_RSRC2:TGID_X_EN: 1
; COMPUTE_PGM_RSRC2:TGID_Y_EN: 0
; COMPUTE_PGM_RSRC2:TGID_Z_EN: 0
; COMPUTE_PGM_RSRC2:TIDIG_COMP_CNT: 0
; COMPUTE_PGM_RSRC3_GFX90A:ACCUM_OFFSET: 9
; COMPUTE_PGM_RSRC3_GFX90A:TG_SPLIT: 0
	.section	.text._ZL15flash_attn_tileILi64ELi64ELi1ELi4ELb1EEvPKcS1_S1_S1_S1_PKiPfP15HIP_vector_typeIfLj2EEffffjfiS5_IjLj3EEiiiiiiiiiiiliiliiiiil,"axG",@progbits,_ZL15flash_attn_tileILi64ELi64ELi1ELi4ELb1EEvPKcS1_S1_S1_S1_PKiPfP15HIP_vector_typeIfLj2EEffffjfiS5_IjLj3EEiiiiiiiiiiiliiliiiiil,comdat
	.globl	_ZL15flash_attn_tileILi64ELi64ELi1ELi4ELb1EEvPKcS1_S1_S1_S1_PKiPfP15HIP_vector_typeIfLj2EEffffjfiS5_IjLj3EEiiiiiiiiiiiliiliiiiil ; -- Begin function _ZL15flash_attn_tileILi64ELi64ELi1ELi4ELb1EEvPKcS1_S1_S1_S1_PKiPfP15HIP_vector_typeIfLj2EEffffjfiS5_IjLj3EEiiiiiiiiiiiliiliiiiil
	.p2align	8
	.type	_ZL15flash_attn_tileILi64ELi64ELi1ELi4ELb1EEvPKcS1_S1_S1_S1_PKiPfP15HIP_vector_typeIfLj2EEffffjfiS5_IjLj3EEiiiiiiiiiiiliiliiiiil,@function
_ZL15flash_attn_tileILi64ELi64ELi1ELi4ELb1EEvPKcS1_S1_S1_S1_PKiPfP15HIP_vector_typeIfLj2EEffffjfiS5_IjLj3EEiiiiiiiiiiiliiliiiiil: ; @_ZL15flash_attn_tileILi64ELi64ELi1ELi4ELb1EEvPKcS1_S1_S1_S1_PKiPfP15HIP_vector_typeIfLj2EEffffjfiS5_IjLj3EEiiiiiiiiiiiliiliiiiil
; %bb.0:
	s_add_u32 flat_scratch_lo, s6, s9
	s_addc_u32 flat_scratch_hi, s7, 0
	s_add_u32 s0, s0, s9
	s_addc_u32 s1, s1, 0
	s_add_u32 s8, s4, 0xd0
	s_addc_u32 s9, s5, 0
	s_mov_b32 s32, 0
	s_getpc_b64 s[4:5]
	s_add_u32 s4, s4, _ZL14no_device_codePKciS0_iS0_@rel32@lo+4
	s_addc_u32 s5, s5, _ZL14no_device_codePKciS0_iS0_@rel32@hi+12
	s_swappc_b64 s[30:31], s[4:5]
	.section	.rodata,"a",@progbits
	.p2align	6, 0x0
	.amdhsa_kernel _ZL15flash_attn_tileILi64ELi64ELi1ELi4ELb1EEvPKcS1_S1_S1_S1_PKiPfP15HIP_vector_typeIfLj2EEffffjfiS5_IjLj3EEiiiiiiiiiiiliiliiiiil
		.amdhsa_group_segment_fixed_size 0
		.amdhsa_private_segment_fixed_size 16
		.amdhsa_kernarg_size 464
		.amdhsa_user_sgpr_count 8
		.amdhsa_user_sgpr_private_segment_buffer 1
		.amdhsa_user_sgpr_dispatch_ptr 0
		.amdhsa_user_sgpr_queue_ptr 0
		.amdhsa_user_sgpr_kernarg_segment_ptr 1
		.amdhsa_user_sgpr_dispatch_id 0
		.amdhsa_user_sgpr_flat_scratch_init 1
		.amdhsa_user_sgpr_kernarg_preload_length 0
		.amdhsa_user_sgpr_kernarg_preload_offset 0
		.amdhsa_user_sgpr_private_segment_size 0
		.amdhsa_uses_dynamic_stack 0
		.amdhsa_system_sgpr_private_segment_wavefront_offset 1
		.amdhsa_system_sgpr_workgroup_id_x 1
		.amdhsa_system_sgpr_workgroup_id_y 0
		.amdhsa_system_sgpr_workgroup_id_z 0
		.amdhsa_system_sgpr_workgroup_info 0
		.amdhsa_system_vgpr_workitem_id 0
		.amdhsa_next_free_vgpr 39
		.amdhsa_next_free_sgpr 34
		.amdhsa_accum_offset 40
		.amdhsa_reserve_vcc 1
		.amdhsa_reserve_flat_scratch 1
		.amdhsa_float_round_mode_32 0
		.amdhsa_float_round_mode_16_64 0
		.amdhsa_float_denorm_mode_32 3
		.amdhsa_float_denorm_mode_16_64 3
		.amdhsa_dx10_clamp 1
		.amdhsa_ieee_mode 1
		.amdhsa_fp16_overflow 0
		.amdhsa_tg_split 0
		.amdhsa_exception_fp_ieee_invalid_op 0
		.amdhsa_exception_fp_denorm_src 0
		.amdhsa_exception_fp_ieee_div_zero 0
		.amdhsa_exception_fp_ieee_overflow 0
		.amdhsa_exception_fp_ieee_underflow 0
		.amdhsa_exception_fp_ieee_inexact 0
		.amdhsa_exception_int_div_zero 0
	.end_amdhsa_kernel
	.section	.text._ZL15flash_attn_tileILi64ELi64ELi1ELi4ELb1EEvPKcS1_S1_S1_S1_PKiPfP15HIP_vector_typeIfLj2EEffffjfiS5_IjLj3EEiiiiiiiiiiiliiliiiiil,"axG",@progbits,_ZL15flash_attn_tileILi64ELi64ELi1ELi4ELb1EEvPKcS1_S1_S1_S1_PKiPfP15HIP_vector_typeIfLj2EEffffjfiS5_IjLj3EEiiiiiiiiiiiliiliiiiil,comdat
.Lfunc_end82:
	.size	_ZL15flash_attn_tileILi64ELi64ELi1ELi4ELb1EEvPKcS1_S1_S1_S1_PKiPfP15HIP_vector_typeIfLj2EEffffjfiS5_IjLj3EEiiiiiiiiiiiliiliiiiil, .Lfunc_end82-_ZL15flash_attn_tileILi64ELi64ELi1ELi4ELb1EEvPKcS1_S1_S1_S1_PKiPfP15HIP_vector_typeIfLj2EEffffjfiS5_IjLj3EEiiiiiiiiiiiliiliiiiil
                                        ; -- End function
	.section	.AMDGPU.csdata,"",@progbits
; Kernel info:
; codeLenInByte = 56
; NumSgprs: 40
; NumVgprs: 39
; NumAgprs: 0
; TotalNumVgprs: 39
; ScratchSize: 16
; MemoryBound: 0
; FloatMode: 240
; IeeeMode: 1
; LDSByteSize: 0 bytes/workgroup (compile time only)
; SGPRBlocks: 4
; VGPRBlocks: 4
; NumSGPRsForWavesPerEU: 40
; NumVGPRsForWavesPerEU: 39
; AccumOffset: 40
; Occupancy: 8
; WaveLimiterHint : 1
; COMPUTE_PGM_RSRC2:SCRATCH_EN: 1
; COMPUTE_PGM_RSRC2:USER_SGPR: 8
; COMPUTE_PGM_RSRC2:TRAP_HANDLER: 0
; COMPUTE_PGM_RSRC2:TGID_X_EN: 1
; COMPUTE_PGM_RSRC2:TGID_Y_EN: 0
; COMPUTE_PGM_RSRC2:TGID_Z_EN: 0
; COMPUTE_PGM_RSRC2:TIDIG_COMP_CNT: 0
; COMPUTE_PGM_RSRC3_GFX90A:ACCUM_OFFSET: 9
; COMPUTE_PGM_RSRC3_GFX90A:TG_SPLIT: 0
	.section	.text._ZL15flash_attn_tileILi64ELi64ELi32ELi2ELb1EEvPKcS1_S1_S1_S1_PKiPfP15HIP_vector_typeIfLj2EEffffjfiS5_IjLj3EEiiiiiiiiiiiliiliiiiil,"axG",@progbits,_ZL15flash_attn_tileILi64ELi64ELi32ELi2ELb1EEvPKcS1_S1_S1_S1_PKiPfP15HIP_vector_typeIfLj2EEffffjfiS5_IjLj3EEiiiiiiiiiiiliiliiiiil,comdat
	.globl	_ZL15flash_attn_tileILi64ELi64ELi32ELi2ELb1EEvPKcS1_S1_S1_S1_PKiPfP15HIP_vector_typeIfLj2EEffffjfiS5_IjLj3EEiiiiiiiiiiiliiliiiiil ; -- Begin function _ZL15flash_attn_tileILi64ELi64ELi32ELi2ELb1EEvPKcS1_S1_S1_S1_PKiPfP15HIP_vector_typeIfLj2EEffffjfiS5_IjLj3EEiiiiiiiiiiiliiliiiiil
	.p2align	8
	.type	_ZL15flash_attn_tileILi64ELi64ELi32ELi2ELb1EEvPKcS1_S1_S1_S1_PKiPfP15HIP_vector_typeIfLj2EEffffjfiS5_IjLj3EEiiiiiiiiiiiliiliiiiil,@function
_ZL15flash_attn_tileILi64ELi64ELi32ELi2ELb1EEvPKcS1_S1_S1_S1_PKiPfP15HIP_vector_typeIfLj2EEffffjfiS5_IjLj3EEiiiiiiiiiiiliiliiiiil: ; @_ZL15flash_attn_tileILi64ELi64ELi32ELi2ELb1EEvPKcS1_S1_S1_S1_PKiPfP15HIP_vector_typeIfLj2EEffffjfiS5_IjLj3EEiiiiiiiiiiiliiliiiiil
; %bb.0:
	s_add_u32 flat_scratch_lo, s6, s9
	s_addc_u32 flat_scratch_hi, s7, 0
	s_add_u32 s0, s0, s9
	s_addc_u32 s1, s1, 0
	s_add_u32 s8, s4, 0xd0
	s_addc_u32 s9, s5, 0
	s_mov_b32 s32, 0
	s_getpc_b64 s[4:5]
	s_add_u32 s4, s4, _ZL14no_device_codePKciS0_iS0_@rel32@lo+4
	s_addc_u32 s5, s5, _ZL14no_device_codePKciS0_iS0_@rel32@hi+12
	s_swappc_b64 s[30:31], s[4:5]
	.section	.rodata,"a",@progbits
	.p2align	6, 0x0
	.amdhsa_kernel _ZL15flash_attn_tileILi64ELi64ELi32ELi2ELb1EEvPKcS1_S1_S1_S1_PKiPfP15HIP_vector_typeIfLj2EEffffjfiS5_IjLj3EEiiiiiiiiiiiliiliiiiil
		.amdhsa_group_segment_fixed_size 0
		.amdhsa_private_segment_fixed_size 16
		.amdhsa_kernarg_size 464
		.amdhsa_user_sgpr_count 8
		.amdhsa_user_sgpr_private_segment_buffer 1
		.amdhsa_user_sgpr_dispatch_ptr 0
		.amdhsa_user_sgpr_queue_ptr 0
		.amdhsa_user_sgpr_kernarg_segment_ptr 1
		.amdhsa_user_sgpr_dispatch_id 0
		.amdhsa_user_sgpr_flat_scratch_init 1
		.amdhsa_user_sgpr_kernarg_preload_length 0
		.amdhsa_user_sgpr_kernarg_preload_offset 0
		.amdhsa_user_sgpr_private_segment_size 0
		.amdhsa_uses_dynamic_stack 0
		.amdhsa_system_sgpr_private_segment_wavefront_offset 1
		.amdhsa_system_sgpr_workgroup_id_x 1
		.amdhsa_system_sgpr_workgroup_id_y 0
		.amdhsa_system_sgpr_workgroup_id_z 0
		.amdhsa_system_sgpr_workgroup_info 0
		.amdhsa_system_vgpr_workitem_id 0
		.amdhsa_next_free_vgpr 39
		.amdhsa_next_free_sgpr 34
		.amdhsa_accum_offset 40
		.amdhsa_reserve_vcc 1
		.amdhsa_reserve_flat_scratch 1
		.amdhsa_float_round_mode_32 0
		.amdhsa_float_round_mode_16_64 0
		.amdhsa_float_denorm_mode_32 3
		.amdhsa_float_denorm_mode_16_64 3
		.amdhsa_dx10_clamp 1
		.amdhsa_ieee_mode 1
		.amdhsa_fp16_overflow 0
		.amdhsa_tg_split 0
		.amdhsa_exception_fp_ieee_invalid_op 0
		.amdhsa_exception_fp_denorm_src 0
		.amdhsa_exception_fp_ieee_div_zero 0
		.amdhsa_exception_fp_ieee_overflow 0
		.amdhsa_exception_fp_ieee_underflow 0
		.amdhsa_exception_fp_ieee_inexact 0
		.amdhsa_exception_int_div_zero 0
	.end_amdhsa_kernel
	.section	.text._ZL15flash_attn_tileILi64ELi64ELi32ELi2ELb1EEvPKcS1_S1_S1_S1_PKiPfP15HIP_vector_typeIfLj2EEffffjfiS5_IjLj3EEiiiiiiiiiiiliiliiiiil,"axG",@progbits,_ZL15flash_attn_tileILi64ELi64ELi32ELi2ELb1EEvPKcS1_S1_S1_S1_PKiPfP15HIP_vector_typeIfLj2EEffffjfiS5_IjLj3EEiiiiiiiiiiiliiliiiiil,comdat
.Lfunc_end83:
	.size	_ZL15flash_attn_tileILi64ELi64ELi32ELi2ELb1EEvPKcS1_S1_S1_S1_PKiPfP15HIP_vector_typeIfLj2EEffffjfiS5_IjLj3EEiiiiiiiiiiiliiliiiiil, .Lfunc_end83-_ZL15flash_attn_tileILi64ELi64ELi32ELi2ELb1EEvPKcS1_S1_S1_S1_PKiPfP15HIP_vector_typeIfLj2EEffffjfiS5_IjLj3EEiiiiiiiiiiiliiliiiiil
                                        ; -- End function
	.section	.AMDGPU.csdata,"",@progbits
; Kernel info:
; codeLenInByte = 56
; NumSgprs: 40
; NumVgprs: 39
; NumAgprs: 0
; TotalNumVgprs: 39
; ScratchSize: 16
; MemoryBound: 0
; FloatMode: 240
; IeeeMode: 1
; LDSByteSize: 0 bytes/workgroup (compile time only)
; SGPRBlocks: 4
; VGPRBlocks: 4
; NumSGPRsForWavesPerEU: 40
; NumVGPRsForWavesPerEU: 39
; AccumOffset: 40
; Occupancy: 8
; WaveLimiterHint : 1
; COMPUTE_PGM_RSRC2:SCRATCH_EN: 1
; COMPUTE_PGM_RSRC2:USER_SGPR: 8
; COMPUTE_PGM_RSRC2:TRAP_HANDLER: 0
; COMPUTE_PGM_RSRC2:TGID_X_EN: 1
; COMPUTE_PGM_RSRC2:TGID_Y_EN: 0
; COMPUTE_PGM_RSRC2:TGID_Z_EN: 0
; COMPUTE_PGM_RSRC2:TIDIG_COMP_CNT: 0
; COMPUTE_PGM_RSRC3_GFX90A:ACCUM_OFFSET: 9
; COMPUTE_PGM_RSRC3_GFX90A:TG_SPLIT: 0
	.section	.text._ZL15flash_attn_tileILi64ELi64ELi16ELi2ELb1EEvPKcS1_S1_S1_S1_PKiPfP15HIP_vector_typeIfLj2EEffffjfiS5_IjLj3EEiiiiiiiiiiiliiliiiiil,"axG",@progbits,_ZL15flash_attn_tileILi64ELi64ELi16ELi2ELb1EEvPKcS1_S1_S1_S1_PKiPfP15HIP_vector_typeIfLj2EEffffjfiS5_IjLj3EEiiiiiiiiiiiliiliiiiil,comdat
	.globl	_ZL15flash_attn_tileILi64ELi64ELi16ELi2ELb1EEvPKcS1_S1_S1_S1_PKiPfP15HIP_vector_typeIfLj2EEffffjfiS5_IjLj3EEiiiiiiiiiiiliiliiiiil ; -- Begin function _ZL15flash_attn_tileILi64ELi64ELi16ELi2ELb1EEvPKcS1_S1_S1_S1_PKiPfP15HIP_vector_typeIfLj2EEffffjfiS5_IjLj3EEiiiiiiiiiiiliiliiiiil
	.p2align	8
	.type	_ZL15flash_attn_tileILi64ELi64ELi16ELi2ELb1EEvPKcS1_S1_S1_S1_PKiPfP15HIP_vector_typeIfLj2EEffffjfiS5_IjLj3EEiiiiiiiiiiiliiliiiiil,@function
_ZL15flash_attn_tileILi64ELi64ELi16ELi2ELb1EEvPKcS1_S1_S1_S1_PKiPfP15HIP_vector_typeIfLj2EEffffjfiS5_IjLj3EEiiiiiiiiiiiliiliiiiil: ; @_ZL15flash_attn_tileILi64ELi64ELi16ELi2ELb1EEvPKcS1_S1_S1_S1_PKiPfP15HIP_vector_typeIfLj2EEffffjfiS5_IjLj3EEiiiiiiiiiiiliiliiiiil
; %bb.0:
	s_add_u32 flat_scratch_lo, s6, s9
	s_addc_u32 flat_scratch_hi, s7, 0
	s_add_u32 s0, s0, s9
	s_addc_u32 s1, s1, 0
	s_add_u32 s8, s4, 0xd0
	s_addc_u32 s9, s5, 0
	s_mov_b32 s32, 0
	s_getpc_b64 s[4:5]
	s_add_u32 s4, s4, _ZL14no_device_codePKciS0_iS0_@rel32@lo+4
	s_addc_u32 s5, s5, _ZL14no_device_codePKciS0_iS0_@rel32@hi+12
	s_swappc_b64 s[30:31], s[4:5]
	.section	.rodata,"a",@progbits
	.p2align	6, 0x0
	.amdhsa_kernel _ZL15flash_attn_tileILi64ELi64ELi16ELi2ELb1EEvPKcS1_S1_S1_S1_PKiPfP15HIP_vector_typeIfLj2EEffffjfiS5_IjLj3EEiiiiiiiiiiiliiliiiiil
		.amdhsa_group_segment_fixed_size 0
		.amdhsa_private_segment_fixed_size 16
		.amdhsa_kernarg_size 464
		.amdhsa_user_sgpr_count 8
		.amdhsa_user_sgpr_private_segment_buffer 1
		.amdhsa_user_sgpr_dispatch_ptr 0
		.amdhsa_user_sgpr_queue_ptr 0
		.amdhsa_user_sgpr_kernarg_segment_ptr 1
		.amdhsa_user_sgpr_dispatch_id 0
		.amdhsa_user_sgpr_flat_scratch_init 1
		.amdhsa_user_sgpr_kernarg_preload_length 0
		.amdhsa_user_sgpr_kernarg_preload_offset 0
		.amdhsa_user_sgpr_private_segment_size 0
		.amdhsa_uses_dynamic_stack 0
		.amdhsa_system_sgpr_private_segment_wavefront_offset 1
		.amdhsa_system_sgpr_workgroup_id_x 1
		.amdhsa_system_sgpr_workgroup_id_y 0
		.amdhsa_system_sgpr_workgroup_id_z 0
		.amdhsa_system_sgpr_workgroup_info 0
		.amdhsa_system_vgpr_workitem_id 0
		.amdhsa_next_free_vgpr 39
		.amdhsa_next_free_sgpr 34
		.amdhsa_accum_offset 40
		.amdhsa_reserve_vcc 1
		.amdhsa_reserve_flat_scratch 1
		.amdhsa_float_round_mode_32 0
		.amdhsa_float_round_mode_16_64 0
		.amdhsa_float_denorm_mode_32 3
		.amdhsa_float_denorm_mode_16_64 3
		.amdhsa_dx10_clamp 1
		.amdhsa_ieee_mode 1
		.amdhsa_fp16_overflow 0
		.amdhsa_tg_split 0
		.amdhsa_exception_fp_ieee_invalid_op 0
		.amdhsa_exception_fp_denorm_src 0
		.amdhsa_exception_fp_ieee_div_zero 0
		.amdhsa_exception_fp_ieee_overflow 0
		.amdhsa_exception_fp_ieee_underflow 0
		.amdhsa_exception_fp_ieee_inexact 0
		.amdhsa_exception_int_div_zero 0
	.end_amdhsa_kernel
	.section	.text._ZL15flash_attn_tileILi64ELi64ELi16ELi2ELb1EEvPKcS1_S1_S1_S1_PKiPfP15HIP_vector_typeIfLj2EEffffjfiS5_IjLj3EEiiiiiiiiiiiliiliiiiil,"axG",@progbits,_ZL15flash_attn_tileILi64ELi64ELi16ELi2ELb1EEvPKcS1_S1_S1_S1_PKiPfP15HIP_vector_typeIfLj2EEffffjfiS5_IjLj3EEiiiiiiiiiiiliiliiiiil,comdat
.Lfunc_end84:
	.size	_ZL15flash_attn_tileILi64ELi64ELi16ELi2ELb1EEvPKcS1_S1_S1_S1_PKiPfP15HIP_vector_typeIfLj2EEffffjfiS5_IjLj3EEiiiiiiiiiiiliiliiiiil, .Lfunc_end84-_ZL15flash_attn_tileILi64ELi64ELi16ELi2ELb1EEvPKcS1_S1_S1_S1_PKiPfP15HIP_vector_typeIfLj2EEffffjfiS5_IjLj3EEiiiiiiiiiiiliiliiiiil
                                        ; -- End function
	.section	.AMDGPU.csdata,"",@progbits
; Kernel info:
; codeLenInByte = 56
; NumSgprs: 40
; NumVgprs: 39
; NumAgprs: 0
; TotalNumVgprs: 39
; ScratchSize: 16
; MemoryBound: 0
; FloatMode: 240
; IeeeMode: 1
; LDSByteSize: 0 bytes/workgroup (compile time only)
; SGPRBlocks: 4
; VGPRBlocks: 4
; NumSGPRsForWavesPerEU: 40
; NumVGPRsForWavesPerEU: 39
; AccumOffset: 40
; Occupancy: 8
; WaveLimiterHint : 1
; COMPUTE_PGM_RSRC2:SCRATCH_EN: 1
; COMPUTE_PGM_RSRC2:USER_SGPR: 8
; COMPUTE_PGM_RSRC2:TRAP_HANDLER: 0
; COMPUTE_PGM_RSRC2:TGID_X_EN: 1
; COMPUTE_PGM_RSRC2:TGID_Y_EN: 0
; COMPUTE_PGM_RSRC2:TGID_Z_EN: 0
; COMPUTE_PGM_RSRC2:TIDIG_COMP_CNT: 0
; COMPUTE_PGM_RSRC3_GFX90A:ACCUM_OFFSET: 9
; COMPUTE_PGM_RSRC3_GFX90A:TG_SPLIT: 0
	.section	.text._ZL15flash_attn_tileILi64ELi64ELi8ELi2ELb1EEvPKcS1_S1_S1_S1_PKiPfP15HIP_vector_typeIfLj2EEffffjfiS5_IjLj3EEiiiiiiiiiiiliiliiiiil,"axG",@progbits,_ZL15flash_attn_tileILi64ELi64ELi8ELi2ELb1EEvPKcS1_S1_S1_S1_PKiPfP15HIP_vector_typeIfLj2EEffffjfiS5_IjLj3EEiiiiiiiiiiiliiliiiiil,comdat
	.globl	_ZL15flash_attn_tileILi64ELi64ELi8ELi2ELb1EEvPKcS1_S1_S1_S1_PKiPfP15HIP_vector_typeIfLj2EEffffjfiS5_IjLj3EEiiiiiiiiiiiliiliiiiil ; -- Begin function _ZL15flash_attn_tileILi64ELi64ELi8ELi2ELb1EEvPKcS1_S1_S1_S1_PKiPfP15HIP_vector_typeIfLj2EEffffjfiS5_IjLj3EEiiiiiiiiiiiliiliiiiil
	.p2align	8
	.type	_ZL15flash_attn_tileILi64ELi64ELi8ELi2ELb1EEvPKcS1_S1_S1_S1_PKiPfP15HIP_vector_typeIfLj2EEffffjfiS5_IjLj3EEiiiiiiiiiiiliiliiiiil,@function
_ZL15flash_attn_tileILi64ELi64ELi8ELi2ELb1EEvPKcS1_S1_S1_S1_PKiPfP15HIP_vector_typeIfLj2EEffffjfiS5_IjLj3EEiiiiiiiiiiiliiliiiiil: ; @_ZL15flash_attn_tileILi64ELi64ELi8ELi2ELb1EEvPKcS1_S1_S1_S1_PKiPfP15HIP_vector_typeIfLj2EEffffjfiS5_IjLj3EEiiiiiiiiiiiliiliiiiil
; %bb.0:
	s_add_u32 flat_scratch_lo, s6, s9
	s_addc_u32 flat_scratch_hi, s7, 0
	s_add_u32 s0, s0, s9
	s_addc_u32 s1, s1, 0
	s_add_u32 s8, s4, 0xd0
	s_addc_u32 s9, s5, 0
	s_mov_b32 s32, 0
	s_getpc_b64 s[4:5]
	s_add_u32 s4, s4, _ZL14no_device_codePKciS0_iS0_@rel32@lo+4
	s_addc_u32 s5, s5, _ZL14no_device_codePKciS0_iS0_@rel32@hi+12
	s_swappc_b64 s[30:31], s[4:5]
	.section	.rodata,"a",@progbits
	.p2align	6, 0x0
	.amdhsa_kernel _ZL15flash_attn_tileILi64ELi64ELi8ELi2ELb1EEvPKcS1_S1_S1_S1_PKiPfP15HIP_vector_typeIfLj2EEffffjfiS5_IjLj3EEiiiiiiiiiiiliiliiiiil
		.amdhsa_group_segment_fixed_size 0
		.amdhsa_private_segment_fixed_size 16
		.amdhsa_kernarg_size 464
		.amdhsa_user_sgpr_count 8
		.amdhsa_user_sgpr_private_segment_buffer 1
		.amdhsa_user_sgpr_dispatch_ptr 0
		.amdhsa_user_sgpr_queue_ptr 0
		.amdhsa_user_sgpr_kernarg_segment_ptr 1
		.amdhsa_user_sgpr_dispatch_id 0
		.amdhsa_user_sgpr_flat_scratch_init 1
		.amdhsa_user_sgpr_kernarg_preload_length 0
		.amdhsa_user_sgpr_kernarg_preload_offset 0
		.amdhsa_user_sgpr_private_segment_size 0
		.amdhsa_uses_dynamic_stack 0
		.amdhsa_system_sgpr_private_segment_wavefront_offset 1
		.amdhsa_system_sgpr_workgroup_id_x 1
		.amdhsa_system_sgpr_workgroup_id_y 0
		.amdhsa_system_sgpr_workgroup_id_z 0
		.amdhsa_system_sgpr_workgroup_info 0
		.amdhsa_system_vgpr_workitem_id 0
		.amdhsa_next_free_vgpr 39
		.amdhsa_next_free_sgpr 34
		.amdhsa_accum_offset 40
		.amdhsa_reserve_vcc 1
		.amdhsa_reserve_flat_scratch 1
		.amdhsa_float_round_mode_32 0
		.amdhsa_float_round_mode_16_64 0
		.amdhsa_float_denorm_mode_32 3
		.amdhsa_float_denorm_mode_16_64 3
		.amdhsa_dx10_clamp 1
		.amdhsa_ieee_mode 1
		.amdhsa_fp16_overflow 0
		.amdhsa_tg_split 0
		.amdhsa_exception_fp_ieee_invalid_op 0
		.amdhsa_exception_fp_denorm_src 0
		.amdhsa_exception_fp_ieee_div_zero 0
		.amdhsa_exception_fp_ieee_overflow 0
		.amdhsa_exception_fp_ieee_underflow 0
		.amdhsa_exception_fp_ieee_inexact 0
		.amdhsa_exception_int_div_zero 0
	.end_amdhsa_kernel
	.section	.text._ZL15flash_attn_tileILi64ELi64ELi8ELi2ELb1EEvPKcS1_S1_S1_S1_PKiPfP15HIP_vector_typeIfLj2EEffffjfiS5_IjLj3EEiiiiiiiiiiiliiliiiiil,"axG",@progbits,_ZL15flash_attn_tileILi64ELi64ELi8ELi2ELb1EEvPKcS1_S1_S1_S1_PKiPfP15HIP_vector_typeIfLj2EEffffjfiS5_IjLj3EEiiiiiiiiiiiliiliiiiil,comdat
.Lfunc_end85:
	.size	_ZL15flash_attn_tileILi64ELi64ELi8ELi2ELb1EEvPKcS1_S1_S1_S1_PKiPfP15HIP_vector_typeIfLj2EEffffjfiS5_IjLj3EEiiiiiiiiiiiliiliiiiil, .Lfunc_end85-_ZL15flash_attn_tileILi64ELi64ELi8ELi2ELb1EEvPKcS1_S1_S1_S1_PKiPfP15HIP_vector_typeIfLj2EEffffjfiS5_IjLj3EEiiiiiiiiiiiliiliiiiil
                                        ; -- End function
	.section	.AMDGPU.csdata,"",@progbits
; Kernel info:
; codeLenInByte = 56
; NumSgprs: 40
; NumVgprs: 39
; NumAgprs: 0
; TotalNumVgprs: 39
; ScratchSize: 16
; MemoryBound: 0
; FloatMode: 240
; IeeeMode: 1
; LDSByteSize: 0 bytes/workgroup (compile time only)
; SGPRBlocks: 4
; VGPRBlocks: 4
; NumSGPRsForWavesPerEU: 40
; NumVGPRsForWavesPerEU: 39
; AccumOffset: 40
; Occupancy: 8
; WaveLimiterHint : 1
; COMPUTE_PGM_RSRC2:SCRATCH_EN: 1
; COMPUTE_PGM_RSRC2:USER_SGPR: 8
; COMPUTE_PGM_RSRC2:TRAP_HANDLER: 0
; COMPUTE_PGM_RSRC2:TGID_X_EN: 1
; COMPUTE_PGM_RSRC2:TGID_Y_EN: 0
; COMPUTE_PGM_RSRC2:TGID_Z_EN: 0
; COMPUTE_PGM_RSRC2:TIDIG_COMP_CNT: 0
; COMPUTE_PGM_RSRC3_GFX90A:ACCUM_OFFSET: 9
; COMPUTE_PGM_RSRC3_GFX90A:TG_SPLIT: 0
	.section	.text._ZL15flash_attn_tileILi64ELi64ELi4ELi2ELb1EEvPKcS1_S1_S1_S1_PKiPfP15HIP_vector_typeIfLj2EEffffjfiS5_IjLj3EEiiiiiiiiiiiliiliiiiil,"axG",@progbits,_ZL15flash_attn_tileILi64ELi64ELi4ELi2ELb1EEvPKcS1_S1_S1_S1_PKiPfP15HIP_vector_typeIfLj2EEffffjfiS5_IjLj3EEiiiiiiiiiiiliiliiiiil,comdat
	.globl	_ZL15flash_attn_tileILi64ELi64ELi4ELi2ELb1EEvPKcS1_S1_S1_S1_PKiPfP15HIP_vector_typeIfLj2EEffffjfiS5_IjLj3EEiiiiiiiiiiiliiliiiiil ; -- Begin function _ZL15flash_attn_tileILi64ELi64ELi4ELi2ELb1EEvPKcS1_S1_S1_S1_PKiPfP15HIP_vector_typeIfLj2EEffffjfiS5_IjLj3EEiiiiiiiiiiiliiliiiiil
	.p2align	8
	.type	_ZL15flash_attn_tileILi64ELi64ELi4ELi2ELb1EEvPKcS1_S1_S1_S1_PKiPfP15HIP_vector_typeIfLj2EEffffjfiS5_IjLj3EEiiiiiiiiiiiliiliiiiil,@function
_ZL15flash_attn_tileILi64ELi64ELi4ELi2ELb1EEvPKcS1_S1_S1_S1_PKiPfP15HIP_vector_typeIfLj2EEffffjfiS5_IjLj3EEiiiiiiiiiiiliiliiiiil: ; @_ZL15flash_attn_tileILi64ELi64ELi4ELi2ELb1EEvPKcS1_S1_S1_S1_PKiPfP15HIP_vector_typeIfLj2EEffffjfiS5_IjLj3EEiiiiiiiiiiiliiliiiiil
; %bb.0:
	s_add_u32 flat_scratch_lo, s6, s9
	s_addc_u32 flat_scratch_hi, s7, 0
	s_add_u32 s0, s0, s9
	s_addc_u32 s1, s1, 0
	s_add_u32 s8, s4, 0xd0
	s_addc_u32 s9, s5, 0
	s_mov_b32 s32, 0
	s_getpc_b64 s[4:5]
	s_add_u32 s4, s4, _ZL14no_device_codePKciS0_iS0_@rel32@lo+4
	s_addc_u32 s5, s5, _ZL14no_device_codePKciS0_iS0_@rel32@hi+12
	s_swappc_b64 s[30:31], s[4:5]
	.section	.rodata,"a",@progbits
	.p2align	6, 0x0
	.amdhsa_kernel _ZL15flash_attn_tileILi64ELi64ELi4ELi2ELb1EEvPKcS1_S1_S1_S1_PKiPfP15HIP_vector_typeIfLj2EEffffjfiS5_IjLj3EEiiiiiiiiiiiliiliiiiil
		.amdhsa_group_segment_fixed_size 0
		.amdhsa_private_segment_fixed_size 16
		.amdhsa_kernarg_size 464
		.amdhsa_user_sgpr_count 8
		.amdhsa_user_sgpr_private_segment_buffer 1
		.amdhsa_user_sgpr_dispatch_ptr 0
		.amdhsa_user_sgpr_queue_ptr 0
		.amdhsa_user_sgpr_kernarg_segment_ptr 1
		.amdhsa_user_sgpr_dispatch_id 0
		.amdhsa_user_sgpr_flat_scratch_init 1
		.amdhsa_user_sgpr_kernarg_preload_length 0
		.amdhsa_user_sgpr_kernarg_preload_offset 0
		.amdhsa_user_sgpr_private_segment_size 0
		.amdhsa_uses_dynamic_stack 0
		.amdhsa_system_sgpr_private_segment_wavefront_offset 1
		.amdhsa_system_sgpr_workgroup_id_x 1
		.amdhsa_system_sgpr_workgroup_id_y 0
		.amdhsa_system_sgpr_workgroup_id_z 0
		.amdhsa_system_sgpr_workgroup_info 0
		.amdhsa_system_vgpr_workitem_id 0
		.amdhsa_next_free_vgpr 39
		.amdhsa_next_free_sgpr 34
		.amdhsa_accum_offset 40
		.amdhsa_reserve_vcc 1
		.amdhsa_reserve_flat_scratch 1
		.amdhsa_float_round_mode_32 0
		.amdhsa_float_round_mode_16_64 0
		.amdhsa_float_denorm_mode_32 3
		.amdhsa_float_denorm_mode_16_64 3
		.amdhsa_dx10_clamp 1
		.amdhsa_ieee_mode 1
		.amdhsa_fp16_overflow 0
		.amdhsa_tg_split 0
		.amdhsa_exception_fp_ieee_invalid_op 0
		.amdhsa_exception_fp_denorm_src 0
		.amdhsa_exception_fp_ieee_div_zero 0
		.amdhsa_exception_fp_ieee_overflow 0
		.amdhsa_exception_fp_ieee_underflow 0
		.amdhsa_exception_fp_ieee_inexact 0
		.amdhsa_exception_int_div_zero 0
	.end_amdhsa_kernel
	.section	.text._ZL15flash_attn_tileILi64ELi64ELi4ELi2ELb1EEvPKcS1_S1_S1_S1_PKiPfP15HIP_vector_typeIfLj2EEffffjfiS5_IjLj3EEiiiiiiiiiiiliiliiiiil,"axG",@progbits,_ZL15flash_attn_tileILi64ELi64ELi4ELi2ELb1EEvPKcS1_S1_S1_S1_PKiPfP15HIP_vector_typeIfLj2EEffffjfiS5_IjLj3EEiiiiiiiiiiiliiliiiiil,comdat
.Lfunc_end86:
	.size	_ZL15flash_attn_tileILi64ELi64ELi4ELi2ELb1EEvPKcS1_S1_S1_S1_PKiPfP15HIP_vector_typeIfLj2EEffffjfiS5_IjLj3EEiiiiiiiiiiiliiliiiiil, .Lfunc_end86-_ZL15flash_attn_tileILi64ELi64ELi4ELi2ELb1EEvPKcS1_S1_S1_S1_PKiPfP15HIP_vector_typeIfLj2EEffffjfiS5_IjLj3EEiiiiiiiiiiiliiliiiiil
                                        ; -- End function
	.section	.AMDGPU.csdata,"",@progbits
; Kernel info:
; codeLenInByte = 56
; NumSgprs: 40
; NumVgprs: 39
; NumAgprs: 0
; TotalNumVgprs: 39
; ScratchSize: 16
; MemoryBound: 0
; FloatMode: 240
; IeeeMode: 1
; LDSByteSize: 0 bytes/workgroup (compile time only)
; SGPRBlocks: 4
; VGPRBlocks: 4
; NumSGPRsForWavesPerEU: 40
; NumVGPRsForWavesPerEU: 39
; AccumOffset: 40
; Occupancy: 8
; WaveLimiterHint : 1
; COMPUTE_PGM_RSRC2:SCRATCH_EN: 1
; COMPUTE_PGM_RSRC2:USER_SGPR: 8
; COMPUTE_PGM_RSRC2:TRAP_HANDLER: 0
; COMPUTE_PGM_RSRC2:TGID_X_EN: 1
; COMPUTE_PGM_RSRC2:TGID_Y_EN: 0
; COMPUTE_PGM_RSRC2:TGID_Z_EN: 0
; COMPUTE_PGM_RSRC2:TIDIG_COMP_CNT: 0
; COMPUTE_PGM_RSRC3_GFX90A:ACCUM_OFFSET: 9
; COMPUTE_PGM_RSRC3_GFX90A:TG_SPLIT: 0
	.section	.text._ZL15flash_attn_tileILi64ELi64ELi2ELi2ELb1EEvPKcS1_S1_S1_S1_PKiPfP15HIP_vector_typeIfLj2EEffffjfiS5_IjLj3EEiiiiiiiiiiiliiliiiiil,"axG",@progbits,_ZL15flash_attn_tileILi64ELi64ELi2ELi2ELb1EEvPKcS1_S1_S1_S1_PKiPfP15HIP_vector_typeIfLj2EEffffjfiS5_IjLj3EEiiiiiiiiiiiliiliiiiil,comdat
	.globl	_ZL15flash_attn_tileILi64ELi64ELi2ELi2ELb1EEvPKcS1_S1_S1_S1_PKiPfP15HIP_vector_typeIfLj2EEffffjfiS5_IjLj3EEiiiiiiiiiiiliiliiiiil ; -- Begin function _ZL15flash_attn_tileILi64ELi64ELi2ELi2ELb1EEvPKcS1_S1_S1_S1_PKiPfP15HIP_vector_typeIfLj2EEffffjfiS5_IjLj3EEiiiiiiiiiiiliiliiiiil
	.p2align	8
	.type	_ZL15flash_attn_tileILi64ELi64ELi2ELi2ELb1EEvPKcS1_S1_S1_S1_PKiPfP15HIP_vector_typeIfLj2EEffffjfiS5_IjLj3EEiiiiiiiiiiiliiliiiiil,@function
_ZL15flash_attn_tileILi64ELi64ELi2ELi2ELb1EEvPKcS1_S1_S1_S1_PKiPfP15HIP_vector_typeIfLj2EEffffjfiS5_IjLj3EEiiiiiiiiiiiliiliiiiil: ; @_ZL15flash_attn_tileILi64ELi64ELi2ELi2ELb1EEvPKcS1_S1_S1_S1_PKiPfP15HIP_vector_typeIfLj2EEffffjfiS5_IjLj3EEiiiiiiiiiiiliiliiiiil
; %bb.0:
	s_add_u32 flat_scratch_lo, s6, s9
	s_addc_u32 flat_scratch_hi, s7, 0
	s_add_u32 s0, s0, s9
	s_addc_u32 s1, s1, 0
	s_add_u32 s8, s4, 0xd0
	s_addc_u32 s9, s5, 0
	s_mov_b32 s32, 0
	s_getpc_b64 s[4:5]
	s_add_u32 s4, s4, _ZL14no_device_codePKciS0_iS0_@rel32@lo+4
	s_addc_u32 s5, s5, _ZL14no_device_codePKciS0_iS0_@rel32@hi+12
	s_swappc_b64 s[30:31], s[4:5]
	.section	.rodata,"a",@progbits
	.p2align	6, 0x0
	.amdhsa_kernel _ZL15flash_attn_tileILi64ELi64ELi2ELi2ELb1EEvPKcS1_S1_S1_S1_PKiPfP15HIP_vector_typeIfLj2EEffffjfiS5_IjLj3EEiiiiiiiiiiiliiliiiiil
		.amdhsa_group_segment_fixed_size 0
		.amdhsa_private_segment_fixed_size 16
		.amdhsa_kernarg_size 464
		.amdhsa_user_sgpr_count 8
		.amdhsa_user_sgpr_private_segment_buffer 1
		.amdhsa_user_sgpr_dispatch_ptr 0
		.amdhsa_user_sgpr_queue_ptr 0
		.amdhsa_user_sgpr_kernarg_segment_ptr 1
		.amdhsa_user_sgpr_dispatch_id 0
		.amdhsa_user_sgpr_flat_scratch_init 1
		.amdhsa_user_sgpr_kernarg_preload_length 0
		.amdhsa_user_sgpr_kernarg_preload_offset 0
		.amdhsa_user_sgpr_private_segment_size 0
		.amdhsa_uses_dynamic_stack 0
		.amdhsa_system_sgpr_private_segment_wavefront_offset 1
		.amdhsa_system_sgpr_workgroup_id_x 1
		.amdhsa_system_sgpr_workgroup_id_y 0
		.amdhsa_system_sgpr_workgroup_id_z 0
		.amdhsa_system_sgpr_workgroup_info 0
		.amdhsa_system_vgpr_workitem_id 0
		.amdhsa_next_free_vgpr 39
		.amdhsa_next_free_sgpr 34
		.amdhsa_accum_offset 40
		.amdhsa_reserve_vcc 1
		.amdhsa_reserve_flat_scratch 1
		.amdhsa_float_round_mode_32 0
		.amdhsa_float_round_mode_16_64 0
		.amdhsa_float_denorm_mode_32 3
		.amdhsa_float_denorm_mode_16_64 3
		.amdhsa_dx10_clamp 1
		.amdhsa_ieee_mode 1
		.amdhsa_fp16_overflow 0
		.amdhsa_tg_split 0
		.amdhsa_exception_fp_ieee_invalid_op 0
		.amdhsa_exception_fp_denorm_src 0
		.amdhsa_exception_fp_ieee_div_zero 0
		.amdhsa_exception_fp_ieee_overflow 0
		.amdhsa_exception_fp_ieee_underflow 0
		.amdhsa_exception_fp_ieee_inexact 0
		.amdhsa_exception_int_div_zero 0
	.end_amdhsa_kernel
	.section	.text._ZL15flash_attn_tileILi64ELi64ELi2ELi2ELb1EEvPKcS1_S1_S1_S1_PKiPfP15HIP_vector_typeIfLj2EEffffjfiS5_IjLj3EEiiiiiiiiiiiliiliiiiil,"axG",@progbits,_ZL15flash_attn_tileILi64ELi64ELi2ELi2ELb1EEvPKcS1_S1_S1_S1_PKiPfP15HIP_vector_typeIfLj2EEffffjfiS5_IjLj3EEiiiiiiiiiiiliiliiiiil,comdat
.Lfunc_end87:
	.size	_ZL15flash_attn_tileILi64ELi64ELi2ELi2ELb1EEvPKcS1_S1_S1_S1_PKiPfP15HIP_vector_typeIfLj2EEffffjfiS5_IjLj3EEiiiiiiiiiiiliiliiiiil, .Lfunc_end87-_ZL15flash_attn_tileILi64ELi64ELi2ELi2ELb1EEvPKcS1_S1_S1_S1_PKiPfP15HIP_vector_typeIfLj2EEffffjfiS5_IjLj3EEiiiiiiiiiiiliiliiiiil
                                        ; -- End function
	.section	.AMDGPU.csdata,"",@progbits
; Kernel info:
; codeLenInByte = 56
; NumSgprs: 40
; NumVgprs: 39
; NumAgprs: 0
; TotalNumVgprs: 39
; ScratchSize: 16
; MemoryBound: 0
; FloatMode: 240
; IeeeMode: 1
; LDSByteSize: 0 bytes/workgroup (compile time only)
; SGPRBlocks: 4
; VGPRBlocks: 4
; NumSGPRsForWavesPerEU: 40
; NumVGPRsForWavesPerEU: 39
; AccumOffset: 40
; Occupancy: 8
; WaveLimiterHint : 1
; COMPUTE_PGM_RSRC2:SCRATCH_EN: 1
; COMPUTE_PGM_RSRC2:USER_SGPR: 8
; COMPUTE_PGM_RSRC2:TRAP_HANDLER: 0
; COMPUTE_PGM_RSRC2:TGID_X_EN: 1
; COMPUTE_PGM_RSRC2:TGID_Y_EN: 0
; COMPUTE_PGM_RSRC2:TGID_Z_EN: 0
; COMPUTE_PGM_RSRC2:TIDIG_COMP_CNT: 0
; COMPUTE_PGM_RSRC3_GFX90A:ACCUM_OFFSET: 9
; COMPUTE_PGM_RSRC3_GFX90A:TG_SPLIT: 0
	.section	.text._ZL15flash_attn_tileILi64ELi64ELi1ELi2ELb1EEvPKcS1_S1_S1_S1_PKiPfP15HIP_vector_typeIfLj2EEffffjfiS5_IjLj3EEiiiiiiiiiiiliiliiiiil,"axG",@progbits,_ZL15flash_attn_tileILi64ELi64ELi1ELi2ELb1EEvPKcS1_S1_S1_S1_PKiPfP15HIP_vector_typeIfLj2EEffffjfiS5_IjLj3EEiiiiiiiiiiiliiliiiiil,comdat
	.globl	_ZL15flash_attn_tileILi64ELi64ELi1ELi2ELb1EEvPKcS1_S1_S1_S1_PKiPfP15HIP_vector_typeIfLj2EEffffjfiS5_IjLj3EEiiiiiiiiiiiliiliiiiil ; -- Begin function _ZL15flash_attn_tileILi64ELi64ELi1ELi2ELb1EEvPKcS1_S1_S1_S1_PKiPfP15HIP_vector_typeIfLj2EEffffjfiS5_IjLj3EEiiiiiiiiiiiliiliiiiil
	.p2align	8
	.type	_ZL15flash_attn_tileILi64ELi64ELi1ELi2ELb1EEvPKcS1_S1_S1_S1_PKiPfP15HIP_vector_typeIfLj2EEffffjfiS5_IjLj3EEiiiiiiiiiiiliiliiiiil,@function
_ZL15flash_attn_tileILi64ELi64ELi1ELi2ELb1EEvPKcS1_S1_S1_S1_PKiPfP15HIP_vector_typeIfLj2EEffffjfiS5_IjLj3EEiiiiiiiiiiiliiliiiiil: ; @_ZL15flash_attn_tileILi64ELi64ELi1ELi2ELb1EEvPKcS1_S1_S1_S1_PKiPfP15HIP_vector_typeIfLj2EEffffjfiS5_IjLj3EEiiiiiiiiiiiliiliiiiil
; %bb.0:
	s_add_u32 flat_scratch_lo, s6, s9
	s_addc_u32 flat_scratch_hi, s7, 0
	s_add_u32 s0, s0, s9
	s_addc_u32 s1, s1, 0
	s_add_u32 s8, s4, 0xd0
	s_addc_u32 s9, s5, 0
	s_mov_b32 s32, 0
	s_getpc_b64 s[4:5]
	s_add_u32 s4, s4, _ZL14no_device_codePKciS0_iS0_@rel32@lo+4
	s_addc_u32 s5, s5, _ZL14no_device_codePKciS0_iS0_@rel32@hi+12
	s_swappc_b64 s[30:31], s[4:5]
	.section	.rodata,"a",@progbits
	.p2align	6, 0x0
	.amdhsa_kernel _ZL15flash_attn_tileILi64ELi64ELi1ELi2ELb1EEvPKcS1_S1_S1_S1_PKiPfP15HIP_vector_typeIfLj2EEffffjfiS5_IjLj3EEiiiiiiiiiiiliiliiiiil
		.amdhsa_group_segment_fixed_size 0
		.amdhsa_private_segment_fixed_size 16
		.amdhsa_kernarg_size 464
		.amdhsa_user_sgpr_count 8
		.amdhsa_user_sgpr_private_segment_buffer 1
		.amdhsa_user_sgpr_dispatch_ptr 0
		.amdhsa_user_sgpr_queue_ptr 0
		.amdhsa_user_sgpr_kernarg_segment_ptr 1
		.amdhsa_user_sgpr_dispatch_id 0
		.amdhsa_user_sgpr_flat_scratch_init 1
		.amdhsa_user_sgpr_kernarg_preload_length 0
		.amdhsa_user_sgpr_kernarg_preload_offset 0
		.amdhsa_user_sgpr_private_segment_size 0
		.amdhsa_uses_dynamic_stack 0
		.amdhsa_system_sgpr_private_segment_wavefront_offset 1
		.amdhsa_system_sgpr_workgroup_id_x 1
		.amdhsa_system_sgpr_workgroup_id_y 0
		.amdhsa_system_sgpr_workgroup_id_z 0
		.amdhsa_system_sgpr_workgroup_info 0
		.amdhsa_system_vgpr_workitem_id 0
		.amdhsa_next_free_vgpr 39
		.amdhsa_next_free_sgpr 34
		.amdhsa_accum_offset 40
		.amdhsa_reserve_vcc 1
		.amdhsa_reserve_flat_scratch 1
		.amdhsa_float_round_mode_32 0
		.amdhsa_float_round_mode_16_64 0
		.amdhsa_float_denorm_mode_32 3
		.amdhsa_float_denorm_mode_16_64 3
		.amdhsa_dx10_clamp 1
		.amdhsa_ieee_mode 1
		.amdhsa_fp16_overflow 0
		.amdhsa_tg_split 0
		.amdhsa_exception_fp_ieee_invalid_op 0
		.amdhsa_exception_fp_denorm_src 0
		.amdhsa_exception_fp_ieee_div_zero 0
		.amdhsa_exception_fp_ieee_overflow 0
		.amdhsa_exception_fp_ieee_underflow 0
		.amdhsa_exception_fp_ieee_inexact 0
		.amdhsa_exception_int_div_zero 0
	.end_amdhsa_kernel
	.section	.text._ZL15flash_attn_tileILi64ELi64ELi1ELi2ELb1EEvPKcS1_S1_S1_S1_PKiPfP15HIP_vector_typeIfLj2EEffffjfiS5_IjLj3EEiiiiiiiiiiiliiliiiiil,"axG",@progbits,_ZL15flash_attn_tileILi64ELi64ELi1ELi2ELb1EEvPKcS1_S1_S1_S1_PKiPfP15HIP_vector_typeIfLj2EEffffjfiS5_IjLj3EEiiiiiiiiiiiliiliiiiil,comdat
.Lfunc_end88:
	.size	_ZL15flash_attn_tileILi64ELi64ELi1ELi2ELb1EEvPKcS1_S1_S1_S1_PKiPfP15HIP_vector_typeIfLj2EEffffjfiS5_IjLj3EEiiiiiiiiiiiliiliiiiil, .Lfunc_end88-_ZL15flash_attn_tileILi64ELi64ELi1ELi2ELb1EEvPKcS1_S1_S1_S1_PKiPfP15HIP_vector_typeIfLj2EEffffjfiS5_IjLj3EEiiiiiiiiiiiliiliiiiil
                                        ; -- End function
	.section	.AMDGPU.csdata,"",@progbits
; Kernel info:
; codeLenInByte = 56
; NumSgprs: 40
; NumVgprs: 39
; NumAgprs: 0
; TotalNumVgprs: 39
; ScratchSize: 16
; MemoryBound: 0
; FloatMode: 240
; IeeeMode: 1
; LDSByteSize: 0 bytes/workgroup (compile time only)
; SGPRBlocks: 4
; VGPRBlocks: 4
; NumSGPRsForWavesPerEU: 40
; NumVGPRsForWavesPerEU: 39
; AccumOffset: 40
; Occupancy: 8
; WaveLimiterHint : 1
; COMPUTE_PGM_RSRC2:SCRATCH_EN: 1
; COMPUTE_PGM_RSRC2:USER_SGPR: 8
; COMPUTE_PGM_RSRC2:TRAP_HANDLER: 0
; COMPUTE_PGM_RSRC2:TGID_X_EN: 1
; COMPUTE_PGM_RSRC2:TGID_Y_EN: 0
; COMPUTE_PGM_RSRC2:TGID_Z_EN: 0
; COMPUTE_PGM_RSRC2:TIDIG_COMP_CNT: 0
; COMPUTE_PGM_RSRC3_GFX90A:ACCUM_OFFSET: 9
; COMPUTE_PGM_RSRC3_GFX90A:TG_SPLIT: 0
	.section	.text._ZL15flash_attn_tileILi64ELi64ELi64ELi1ELb1EEvPKcS1_S1_S1_S1_PKiPfP15HIP_vector_typeIfLj2EEffffjfiS5_IjLj3EEiiiiiiiiiiiliiliiiiil,"axG",@progbits,_ZL15flash_attn_tileILi64ELi64ELi64ELi1ELb1EEvPKcS1_S1_S1_S1_PKiPfP15HIP_vector_typeIfLj2EEffffjfiS5_IjLj3EEiiiiiiiiiiiliiliiiiil,comdat
	.globl	_ZL15flash_attn_tileILi64ELi64ELi64ELi1ELb1EEvPKcS1_S1_S1_S1_PKiPfP15HIP_vector_typeIfLj2EEffffjfiS5_IjLj3EEiiiiiiiiiiiliiliiiiil ; -- Begin function _ZL15flash_attn_tileILi64ELi64ELi64ELi1ELb1EEvPKcS1_S1_S1_S1_PKiPfP15HIP_vector_typeIfLj2EEffffjfiS5_IjLj3EEiiiiiiiiiiiliiliiiiil
	.p2align	8
	.type	_ZL15flash_attn_tileILi64ELi64ELi64ELi1ELb1EEvPKcS1_S1_S1_S1_PKiPfP15HIP_vector_typeIfLj2EEffffjfiS5_IjLj3EEiiiiiiiiiiiliiliiiiil,@function
_ZL15flash_attn_tileILi64ELi64ELi64ELi1ELb1EEvPKcS1_S1_S1_S1_PKiPfP15HIP_vector_typeIfLj2EEffffjfiS5_IjLj3EEiiiiiiiiiiiliiliiiiil: ; @_ZL15flash_attn_tileILi64ELi64ELi64ELi1ELb1EEvPKcS1_S1_S1_S1_PKiPfP15HIP_vector_typeIfLj2EEffffjfiS5_IjLj3EEiiiiiiiiiiiliiliiiiil
; %bb.0:
	s_add_u32 flat_scratch_lo, s6, s9
	s_addc_u32 flat_scratch_hi, s7, 0
	s_add_u32 s0, s0, s9
	s_addc_u32 s1, s1, 0
	s_add_u32 s8, s4, 0xd0
	s_addc_u32 s9, s5, 0
	s_mov_b32 s32, 0
	s_getpc_b64 s[4:5]
	s_add_u32 s4, s4, _ZL14no_device_codePKciS0_iS0_@rel32@lo+4
	s_addc_u32 s5, s5, _ZL14no_device_codePKciS0_iS0_@rel32@hi+12
	s_swappc_b64 s[30:31], s[4:5]
	.section	.rodata,"a",@progbits
	.p2align	6, 0x0
	.amdhsa_kernel _ZL15flash_attn_tileILi64ELi64ELi64ELi1ELb1EEvPKcS1_S1_S1_S1_PKiPfP15HIP_vector_typeIfLj2EEffffjfiS5_IjLj3EEiiiiiiiiiiiliiliiiiil
		.amdhsa_group_segment_fixed_size 0
		.amdhsa_private_segment_fixed_size 16
		.amdhsa_kernarg_size 464
		.amdhsa_user_sgpr_count 8
		.amdhsa_user_sgpr_private_segment_buffer 1
		.amdhsa_user_sgpr_dispatch_ptr 0
		.amdhsa_user_sgpr_queue_ptr 0
		.amdhsa_user_sgpr_kernarg_segment_ptr 1
		.amdhsa_user_sgpr_dispatch_id 0
		.amdhsa_user_sgpr_flat_scratch_init 1
		.amdhsa_user_sgpr_kernarg_preload_length 0
		.amdhsa_user_sgpr_kernarg_preload_offset 0
		.amdhsa_user_sgpr_private_segment_size 0
		.amdhsa_uses_dynamic_stack 0
		.amdhsa_system_sgpr_private_segment_wavefront_offset 1
		.amdhsa_system_sgpr_workgroup_id_x 1
		.amdhsa_system_sgpr_workgroup_id_y 0
		.amdhsa_system_sgpr_workgroup_id_z 0
		.amdhsa_system_sgpr_workgroup_info 0
		.amdhsa_system_vgpr_workitem_id 0
		.amdhsa_next_free_vgpr 39
		.amdhsa_next_free_sgpr 34
		.amdhsa_accum_offset 40
		.amdhsa_reserve_vcc 1
		.amdhsa_reserve_flat_scratch 1
		.amdhsa_float_round_mode_32 0
		.amdhsa_float_round_mode_16_64 0
		.amdhsa_float_denorm_mode_32 3
		.amdhsa_float_denorm_mode_16_64 3
		.amdhsa_dx10_clamp 1
		.amdhsa_ieee_mode 1
		.amdhsa_fp16_overflow 0
		.amdhsa_tg_split 0
		.amdhsa_exception_fp_ieee_invalid_op 0
		.amdhsa_exception_fp_denorm_src 0
		.amdhsa_exception_fp_ieee_div_zero 0
		.amdhsa_exception_fp_ieee_overflow 0
		.amdhsa_exception_fp_ieee_underflow 0
		.amdhsa_exception_fp_ieee_inexact 0
		.amdhsa_exception_int_div_zero 0
	.end_amdhsa_kernel
	.section	.text._ZL15flash_attn_tileILi64ELi64ELi64ELi1ELb1EEvPKcS1_S1_S1_S1_PKiPfP15HIP_vector_typeIfLj2EEffffjfiS5_IjLj3EEiiiiiiiiiiiliiliiiiil,"axG",@progbits,_ZL15flash_attn_tileILi64ELi64ELi64ELi1ELb1EEvPKcS1_S1_S1_S1_PKiPfP15HIP_vector_typeIfLj2EEffffjfiS5_IjLj3EEiiiiiiiiiiiliiliiiiil,comdat
.Lfunc_end89:
	.size	_ZL15flash_attn_tileILi64ELi64ELi64ELi1ELb1EEvPKcS1_S1_S1_S1_PKiPfP15HIP_vector_typeIfLj2EEffffjfiS5_IjLj3EEiiiiiiiiiiiliiliiiiil, .Lfunc_end89-_ZL15flash_attn_tileILi64ELi64ELi64ELi1ELb1EEvPKcS1_S1_S1_S1_PKiPfP15HIP_vector_typeIfLj2EEffffjfiS5_IjLj3EEiiiiiiiiiiiliiliiiiil
                                        ; -- End function
	.section	.AMDGPU.csdata,"",@progbits
; Kernel info:
; codeLenInByte = 56
; NumSgprs: 40
; NumVgprs: 39
; NumAgprs: 0
; TotalNumVgprs: 39
; ScratchSize: 16
; MemoryBound: 0
; FloatMode: 240
; IeeeMode: 1
; LDSByteSize: 0 bytes/workgroup (compile time only)
; SGPRBlocks: 4
; VGPRBlocks: 4
; NumSGPRsForWavesPerEU: 40
; NumVGPRsForWavesPerEU: 39
; AccumOffset: 40
; Occupancy: 8
; WaveLimiterHint : 1
; COMPUTE_PGM_RSRC2:SCRATCH_EN: 1
; COMPUTE_PGM_RSRC2:USER_SGPR: 8
; COMPUTE_PGM_RSRC2:TRAP_HANDLER: 0
; COMPUTE_PGM_RSRC2:TGID_X_EN: 1
; COMPUTE_PGM_RSRC2:TGID_Y_EN: 0
; COMPUTE_PGM_RSRC2:TGID_Z_EN: 0
; COMPUTE_PGM_RSRC2:TIDIG_COMP_CNT: 0
; COMPUTE_PGM_RSRC3_GFX90A:ACCUM_OFFSET: 9
; COMPUTE_PGM_RSRC3_GFX90A:TG_SPLIT: 0
	.section	.text._ZL15flash_attn_tileILi64ELi64ELi32ELi1ELb1EEvPKcS1_S1_S1_S1_PKiPfP15HIP_vector_typeIfLj2EEffffjfiS5_IjLj3EEiiiiiiiiiiiliiliiiiil,"axG",@progbits,_ZL15flash_attn_tileILi64ELi64ELi32ELi1ELb1EEvPKcS1_S1_S1_S1_PKiPfP15HIP_vector_typeIfLj2EEffffjfiS5_IjLj3EEiiiiiiiiiiiliiliiiiil,comdat
	.globl	_ZL15flash_attn_tileILi64ELi64ELi32ELi1ELb1EEvPKcS1_S1_S1_S1_PKiPfP15HIP_vector_typeIfLj2EEffffjfiS5_IjLj3EEiiiiiiiiiiiliiliiiiil ; -- Begin function _ZL15flash_attn_tileILi64ELi64ELi32ELi1ELb1EEvPKcS1_S1_S1_S1_PKiPfP15HIP_vector_typeIfLj2EEffffjfiS5_IjLj3EEiiiiiiiiiiiliiliiiiil
	.p2align	8
	.type	_ZL15flash_attn_tileILi64ELi64ELi32ELi1ELb1EEvPKcS1_S1_S1_S1_PKiPfP15HIP_vector_typeIfLj2EEffffjfiS5_IjLj3EEiiiiiiiiiiiliiliiiiil,@function
_ZL15flash_attn_tileILi64ELi64ELi32ELi1ELb1EEvPKcS1_S1_S1_S1_PKiPfP15HIP_vector_typeIfLj2EEffffjfiS5_IjLj3EEiiiiiiiiiiiliiliiiiil: ; @_ZL15flash_attn_tileILi64ELi64ELi32ELi1ELb1EEvPKcS1_S1_S1_S1_PKiPfP15HIP_vector_typeIfLj2EEffffjfiS5_IjLj3EEiiiiiiiiiiiliiliiiiil
; %bb.0:
	s_add_u32 flat_scratch_lo, s6, s9
	s_addc_u32 flat_scratch_hi, s7, 0
	s_add_u32 s0, s0, s9
	s_addc_u32 s1, s1, 0
	s_add_u32 s8, s4, 0xd0
	s_addc_u32 s9, s5, 0
	s_mov_b32 s32, 0
	s_getpc_b64 s[4:5]
	s_add_u32 s4, s4, _ZL14no_device_codePKciS0_iS0_@rel32@lo+4
	s_addc_u32 s5, s5, _ZL14no_device_codePKciS0_iS0_@rel32@hi+12
	s_swappc_b64 s[30:31], s[4:5]
	.section	.rodata,"a",@progbits
	.p2align	6, 0x0
	.amdhsa_kernel _ZL15flash_attn_tileILi64ELi64ELi32ELi1ELb1EEvPKcS1_S1_S1_S1_PKiPfP15HIP_vector_typeIfLj2EEffffjfiS5_IjLj3EEiiiiiiiiiiiliiliiiiil
		.amdhsa_group_segment_fixed_size 0
		.amdhsa_private_segment_fixed_size 16
		.amdhsa_kernarg_size 464
		.amdhsa_user_sgpr_count 8
		.amdhsa_user_sgpr_private_segment_buffer 1
		.amdhsa_user_sgpr_dispatch_ptr 0
		.amdhsa_user_sgpr_queue_ptr 0
		.amdhsa_user_sgpr_kernarg_segment_ptr 1
		.amdhsa_user_sgpr_dispatch_id 0
		.amdhsa_user_sgpr_flat_scratch_init 1
		.amdhsa_user_sgpr_kernarg_preload_length 0
		.amdhsa_user_sgpr_kernarg_preload_offset 0
		.amdhsa_user_sgpr_private_segment_size 0
		.amdhsa_uses_dynamic_stack 0
		.amdhsa_system_sgpr_private_segment_wavefront_offset 1
		.amdhsa_system_sgpr_workgroup_id_x 1
		.amdhsa_system_sgpr_workgroup_id_y 0
		.amdhsa_system_sgpr_workgroup_id_z 0
		.amdhsa_system_sgpr_workgroup_info 0
		.amdhsa_system_vgpr_workitem_id 0
		.amdhsa_next_free_vgpr 39
		.amdhsa_next_free_sgpr 34
		.amdhsa_accum_offset 40
		.amdhsa_reserve_vcc 1
		.amdhsa_reserve_flat_scratch 1
		.amdhsa_float_round_mode_32 0
		.amdhsa_float_round_mode_16_64 0
		.amdhsa_float_denorm_mode_32 3
		.amdhsa_float_denorm_mode_16_64 3
		.amdhsa_dx10_clamp 1
		.amdhsa_ieee_mode 1
		.amdhsa_fp16_overflow 0
		.amdhsa_tg_split 0
		.amdhsa_exception_fp_ieee_invalid_op 0
		.amdhsa_exception_fp_denorm_src 0
		.amdhsa_exception_fp_ieee_div_zero 0
		.amdhsa_exception_fp_ieee_overflow 0
		.amdhsa_exception_fp_ieee_underflow 0
		.amdhsa_exception_fp_ieee_inexact 0
		.amdhsa_exception_int_div_zero 0
	.end_amdhsa_kernel
	.section	.text._ZL15flash_attn_tileILi64ELi64ELi32ELi1ELb1EEvPKcS1_S1_S1_S1_PKiPfP15HIP_vector_typeIfLj2EEffffjfiS5_IjLj3EEiiiiiiiiiiiliiliiiiil,"axG",@progbits,_ZL15flash_attn_tileILi64ELi64ELi32ELi1ELb1EEvPKcS1_S1_S1_S1_PKiPfP15HIP_vector_typeIfLj2EEffffjfiS5_IjLj3EEiiiiiiiiiiiliiliiiiil,comdat
.Lfunc_end90:
	.size	_ZL15flash_attn_tileILi64ELi64ELi32ELi1ELb1EEvPKcS1_S1_S1_S1_PKiPfP15HIP_vector_typeIfLj2EEffffjfiS5_IjLj3EEiiiiiiiiiiiliiliiiiil, .Lfunc_end90-_ZL15flash_attn_tileILi64ELi64ELi32ELi1ELb1EEvPKcS1_S1_S1_S1_PKiPfP15HIP_vector_typeIfLj2EEffffjfiS5_IjLj3EEiiiiiiiiiiiliiliiiiil
                                        ; -- End function
	.section	.AMDGPU.csdata,"",@progbits
; Kernel info:
; codeLenInByte = 56
; NumSgprs: 40
; NumVgprs: 39
; NumAgprs: 0
; TotalNumVgprs: 39
; ScratchSize: 16
; MemoryBound: 0
; FloatMode: 240
; IeeeMode: 1
; LDSByteSize: 0 bytes/workgroup (compile time only)
; SGPRBlocks: 4
; VGPRBlocks: 4
; NumSGPRsForWavesPerEU: 40
; NumVGPRsForWavesPerEU: 39
; AccumOffset: 40
; Occupancy: 8
; WaveLimiterHint : 1
; COMPUTE_PGM_RSRC2:SCRATCH_EN: 1
; COMPUTE_PGM_RSRC2:USER_SGPR: 8
; COMPUTE_PGM_RSRC2:TRAP_HANDLER: 0
; COMPUTE_PGM_RSRC2:TGID_X_EN: 1
; COMPUTE_PGM_RSRC2:TGID_Y_EN: 0
; COMPUTE_PGM_RSRC2:TGID_Z_EN: 0
; COMPUTE_PGM_RSRC2:TIDIG_COMP_CNT: 0
; COMPUTE_PGM_RSRC3_GFX90A:ACCUM_OFFSET: 9
; COMPUTE_PGM_RSRC3_GFX90A:TG_SPLIT: 0
	.section	.text._ZL15flash_attn_tileILi64ELi64ELi16ELi1ELb1EEvPKcS1_S1_S1_S1_PKiPfP15HIP_vector_typeIfLj2EEffffjfiS5_IjLj3EEiiiiiiiiiiiliiliiiiil,"axG",@progbits,_ZL15flash_attn_tileILi64ELi64ELi16ELi1ELb1EEvPKcS1_S1_S1_S1_PKiPfP15HIP_vector_typeIfLj2EEffffjfiS5_IjLj3EEiiiiiiiiiiiliiliiiiil,comdat
	.globl	_ZL15flash_attn_tileILi64ELi64ELi16ELi1ELb1EEvPKcS1_S1_S1_S1_PKiPfP15HIP_vector_typeIfLj2EEffffjfiS5_IjLj3EEiiiiiiiiiiiliiliiiiil ; -- Begin function _ZL15flash_attn_tileILi64ELi64ELi16ELi1ELb1EEvPKcS1_S1_S1_S1_PKiPfP15HIP_vector_typeIfLj2EEffffjfiS5_IjLj3EEiiiiiiiiiiiliiliiiiil
	.p2align	8
	.type	_ZL15flash_attn_tileILi64ELi64ELi16ELi1ELb1EEvPKcS1_S1_S1_S1_PKiPfP15HIP_vector_typeIfLj2EEffffjfiS5_IjLj3EEiiiiiiiiiiiliiliiiiil,@function
_ZL15flash_attn_tileILi64ELi64ELi16ELi1ELb1EEvPKcS1_S1_S1_S1_PKiPfP15HIP_vector_typeIfLj2EEffffjfiS5_IjLj3EEiiiiiiiiiiiliiliiiiil: ; @_ZL15flash_attn_tileILi64ELi64ELi16ELi1ELb1EEvPKcS1_S1_S1_S1_PKiPfP15HIP_vector_typeIfLj2EEffffjfiS5_IjLj3EEiiiiiiiiiiiliiliiiiil
; %bb.0:
	s_add_u32 flat_scratch_lo, s6, s9
	s_addc_u32 flat_scratch_hi, s7, 0
	s_add_u32 s0, s0, s9
	s_addc_u32 s1, s1, 0
	s_add_u32 s8, s4, 0xd0
	s_addc_u32 s9, s5, 0
	s_mov_b32 s32, 0
	s_getpc_b64 s[4:5]
	s_add_u32 s4, s4, _ZL14no_device_codePKciS0_iS0_@rel32@lo+4
	s_addc_u32 s5, s5, _ZL14no_device_codePKciS0_iS0_@rel32@hi+12
	s_swappc_b64 s[30:31], s[4:5]
	.section	.rodata,"a",@progbits
	.p2align	6, 0x0
	.amdhsa_kernel _ZL15flash_attn_tileILi64ELi64ELi16ELi1ELb1EEvPKcS1_S1_S1_S1_PKiPfP15HIP_vector_typeIfLj2EEffffjfiS5_IjLj3EEiiiiiiiiiiiliiliiiiil
		.amdhsa_group_segment_fixed_size 0
		.amdhsa_private_segment_fixed_size 16
		.amdhsa_kernarg_size 464
		.amdhsa_user_sgpr_count 8
		.amdhsa_user_sgpr_private_segment_buffer 1
		.amdhsa_user_sgpr_dispatch_ptr 0
		.amdhsa_user_sgpr_queue_ptr 0
		.amdhsa_user_sgpr_kernarg_segment_ptr 1
		.amdhsa_user_sgpr_dispatch_id 0
		.amdhsa_user_sgpr_flat_scratch_init 1
		.amdhsa_user_sgpr_kernarg_preload_length 0
		.amdhsa_user_sgpr_kernarg_preload_offset 0
		.amdhsa_user_sgpr_private_segment_size 0
		.amdhsa_uses_dynamic_stack 0
		.amdhsa_system_sgpr_private_segment_wavefront_offset 1
		.amdhsa_system_sgpr_workgroup_id_x 1
		.amdhsa_system_sgpr_workgroup_id_y 0
		.amdhsa_system_sgpr_workgroup_id_z 0
		.amdhsa_system_sgpr_workgroup_info 0
		.amdhsa_system_vgpr_workitem_id 0
		.amdhsa_next_free_vgpr 39
		.amdhsa_next_free_sgpr 34
		.amdhsa_accum_offset 40
		.amdhsa_reserve_vcc 1
		.amdhsa_reserve_flat_scratch 1
		.amdhsa_float_round_mode_32 0
		.amdhsa_float_round_mode_16_64 0
		.amdhsa_float_denorm_mode_32 3
		.amdhsa_float_denorm_mode_16_64 3
		.amdhsa_dx10_clamp 1
		.amdhsa_ieee_mode 1
		.amdhsa_fp16_overflow 0
		.amdhsa_tg_split 0
		.amdhsa_exception_fp_ieee_invalid_op 0
		.amdhsa_exception_fp_denorm_src 0
		.amdhsa_exception_fp_ieee_div_zero 0
		.amdhsa_exception_fp_ieee_overflow 0
		.amdhsa_exception_fp_ieee_underflow 0
		.amdhsa_exception_fp_ieee_inexact 0
		.amdhsa_exception_int_div_zero 0
	.end_amdhsa_kernel
	.section	.text._ZL15flash_attn_tileILi64ELi64ELi16ELi1ELb1EEvPKcS1_S1_S1_S1_PKiPfP15HIP_vector_typeIfLj2EEffffjfiS5_IjLj3EEiiiiiiiiiiiliiliiiiil,"axG",@progbits,_ZL15flash_attn_tileILi64ELi64ELi16ELi1ELb1EEvPKcS1_S1_S1_S1_PKiPfP15HIP_vector_typeIfLj2EEffffjfiS5_IjLj3EEiiiiiiiiiiiliiliiiiil,comdat
.Lfunc_end91:
	.size	_ZL15flash_attn_tileILi64ELi64ELi16ELi1ELb1EEvPKcS1_S1_S1_S1_PKiPfP15HIP_vector_typeIfLj2EEffffjfiS5_IjLj3EEiiiiiiiiiiiliiliiiiil, .Lfunc_end91-_ZL15flash_attn_tileILi64ELi64ELi16ELi1ELb1EEvPKcS1_S1_S1_S1_PKiPfP15HIP_vector_typeIfLj2EEffffjfiS5_IjLj3EEiiiiiiiiiiiliiliiiiil
                                        ; -- End function
	.section	.AMDGPU.csdata,"",@progbits
; Kernel info:
; codeLenInByte = 56
; NumSgprs: 40
; NumVgprs: 39
; NumAgprs: 0
; TotalNumVgprs: 39
; ScratchSize: 16
; MemoryBound: 0
; FloatMode: 240
; IeeeMode: 1
; LDSByteSize: 0 bytes/workgroup (compile time only)
; SGPRBlocks: 4
; VGPRBlocks: 4
; NumSGPRsForWavesPerEU: 40
; NumVGPRsForWavesPerEU: 39
; AccumOffset: 40
; Occupancy: 8
; WaveLimiterHint : 1
; COMPUTE_PGM_RSRC2:SCRATCH_EN: 1
; COMPUTE_PGM_RSRC2:USER_SGPR: 8
; COMPUTE_PGM_RSRC2:TRAP_HANDLER: 0
; COMPUTE_PGM_RSRC2:TGID_X_EN: 1
; COMPUTE_PGM_RSRC2:TGID_Y_EN: 0
; COMPUTE_PGM_RSRC2:TGID_Z_EN: 0
; COMPUTE_PGM_RSRC2:TIDIG_COMP_CNT: 0
; COMPUTE_PGM_RSRC3_GFX90A:ACCUM_OFFSET: 9
; COMPUTE_PGM_RSRC3_GFX90A:TG_SPLIT: 0
	.section	.text._ZL15flash_attn_tileILi64ELi64ELi8ELi1ELb1EEvPKcS1_S1_S1_S1_PKiPfP15HIP_vector_typeIfLj2EEffffjfiS5_IjLj3EEiiiiiiiiiiiliiliiiiil,"axG",@progbits,_ZL15flash_attn_tileILi64ELi64ELi8ELi1ELb1EEvPKcS1_S1_S1_S1_PKiPfP15HIP_vector_typeIfLj2EEffffjfiS5_IjLj3EEiiiiiiiiiiiliiliiiiil,comdat
	.globl	_ZL15flash_attn_tileILi64ELi64ELi8ELi1ELb1EEvPKcS1_S1_S1_S1_PKiPfP15HIP_vector_typeIfLj2EEffffjfiS5_IjLj3EEiiiiiiiiiiiliiliiiiil ; -- Begin function _ZL15flash_attn_tileILi64ELi64ELi8ELi1ELb1EEvPKcS1_S1_S1_S1_PKiPfP15HIP_vector_typeIfLj2EEffffjfiS5_IjLj3EEiiiiiiiiiiiliiliiiiil
	.p2align	8
	.type	_ZL15flash_attn_tileILi64ELi64ELi8ELi1ELb1EEvPKcS1_S1_S1_S1_PKiPfP15HIP_vector_typeIfLj2EEffffjfiS5_IjLj3EEiiiiiiiiiiiliiliiiiil,@function
_ZL15flash_attn_tileILi64ELi64ELi8ELi1ELb1EEvPKcS1_S1_S1_S1_PKiPfP15HIP_vector_typeIfLj2EEffffjfiS5_IjLj3EEiiiiiiiiiiiliiliiiiil: ; @_ZL15flash_attn_tileILi64ELi64ELi8ELi1ELb1EEvPKcS1_S1_S1_S1_PKiPfP15HIP_vector_typeIfLj2EEffffjfiS5_IjLj3EEiiiiiiiiiiiliiliiiiil
; %bb.0:
	s_add_u32 flat_scratch_lo, s6, s9
	s_addc_u32 flat_scratch_hi, s7, 0
	s_add_u32 s0, s0, s9
	s_addc_u32 s1, s1, 0
	s_add_u32 s8, s4, 0xd0
	s_addc_u32 s9, s5, 0
	s_mov_b32 s32, 0
	s_getpc_b64 s[4:5]
	s_add_u32 s4, s4, _ZL14no_device_codePKciS0_iS0_@rel32@lo+4
	s_addc_u32 s5, s5, _ZL14no_device_codePKciS0_iS0_@rel32@hi+12
	s_swappc_b64 s[30:31], s[4:5]
	.section	.rodata,"a",@progbits
	.p2align	6, 0x0
	.amdhsa_kernel _ZL15flash_attn_tileILi64ELi64ELi8ELi1ELb1EEvPKcS1_S1_S1_S1_PKiPfP15HIP_vector_typeIfLj2EEffffjfiS5_IjLj3EEiiiiiiiiiiiliiliiiiil
		.amdhsa_group_segment_fixed_size 0
		.amdhsa_private_segment_fixed_size 16
		.amdhsa_kernarg_size 464
		.amdhsa_user_sgpr_count 8
		.amdhsa_user_sgpr_private_segment_buffer 1
		.amdhsa_user_sgpr_dispatch_ptr 0
		.amdhsa_user_sgpr_queue_ptr 0
		.amdhsa_user_sgpr_kernarg_segment_ptr 1
		.amdhsa_user_sgpr_dispatch_id 0
		.amdhsa_user_sgpr_flat_scratch_init 1
		.amdhsa_user_sgpr_kernarg_preload_length 0
		.amdhsa_user_sgpr_kernarg_preload_offset 0
		.amdhsa_user_sgpr_private_segment_size 0
		.amdhsa_uses_dynamic_stack 0
		.amdhsa_system_sgpr_private_segment_wavefront_offset 1
		.amdhsa_system_sgpr_workgroup_id_x 1
		.amdhsa_system_sgpr_workgroup_id_y 0
		.amdhsa_system_sgpr_workgroup_id_z 0
		.amdhsa_system_sgpr_workgroup_info 0
		.amdhsa_system_vgpr_workitem_id 0
		.amdhsa_next_free_vgpr 39
		.amdhsa_next_free_sgpr 34
		.amdhsa_accum_offset 40
		.amdhsa_reserve_vcc 1
		.amdhsa_reserve_flat_scratch 1
		.amdhsa_float_round_mode_32 0
		.amdhsa_float_round_mode_16_64 0
		.amdhsa_float_denorm_mode_32 3
		.amdhsa_float_denorm_mode_16_64 3
		.amdhsa_dx10_clamp 1
		.amdhsa_ieee_mode 1
		.amdhsa_fp16_overflow 0
		.amdhsa_tg_split 0
		.amdhsa_exception_fp_ieee_invalid_op 0
		.amdhsa_exception_fp_denorm_src 0
		.amdhsa_exception_fp_ieee_div_zero 0
		.amdhsa_exception_fp_ieee_overflow 0
		.amdhsa_exception_fp_ieee_underflow 0
		.amdhsa_exception_fp_ieee_inexact 0
		.amdhsa_exception_int_div_zero 0
	.end_amdhsa_kernel
	.section	.text._ZL15flash_attn_tileILi64ELi64ELi8ELi1ELb1EEvPKcS1_S1_S1_S1_PKiPfP15HIP_vector_typeIfLj2EEffffjfiS5_IjLj3EEiiiiiiiiiiiliiliiiiil,"axG",@progbits,_ZL15flash_attn_tileILi64ELi64ELi8ELi1ELb1EEvPKcS1_S1_S1_S1_PKiPfP15HIP_vector_typeIfLj2EEffffjfiS5_IjLj3EEiiiiiiiiiiiliiliiiiil,comdat
.Lfunc_end92:
	.size	_ZL15flash_attn_tileILi64ELi64ELi8ELi1ELb1EEvPKcS1_S1_S1_S1_PKiPfP15HIP_vector_typeIfLj2EEffffjfiS5_IjLj3EEiiiiiiiiiiiliiliiiiil, .Lfunc_end92-_ZL15flash_attn_tileILi64ELi64ELi8ELi1ELb1EEvPKcS1_S1_S1_S1_PKiPfP15HIP_vector_typeIfLj2EEffffjfiS5_IjLj3EEiiiiiiiiiiiliiliiiiil
                                        ; -- End function
	.section	.AMDGPU.csdata,"",@progbits
; Kernel info:
; codeLenInByte = 56
; NumSgprs: 40
; NumVgprs: 39
; NumAgprs: 0
; TotalNumVgprs: 39
; ScratchSize: 16
; MemoryBound: 0
; FloatMode: 240
; IeeeMode: 1
; LDSByteSize: 0 bytes/workgroup (compile time only)
; SGPRBlocks: 4
; VGPRBlocks: 4
; NumSGPRsForWavesPerEU: 40
; NumVGPRsForWavesPerEU: 39
; AccumOffset: 40
; Occupancy: 8
; WaveLimiterHint : 1
; COMPUTE_PGM_RSRC2:SCRATCH_EN: 1
; COMPUTE_PGM_RSRC2:USER_SGPR: 8
; COMPUTE_PGM_RSRC2:TRAP_HANDLER: 0
; COMPUTE_PGM_RSRC2:TGID_X_EN: 1
; COMPUTE_PGM_RSRC2:TGID_Y_EN: 0
; COMPUTE_PGM_RSRC2:TGID_Z_EN: 0
; COMPUTE_PGM_RSRC2:TIDIG_COMP_CNT: 0
; COMPUTE_PGM_RSRC3_GFX90A:ACCUM_OFFSET: 9
; COMPUTE_PGM_RSRC3_GFX90A:TG_SPLIT: 0
	.section	.text._ZL15flash_attn_tileILi64ELi64ELi4ELi1ELb1EEvPKcS1_S1_S1_S1_PKiPfP15HIP_vector_typeIfLj2EEffffjfiS5_IjLj3EEiiiiiiiiiiiliiliiiiil,"axG",@progbits,_ZL15flash_attn_tileILi64ELi64ELi4ELi1ELb1EEvPKcS1_S1_S1_S1_PKiPfP15HIP_vector_typeIfLj2EEffffjfiS5_IjLj3EEiiiiiiiiiiiliiliiiiil,comdat
	.globl	_ZL15flash_attn_tileILi64ELi64ELi4ELi1ELb1EEvPKcS1_S1_S1_S1_PKiPfP15HIP_vector_typeIfLj2EEffffjfiS5_IjLj3EEiiiiiiiiiiiliiliiiiil ; -- Begin function _ZL15flash_attn_tileILi64ELi64ELi4ELi1ELb1EEvPKcS1_S1_S1_S1_PKiPfP15HIP_vector_typeIfLj2EEffffjfiS5_IjLj3EEiiiiiiiiiiiliiliiiiil
	.p2align	8
	.type	_ZL15flash_attn_tileILi64ELi64ELi4ELi1ELb1EEvPKcS1_S1_S1_S1_PKiPfP15HIP_vector_typeIfLj2EEffffjfiS5_IjLj3EEiiiiiiiiiiiliiliiiiil,@function
_ZL15flash_attn_tileILi64ELi64ELi4ELi1ELb1EEvPKcS1_S1_S1_S1_PKiPfP15HIP_vector_typeIfLj2EEffffjfiS5_IjLj3EEiiiiiiiiiiiliiliiiiil: ; @_ZL15flash_attn_tileILi64ELi64ELi4ELi1ELb1EEvPKcS1_S1_S1_S1_PKiPfP15HIP_vector_typeIfLj2EEffffjfiS5_IjLj3EEiiiiiiiiiiiliiliiiiil
; %bb.0:
	s_add_u32 flat_scratch_lo, s6, s9
	s_addc_u32 flat_scratch_hi, s7, 0
	s_add_u32 s0, s0, s9
	s_addc_u32 s1, s1, 0
	s_add_u32 s8, s4, 0xd0
	s_addc_u32 s9, s5, 0
	s_mov_b32 s32, 0
	s_getpc_b64 s[4:5]
	s_add_u32 s4, s4, _ZL14no_device_codePKciS0_iS0_@rel32@lo+4
	s_addc_u32 s5, s5, _ZL14no_device_codePKciS0_iS0_@rel32@hi+12
	s_swappc_b64 s[30:31], s[4:5]
	.section	.rodata,"a",@progbits
	.p2align	6, 0x0
	.amdhsa_kernel _ZL15flash_attn_tileILi64ELi64ELi4ELi1ELb1EEvPKcS1_S1_S1_S1_PKiPfP15HIP_vector_typeIfLj2EEffffjfiS5_IjLj3EEiiiiiiiiiiiliiliiiiil
		.amdhsa_group_segment_fixed_size 0
		.amdhsa_private_segment_fixed_size 16
		.amdhsa_kernarg_size 464
		.amdhsa_user_sgpr_count 8
		.amdhsa_user_sgpr_private_segment_buffer 1
		.amdhsa_user_sgpr_dispatch_ptr 0
		.amdhsa_user_sgpr_queue_ptr 0
		.amdhsa_user_sgpr_kernarg_segment_ptr 1
		.amdhsa_user_sgpr_dispatch_id 0
		.amdhsa_user_sgpr_flat_scratch_init 1
		.amdhsa_user_sgpr_kernarg_preload_length 0
		.amdhsa_user_sgpr_kernarg_preload_offset 0
		.amdhsa_user_sgpr_private_segment_size 0
		.amdhsa_uses_dynamic_stack 0
		.amdhsa_system_sgpr_private_segment_wavefront_offset 1
		.amdhsa_system_sgpr_workgroup_id_x 1
		.amdhsa_system_sgpr_workgroup_id_y 0
		.amdhsa_system_sgpr_workgroup_id_z 0
		.amdhsa_system_sgpr_workgroup_info 0
		.amdhsa_system_vgpr_workitem_id 0
		.amdhsa_next_free_vgpr 39
		.amdhsa_next_free_sgpr 34
		.amdhsa_accum_offset 40
		.amdhsa_reserve_vcc 1
		.amdhsa_reserve_flat_scratch 1
		.amdhsa_float_round_mode_32 0
		.amdhsa_float_round_mode_16_64 0
		.amdhsa_float_denorm_mode_32 3
		.amdhsa_float_denorm_mode_16_64 3
		.amdhsa_dx10_clamp 1
		.amdhsa_ieee_mode 1
		.amdhsa_fp16_overflow 0
		.amdhsa_tg_split 0
		.amdhsa_exception_fp_ieee_invalid_op 0
		.amdhsa_exception_fp_denorm_src 0
		.amdhsa_exception_fp_ieee_div_zero 0
		.amdhsa_exception_fp_ieee_overflow 0
		.amdhsa_exception_fp_ieee_underflow 0
		.amdhsa_exception_fp_ieee_inexact 0
		.amdhsa_exception_int_div_zero 0
	.end_amdhsa_kernel
	.section	.text._ZL15flash_attn_tileILi64ELi64ELi4ELi1ELb1EEvPKcS1_S1_S1_S1_PKiPfP15HIP_vector_typeIfLj2EEffffjfiS5_IjLj3EEiiiiiiiiiiiliiliiiiil,"axG",@progbits,_ZL15flash_attn_tileILi64ELi64ELi4ELi1ELb1EEvPKcS1_S1_S1_S1_PKiPfP15HIP_vector_typeIfLj2EEffffjfiS5_IjLj3EEiiiiiiiiiiiliiliiiiil,comdat
.Lfunc_end93:
	.size	_ZL15flash_attn_tileILi64ELi64ELi4ELi1ELb1EEvPKcS1_S1_S1_S1_PKiPfP15HIP_vector_typeIfLj2EEffffjfiS5_IjLj3EEiiiiiiiiiiiliiliiiiil, .Lfunc_end93-_ZL15flash_attn_tileILi64ELi64ELi4ELi1ELb1EEvPKcS1_S1_S1_S1_PKiPfP15HIP_vector_typeIfLj2EEffffjfiS5_IjLj3EEiiiiiiiiiiiliiliiiiil
                                        ; -- End function
	.section	.AMDGPU.csdata,"",@progbits
; Kernel info:
; codeLenInByte = 56
; NumSgprs: 40
; NumVgprs: 39
; NumAgprs: 0
; TotalNumVgprs: 39
; ScratchSize: 16
; MemoryBound: 0
; FloatMode: 240
; IeeeMode: 1
; LDSByteSize: 0 bytes/workgroup (compile time only)
; SGPRBlocks: 4
; VGPRBlocks: 4
; NumSGPRsForWavesPerEU: 40
; NumVGPRsForWavesPerEU: 39
; AccumOffset: 40
; Occupancy: 8
; WaveLimiterHint : 1
; COMPUTE_PGM_RSRC2:SCRATCH_EN: 1
; COMPUTE_PGM_RSRC2:USER_SGPR: 8
; COMPUTE_PGM_RSRC2:TRAP_HANDLER: 0
; COMPUTE_PGM_RSRC2:TGID_X_EN: 1
; COMPUTE_PGM_RSRC2:TGID_Y_EN: 0
; COMPUTE_PGM_RSRC2:TGID_Z_EN: 0
; COMPUTE_PGM_RSRC2:TIDIG_COMP_CNT: 0
; COMPUTE_PGM_RSRC3_GFX90A:ACCUM_OFFSET: 9
; COMPUTE_PGM_RSRC3_GFX90A:TG_SPLIT: 0
	.section	.text._ZL15flash_attn_tileILi64ELi64ELi2ELi1ELb1EEvPKcS1_S1_S1_S1_PKiPfP15HIP_vector_typeIfLj2EEffffjfiS5_IjLj3EEiiiiiiiiiiiliiliiiiil,"axG",@progbits,_ZL15flash_attn_tileILi64ELi64ELi2ELi1ELb1EEvPKcS1_S1_S1_S1_PKiPfP15HIP_vector_typeIfLj2EEffffjfiS5_IjLj3EEiiiiiiiiiiiliiliiiiil,comdat
	.globl	_ZL15flash_attn_tileILi64ELi64ELi2ELi1ELb1EEvPKcS1_S1_S1_S1_PKiPfP15HIP_vector_typeIfLj2EEffffjfiS5_IjLj3EEiiiiiiiiiiiliiliiiiil ; -- Begin function _ZL15flash_attn_tileILi64ELi64ELi2ELi1ELb1EEvPKcS1_S1_S1_S1_PKiPfP15HIP_vector_typeIfLj2EEffffjfiS5_IjLj3EEiiiiiiiiiiiliiliiiiil
	.p2align	8
	.type	_ZL15flash_attn_tileILi64ELi64ELi2ELi1ELb1EEvPKcS1_S1_S1_S1_PKiPfP15HIP_vector_typeIfLj2EEffffjfiS5_IjLj3EEiiiiiiiiiiiliiliiiiil,@function
_ZL15flash_attn_tileILi64ELi64ELi2ELi1ELb1EEvPKcS1_S1_S1_S1_PKiPfP15HIP_vector_typeIfLj2EEffffjfiS5_IjLj3EEiiiiiiiiiiiliiliiiiil: ; @_ZL15flash_attn_tileILi64ELi64ELi2ELi1ELb1EEvPKcS1_S1_S1_S1_PKiPfP15HIP_vector_typeIfLj2EEffffjfiS5_IjLj3EEiiiiiiiiiiiliiliiiiil
; %bb.0:
	s_add_u32 flat_scratch_lo, s6, s9
	s_addc_u32 flat_scratch_hi, s7, 0
	s_add_u32 s0, s0, s9
	s_addc_u32 s1, s1, 0
	s_add_u32 s8, s4, 0xd0
	s_addc_u32 s9, s5, 0
	s_mov_b32 s32, 0
	s_getpc_b64 s[4:5]
	s_add_u32 s4, s4, _ZL14no_device_codePKciS0_iS0_@rel32@lo+4
	s_addc_u32 s5, s5, _ZL14no_device_codePKciS0_iS0_@rel32@hi+12
	s_swappc_b64 s[30:31], s[4:5]
	.section	.rodata,"a",@progbits
	.p2align	6, 0x0
	.amdhsa_kernel _ZL15flash_attn_tileILi64ELi64ELi2ELi1ELb1EEvPKcS1_S1_S1_S1_PKiPfP15HIP_vector_typeIfLj2EEffffjfiS5_IjLj3EEiiiiiiiiiiiliiliiiiil
		.amdhsa_group_segment_fixed_size 0
		.amdhsa_private_segment_fixed_size 16
		.amdhsa_kernarg_size 464
		.amdhsa_user_sgpr_count 8
		.amdhsa_user_sgpr_private_segment_buffer 1
		.amdhsa_user_sgpr_dispatch_ptr 0
		.amdhsa_user_sgpr_queue_ptr 0
		.amdhsa_user_sgpr_kernarg_segment_ptr 1
		.amdhsa_user_sgpr_dispatch_id 0
		.amdhsa_user_sgpr_flat_scratch_init 1
		.amdhsa_user_sgpr_kernarg_preload_length 0
		.amdhsa_user_sgpr_kernarg_preload_offset 0
		.amdhsa_user_sgpr_private_segment_size 0
		.amdhsa_uses_dynamic_stack 0
		.amdhsa_system_sgpr_private_segment_wavefront_offset 1
		.amdhsa_system_sgpr_workgroup_id_x 1
		.amdhsa_system_sgpr_workgroup_id_y 0
		.amdhsa_system_sgpr_workgroup_id_z 0
		.amdhsa_system_sgpr_workgroup_info 0
		.amdhsa_system_vgpr_workitem_id 0
		.amdhsa_next_free_vgpr 39
		.amdhsa_next_free_sgpr 34
		.amdhsa_accum_offset 40
		.amdhsa_reserve_vcc 1
		.amdhsa_reserve_flat_scratch 1
		.amdhsa_float_round_mode_32 0
		.amdhsa_float_round_mode_16_64 0
		.amdhsa_float_denorm_mode_32 3
		.amdhsa_float_denorm_mode_16_64 3
		.amdhsa_dx10_clamp 1
		.amdhsa_ieee_mode 1
		.amdhsa_fp16_overflow 0
		.amdhsa_tg_split 0
		.amdhsa_exception_fp_ieee_invalid_op 0
		.amdhsa_exception_fp_denorm_src 0
		.amdhsa_exception_fp_ieee_div_zero 0
		.amdhsa_exception_fp_ieee_overflow 0
		.amdhsa_exception_fp_ieee_underflow 0
		.amdhsa_exception_fp_ieee_inexact 0
		.amdhsa_exception_int_div_zero 0
	.end_amdhsa_kernel
	.section	.text._ZL15flash_attn_tileILi64ELi64ELi2ELi1ELb1EEvPKcS1_S1_S1_S1_PKiPfP15HIP_vector_typeIfLj2EEffffjfiS5_IjLj3EEiiiiiiiiiiiliiliiiiil,"axG",@progbits,_ZL15flash_attn_tileILi64ELi64ELi2ELi1ELb1EEvPKcS1_S1_S1_S1_PKiPfP15HIP_vector_typeIfLj2EEffffjfiS5_IjLj3EEiiiiiiiiiiiliiliiiiil,comdat
.Lfunc_end94:
	.size	_ZL15flash_attn_tileILi64ELi64ELi2ELi1ELb1EEvPKcS1_S1_S1_S1_PKiPfP15HIP_vector_typeIfLj2EEffffjfiS5_IjLj3EEiiiiiiiiiiiliiliiiiil, .Lfunc_end94-_ZL15flash_attn_tileILi64ELi64ELi2ELi1ELb1EEvPKcS1_S1_S1_S1_PKiPfP15HIP_vector_typeIfLj2EEffffjfiS5_IjLj3EEiiiiiiiiiiiliiliiiiil
                                        ; -- End function
	.section	.AMDGPU.csdata,"",@progbits
; Kernel info:
; codeLenInByte = 56
; NumSgprs: 40
; NumVgprs: 39
; NumAgprs: 0
; TotalNumVgprs: 39
; ScratchSize: 16
; MemoryBound: 0
; FloatMode: 240
; IeeeMode: 1
; LDSByteSize: 0 bytes/workgroup (compile time only)
; SGPRBlocks: 4
; VGPRBlocks: 4
; NumSGPRsForWavesPerEU: 40
; NumVGPRsForWavesPerEU: 39
; AccumOffset: 40
; Occupancy: 8
; WaveLimiterHint : 1
; COMPUTE_PGM_RSRC2:SCRATCH_EN: 1
; COMPUTE_PGM_RSRC2:USER_SGPR: 8
; COMPUTE_PGM_RSRC2:TRAP_HANDLER: 0
; COMPUTE_PGM_RSRC2:TGID_X_EN: 1
; COMPUTE_PGM_RSRC2:TGID_Y_EN: 0
; COMPUTE_PGM_RSRC2:TGID_Z_EN: 0
; COMPUTE_PGM_RSRC2:TIDIG_COMP_CNT: 0
; COMPUTE_PGM_RSRC3_GFX90A:ACCUM_OFFSET: 9
; COMPUTE_PGM_RSRC3_GFX90A:TG_SPLIT: 0
	.text
	.p2alignl 6, 3212836864
	.fill 256, 4, 3212836864
	.type	.str.1,@object                  ; @.str.1
	.section	.rodata.str1.1,"aMS",@progbits,1
.str.1:
	.asciz	"/root/src/amdgpu-assembly/repos/ggml-org__llama.cpp/ggml/src/ggml-cuda/template-instances/../fattn-tile.cuh"
	.size	.str.1, 108

	.type	__FUNCTION__._ZL15flash_attn_tileILi64ELi64ELi8ELi8ELb1EEvPKcS1_S1_S1_S1_PKiPfP15HIP_vector_typeIfLj2EEffffjfiS5_IjLj3EEiiiiiiiiiiiliiliiiiil,@object ; @__FUNCTION__._ZL15flash_attn_tileILi64ELi64ELi8ELi8ELb1EEvPKcS1_S1_S1_S1_PKiPfP15HIP_vector_typeIfLj2EEffffjfiS5_IjLj3EEiiiiiiiiiiiliiliiiiil
__FUNCTION__._ZL15flash_attn_tileILi64ELi64ELi8ELi8ELb1EEvPKcS1_S1_S1_S1_PKiPfP15HIP_vector_typeIfLj2EEffffjfiS5_IjLj3EEiiiiiiiiiiiliiliiiiil:
	.asciz	"flash_attn_tile"
	.size	__FUNCTION__._ZL15flash_attn_tileILi64ELi64ELi8ELi8ELb1EEvPKcS1_S1_S1_S1_PKiPfP15HIP_vector_typeIfLj2EEffffjfiS5_IjLj3EEiiiiiiiiiiiliiliiiiil, 16

	.type	.str.3,@object                  ; @.str.3
.str.3:
	.asciz	"%s:%d: ERROR: HIP kernel %s has no device code compatible with HIP arch %d.\n"
	.size	.str.3, 77

	.type	__hip_cuid_29616f4478bb7bb1,@object ; @__hip_cuid_29616f4478bb7bb1
	.section	.bss,"aw",@nobits
	.globl	__hip_cuid_29616f4478bb7bb1
__hip_cuid_29616f4478bb7bb1:
	.byte	0                               ; 0x0
	.size	__hip_cuid_29616f4478bb7bb1, 1

	.ident	"AMD clang version 19.0.0git (https://github.com/RadeonOpenCompute/llvm-project roc-6.4.0 25133 c7fe45cf4b819c5991fe208aaa96edf142730f1d)"
	.section	".note.GNU-stack","",@progbits
	.addrsig
	.addrsig_sym __hip_cuid_29616f4478bb7bb1
	.amdgpu_metadata
---
amdhsa.kernels:
  - .agpr_count:     0
    .args:
      - .address_space:  global
        .offset:         0
        .size:           8
        .value_kind:     global_buffer
      - .address_space:  global
        .offset:         8
        .size:           8
        .value_kind:     global_buffer
      - .address_space:  global
        .offset:         16
        .size:           8
        .value_kind:     global_buffer
      - .address_space:  global
        .offset:         24
        .size:           8
        .value_kind:     global_buffer
      - .address_space:  global
        .offset:         32
        .size:           8
        .value_kind:     global_buffer
      - .address_space:  global
        .offset:         40
        .size:           8
        .value_kind:     global_buffer
      - .address_space:  global
        .offset:         48
        .size:           8
        .value_kind:     global_buffer
      - .address_space:  global
        .offset:         56
        .size:           8
        .value_kind:     global_buffer
      - .offset:         64
        .size:           4
        .value_kind:     by_value
      - .offset:         68
        .size:           4
        .value_kind:     by_value
      - .offset:         72
        .size:           4
        .value_kind:     by_value
      - .offset:         76
        .size:           4
        .value_kind:     by_value
      - .offset:         80
        .size:           4
        .value_kind:     by_value
      - .offset:         84
        .size:           4
        .value_kind:     by_value
      - .offset:         88
        .size:           4
        .value_kind:     by_value
      - .offset:         92
        .size:           12
        .value_kind:     by_value
      - .offset:         104
        .size:           4
        .value_kind:     by_value
      - .offset:         108
        .size:           4
        .value_kind:     by_value
      - .offset:         112
        .size:           4
        .value_kind:     by_value
      - .offset:         116
        .size:           4
        .value_kind:     by_value
      - .offset:         120
        .size:           4
        .value_kind:     by_value
      - .offset:         124
        .size:           4
        .value_kind:     by_value
      - .offset:         128
        .size:           4
        .value_kind:     by_value
      - .offset:         132
        .size:           4
        .value_kind:     by_value
      - .offset:         136
        .size:           4
        .value_kind:     by_value
      - .offset:         140
        .size:           4
        .value_kind:     by_value
      - .offset:         144
        .size:           4
        .value_kind:     by_value
      - .offset:         152
        .size:           8
        .value_kind:     by_value
      - .offset:         160
        .size:           4
        .value_kind:     by_value
      - .offset:         164
        .size:           4
        .value_kind:     by_value
      - .offset:         168
        .size:           8
        .value_kind:     by_value
      - .offset:         176
        .size:           4
        .value_kind:     by_value
      - .offset:         180
        .size:           4
        .value_kind:     by_value
      - .offset:         184
        .size:           4
        .value_kind:     by_value
      - .offset:         188
        .size:           4
        .value_kind:     by_value
      - .offset:         192
        .size:           4
        .value_kind:     by_value
      - .offset:         200
        .size:           8
        .value_kind:     by_value
      - .offset:         208
        .size:           4
        .value_kind:     hidden_block_count_x
      - .offset:         212
        .size:           4
        .value_kind:     hidden_block_count_y
      - .offset:         216
        .size:           4
        .value_kind:     hidden_block_count_z
      - .offset:         220
        .size:           2
        .value_kind:     hidden_group_size_x
      - .offset:         222
        .size:           2
        .value_kind:     hidden_group_size_y
      - .offset:         224
        .size:           2
        .value_kind:     hidden_group_size_z
      - .offset:         226
        .size:           2
        .value_kind:     hidden_remainder_x
      - .offset:         228
        .size:           2
        .value_kind:     hidden_remainder_y
      - .offset:         230
        .size:           2
        .value_kind:     hidden_remainder_z
      - .offset:         248
        .size:           8
        .value_kind:     hidden_global_offset_x
      - .offset:         256
        .size:           8
        .value_kind:     hidden_global_offset_y
      - .offset:         264
        .size:           8
        .value_kind:     hidden_global_offset_z
      - .offset:         272
        .size:           2
        .value_kind:     hidden_grid_dims
    .group_segment_fixed_size: 25600
    .kernarg_segment_align: 8
    .kernarg_segment_size: 464
    .language:       OpenCL C
    .language_version:
      - 2
      - 0
    .max_flat_workgroup_size: 256
    .name:           _ZL15flash_attn_tileILi64ELi64ELi8ELi8ELb0EEvPKcS1_S1_S1_S1_PKiPfP15HIP_vector_typeIfLj2EEffffjfiS5_IjLj3EEiiiiiiiiiiiliiliiiiil
    .private_segment_fixed_size: 0
    .sgpr_count:     97
    .sgpr_spill_count: 0
    .symbol:         _ZL15flash_attn_tileILi64ELi64ELi8ELi8ELb0EEvPKcS1_S1_S1_S1_PKiPfP15HIP_vector_typeIfLj2EEffffjfiS5_IjLj3EEiiiiiiiiiiiliiliiiiil.kd
    .uniform_work_group_size: 1
    .uses_dynamic_stack: false
    .vgpr_count:     243
    .vgpr_spill_count: 0
    .wavefront_size: 64
  - .agpr_count:     0
    .args:
      - .actual_access:  read_only
        .address_space:  global
        .offset:         0
        .size:           8
        .value_kind:     global_buffer
      - .actual_access:  write_only
        .address_space:  global
        .offset:         8
        .size:           8
        .value_kind:     global_buffer
      - .offset:         16
        .size:           4
        .value_kind:     by_value
      - .offset:         20
        .size:           4
        .value_kind:     by_value
      - .offset:         24
        .size:           4
        .value_kind:     by_value
      - .offset:         32
        .size:           4
        .value_kind:     hidden_block_count_x
      - .offset:         36
        .size:           4
        .value_kind:     hidden_block_count_y
      - .offset:         40
        .size:           4
        .value_kind:     hidden_block_count_z
      - .offset:         44
        .size:           2
        .value_kind:     hidden_group_size_x
      - .offset:         46
        .size:           2
        .value_kind:     hidden_group_size_y
      - .offset:         48
        .size:           2
        .value_kind:     hidden_group_size_z
      - .offset:         50
        .size:           2
        .value_kind:     hidden_remainder_x
      - .offset:         52
        .size:           2
        .value_kind:     hidden_remainder_y
      - .offset:         54
        .size:           2
        .value_kind:     hidden_remainder_z
      - .offset:         72
        .size:           8
        .value_kind:     hidden_global_offset_x
      - .offset:         80
        .size:           8
        .value_kind:     hidden_global_offset_y
      - .offset:         88
        .size:           8
        .value_kind:     hidden_global_offset_z
      - .offset:         96
        .size:           2
        .value_kind:     hidden_grid_dims
    .group_segment_fixed_size: 128
    .kernarg_segment_align: 8
    .kernarg_segment_size: 288
    .language:       OpenCL C
    .language_version:
      - 2
      - 0
    .max_flat_workgroup_size: 128
    .name:           _ZL25flash_attn_mask_to_KV_maxILi8EEvPK7__half2Piiii
    .private_segment_fixed_size: 0
    .sgpr_count:     54
    .sgpr_spill_count: 0
    .symbol:         _ZL25flash_attn_mask_to_KV_maxILi8EEvPK7__half2Piiii.kd
    .uniform_work_group_size: 1
    .uses_dynamic_stack: false
    .vgpr_count:     13
    .vgpr_spill_count: 0
    .wavefront_size: 64
  - .agpr_count:     0
    .args:
      - .address_space:  global
        .offset:         0
        .size:           8
        .value_kind:     global_buffer
      - .address_space:  global
        .offset:         8
        .size:           8
        .value_kind:     global_buffer
      - .offset:         16
        .size:           4
        .value_kind:     by_value
      - .offset:         20
        .size:           4
        .value_kind:     by_value
      - .offset:         24
        .size:           4
        .value_kind:     by_value
      - .offset:         28
        .size:           4
        .value_kind:     by_value
      - .offset:         32
        .size:           4
        .value_kind:     by_value
      - .offset:         36
        .size:           4
        .value_kind:     by_value
      - .offset:         40
        .size:           12
        .value_kind:     by_value
      - .offset:         52
        .size:           12
        .value_kind:     by_value
      - .offset:         64
        .size:           12
        .value_kind:     by_value
    .group_segment_fixed_size: 0
    .kernarg_segment_align: 8
    .kernarg_segment_size: 76
    .language:       OpenCL C
    .language_version:
      - 2
      - 0
    .max_flat_workgroup_size: 64
    .name:           _ZL33flash_attn_stream_k_fixup_uniformILi64ELi8ELi8EEvPfPK15HIP_vector_typeIfLj2EEiiiiiiS1_IjLj3EES5_S5_
    .private_segment_fixed_size: 0
    .sgpr_count:     24
    .sgpr_spill_count: 0
    .symbol:         _ZL33flash_attn_stream_k_fixup_uniformILi64ELi8ELi8EEvPfPK15HIP_vector_typeIfLj2EEiiiiiiS1_IjLj3EES5_S5_.kd
    .uniform_work_group_size: 1
    .uses_dynamic_stack: false
    .vgpr_count:     17
    .vgpr_spill_count: 0
    .wavefront_size: 64
  - .agpr_count:     0
    .args:
      - .address_space:  global
        .offset:         0
        .size:           8
        .value_kind:     global_buffer
      - .address_space:  global
        .offset:         8
        .size:           8
        .value_kind:     global_buffer
      - .offset:         16
        .size:           4
        .value_kind:     by_value
      - .offset:         20
        .size:           4
        .value_kind:     by_value
      - .offset:         24
        .size:           4
        .value_kind:     by_value
      - .offset:         28
        .size:           4
        .value_kind:     by_value
      - .offset:         32
        .size:           12
        .value_kind:     by_value
      - .offset:         44
        .size:           12
        .value_kind:     by_value
      - .offset:         56
        .size:           12
        .value_kind:     by_value
      - .offset:         68
        .size:           12
        .value_kind:     by_value
      - .offset:         80
        .size:           4
        .value_kind:     hidden_block_count_x
      - .offset:         84
        .size:           4
        .value_kind:     hidden_block_count_y
      - .offset:         88
        .size:           4
        .value_kind:     hidden_block_count_z
      - .offset:         92
        .size:           2
        .value_kind:     hidden_group_size_x
      - .offset:         94
        .size:           2
        .value_kind:     hidden_group_size_y
      - .offset:         96
        .size:           2
        .value_kind:     hidden_group_size_z
      - .offset:         98
        .size:           2
        .value_kind:     hidden_remainder_x
      - .offset:         100
        .size:           2
        .value_kind:     hidden_remainder_y
      - .offset:         102
        .size:           2
        .value_kind:     hidden_remainder_z
      - .offset:         120
        .size:           8
        .value_kind:     hidden_global_offset_x
      - .offset:         128
        .size:           8
        .value_kind:     hidden_global_offset_y
      - .offset:         136
        .size:           8
        .value_kind:     hidden_global_offset_z
      - .offset:         144
        .size:           2
        .value_kind:     hidden_grid_dims
    .group_segment_fixed_size: 0
    .kernarg_segment_align: 8
    .kernarg_segment_size: 336
    .language:       OpenCL C
    .language_version:
      - 2
      - 0
    .max_flat_workgroup_size: 64
    .name:           _ZL33flash_attn_stream_k_fixup_generalILi64ELi8ELi8EEvPfPK15HIP_vector_typeIfLj2EEiiiiS1_IjLj3EES5_S5_S5_
    .private_segment_fixed_size: 0
    .sgpr_count:     36
    .sgpr_spill_count: 0
    .symbol:         _ZL33flash_attn_stream_k_fixup_generalILi64ELi8ELi8EEvPfPK15HIP_vector_typeIfLj2EEiiiiS1_IjLj3EES5_S5_S5_.kd
    .uniform_work_group_size: 1
    .uses_dynamic_stack: false
    .vgpr_count:     22
    .vgpr_spill_count: 0
    .wavefront_size: 64
  - .agpr_count:     0
    .args:
      - .address_space:  global
        .offset:         0
        .size:           8
        .value_kind:     global_buffer
      - .address_space:  global
        .offset:         8
        .size:           8
        .value_kind:     global_buffer
      - .address_space:  global
        .offset:         16
        .size:           8
        .value_kind:     global_buffer
      - .offset:         24
        .size:           4
        .value_kind:     by_value
      - .offset:         32
        .size:           4
        .value_kind:     hidden_block_count_x
      - .offset:         36
        .size:           4
        .value_kind:     hidden_block_count_y
      - .offset:         40
        .size:           4
        .value_kind:     hidden_block_count_z
      - .offset:         44
        .size:           2
        .value_kind:     hidden_group_size_x
      - .offset:         46
        .size:           2
        .value_kind:     hidden_group_size_y
      - .offset:         48
        .size:           2
        .value_kind:     hidden_group_size_z
      - .offset:         50
        .size:           2
        .value_kind:     hidden_remainder_x
      - .offset:         52
        .size:           2
        .value_kind:     hidden_remainder_y
      - .offset:         54
        .size:           2
        .value_kind:     hidden_remainder_z
      - .offset:         72
        .size:           8
        .value_kind:     hidden_global_offset_x
      - .offset:         80
        .size:           8
        .value_kind:     hidden_global_offset_y
      - .offset:         88
        .size:           8
        .value_kind:     hidden_global_offset_z
      - .offset:         96
        .size:           2
        .value_kind:     hidden_grid_dims
      - .offset:         152
        .size:           4
        .value_kind:     hidden_dynamic_lds_size
    .group_segment_fixed_size: 0
    .kernarg_segment_align: 8
    .kernarg_segment_size: 288
    .language:       OpenCL C
    .language_version:
      - 2
      - 0
    .max_flat_workgroup_size: 64
    .name:           _ZL26flash_attn_combine_resultsILi64EEvPKfPK15HIP_vector_typeIfLj2EEPfi
    .private_segment_fixed_size: 0
    .sgpr_count:     30
    .sgpr_spill_count: 0
    .symbol:         _ZL26flash_attn_combine_resultsILi64EEvPKfPK15HIP_vector_typeIfLj2EEPfi.kd
    .uniform_work_group_size: 1
    .uses_dynamic_stack: false
    .vgpr_count:     51
    .vgpr_spill_count: 0
    .wavefront_size: 64
  - .agpr_count:     0
    .args:
      - .address_space:  global
        .offset:         0
        .size:           8
        .value_kind:     global_buffer
      - .address_space:  global
        .offset:         8
        .size:           8
        .value_kind:     global_buffer
      - .address_space:  global
        .offset:         16
        .size:           8
        .value_kind:     global_buffer
      - .address_space:  global
        .offset:         24
        .size:           8
        .value_kind:     global_buffer
      - .address_space:  global
        .offset:         32
        .size:           8
        .value_kind:     global_buffer
      - .address_space:  global
        .offset:         40
        .size:           8
        .value_kind:     global_buffer
      - .address_space:  global
        .offset:         48
        .size:           8
        .value_kind:     global_buffer
      - .address_space:  global
        .offset:         56
        .size:           8
        .value_kind:     global_buffer
      - .offset:         64
        .size:           4
        .value_kind:     by_value
      - .offset:         68
        .size:           4
        .value_kind:     by_value
      - .offset:         72
        .size:           4
        .value_kind:     by_value
      - .offset:         76
        .size:           4
        .value_kind:     by_value
      - .offset:         80
        .size:           4
        .value_kind:     by_value
      - .offset:         84
        .size:           4
        .value_kind:     by_value
      - .offset:         88
        .size:           4
        .value_kind:     by_value
      - .offset:         92
        .size:           12
        .value_kind:     by_value
      - .offset:         104
        .size:           4
        .value_kind:     by_value
      - .offset:         108
        .size:           4
        .value_kind:     by_value
      - .offset:         112
        .size:           4
        .value_kind:     by_value
      - .offset:         116
        .size:           4
        .value_kind:     by_value
      - .offset:         120
        .size:           4
        .value_kind:     by_value
      - .offset:         124
        .size:           4
        .value_kind:     by_value
      - .offset:         128
        .size:           4
        .value_kind:     by_value
      - .offset:         132
        .size:           4
        .value_kind:     by_value
      - .offset:         136
        .size:           4
        .value_kind:     by_value
      - .offset:         140
        .size:           4
        .value_kind:     by_value
      - .offset:         144
        .size:           4
        .value_kind:     by_value
      - .offset:         152
        .size:           8
        .value_kind:     by_value
      - .offset:         160
        .size:           4
        .value_kind:     by_value
      - .offset:         164
        .size:           4
        .value_kind:     by_value
      - .offset:         168
        .size:           8
        .value_kind:     by_value
      - .offset:         176
        .size:           4
        .value_kind:     by_value
      - .offset:         180
        .size:           4
        .value_kind:     by_value
      - .offset:         184
        .size:           4
        .value_kind:     by_value
      - .offset:         188
        .size:           4
        .value_kind:     by_value
      - .offset:         192
        .size:           4
        .value_kind:     by_value
      - .offset:         200
        .size:           8
        .value_kind:     by_value
      - .offset:         208
        .size:           4
        .value_kind:     hidden_block_count_x
      - .offset:         212
        .size:           4
        .value_kind:     hidden_block_count_y
      - .offset:         216
        .size:           4
        .value_kind:     hidden_block_count_z
      - .offset:         220
        .size:           2
        .value_kind:     hidden_group_size_x
      - .offset:         222
        .size:           2
        .value_kind:     hidden_group_size_y
      - .offset:         224
        .size:           2
        .value_kind:     hidden_group_size_z
      - .offset:         226
        .size:           2
        .value_kind:     hidden_remainder_x
      - .offset:         228
        .size:           2
        .value_kind:     hidden_remainder_y
      - .offset:         230
        .size:           2
        .value_kind:     hidden_remainder_z
      - .offset:         248
        .size:           8
        .value_kind:     hidden_global_offset_x
      - .offset:         256
        .size:           8
        .value_kind:     hidden_global_offset_y
      - .offset:         264
        .size:           8
        .value_kind:     hidden_global_offset_z
      - .offset:         272
        .size:           2
        .value_kind:     hidden_grid_dims
    .group_segment_fixed_size: 17408
    .kernarg_segment_align: 8
    .kernarg_segment_size: 464
    .language:       OpenCL C
    .language_version:
      - 2
      - 0
    .max_flat_workgroup_size: 256
    .name:           _ZL15flash_attn_tileILi64ELi64ELi4ELi8ELb0EEvPKcS1_S1_S1_S1_PKiPfP15HIP_vector_typeIfLj2EEffffjfiS5_IjLj3EEiiiiiiiiiiiliiliiiiil
    .private_segment_fixed_size: 0
    .sgpr_count:     79
    .sgpr_spill_count: 0
    .symbol:         _ZL15flash_attn_tileILi64ELi64ELi4ELi8ELb0EEvPKcS1_S1_S1_S1_PKiPfP15HIP_vector_typeIfLj2EEffffjfiS5_IjLj3EEiiiiiiiiiiiliiliiiiil.kd
    .uniform_work_group_size: 1
    .uses_dynamic_stack: false
    .vgpr_count:     158
    .vgpr_spill_count: 0
    .wavefront_size: 64
  - .agpr_count:     0
    .args:
      - .actual_access:  read_only
        .address_space:  global
        .offset:         0
        .size:           8
        .value_kind:     global_buffer
      - .actual_access:  write_only
        .address_space:  global
        .offset:         8
        .size:           8
        .value_kind:     global_buffer
      - .offset:         16
        .size:           4
        .value_kind:     by_value
      - .offset:         20
        .size:           4
        .value_kind:     by_value
      - .offset:         24
        .size:           4
        .value_kind:     by_value
      - .offset:         32
        .size:           4
        .value_kind:     hidden_block_count_x
      - .offset:         36
        .size:           4
        .value_kind:     hidden_block_count_y
      - .offset:         40
        .size:           4
        .value_kind:     hidden_block_count_z
      - .offset:         44
        .size:           2
        .value_kind:     hidden_group_size_x
      - .offset:         46
        .size:           2
        .value_kind:     hidden_group_size_y
      - .offset:         48
        .size:           2
        .value_kind:     hidden_group_size_z
      - .offset:         50
        .size:           2
        .value_kind:     hidden_remainder_x
      - .offset:         52
        .size:           2
        .value_kind:     hidden_remainder_y
      - .offset:         54
        .size:           2
        .value_kind:     hidden_remainder_z
      - .offset:         72
        .size:           8
        .value_kind:     hidden_global_offset_x
      - .offset:         80
        .size:           8
        .value_kind:     hidden_global_offset_y
      - .offset:         88
        .size:           8
        .value_kind:     hidden_global_offset_z
      - .offset:         96
        .size:           2
        .value_kind:     hidden_grid_dims
    .group_segment_fixed_size: 128
    .kernarg_segment_align: 8
    .kernarg_segment_size: 288
    .language:       OpenCL C
    .language_version:
      - 2
      - 0
    .max_flat_workgroup_size: 128
    .name:           _ZL25flash_attn_mask_to_KV_maxILi4EEvPK7__half2Piiii
    .private_segment_fixed_size: 0
    .sgpr_count:     40
    .sgpr_spill_count: 0
    .symbol:         _ZL25flash_attn_mask_to_KV_maxILi4EEvPK7__half2Piiii.kd
    .uniform_work_group_size: 1
    .uses_dynamic_stack: false
    .vgpr_count:     17
    .vgpr_spill_count: 0
    .wavefront_size: 64
  - .agpr_count:     0
    .args:
      - .address_space:  global
        .offset:         0
        .size:           8
        .value_kind:     global_buffer
      - .address_space:  global
        .offset:         8
        .size:           8
        .value_kind:     global_buffer
      - .offset:         16
        .size:           4
        .value_kind:     by_value
      - .offset:         20
        .size:           4
        .value_kind:     by_value
      - .offset:         24
        .size:           4
        .value_kind:     by_value
      - .offset:         28
        .size:           4
        .value_kind:     by_value
      - .offset:         32
        .size:           4
        .value_kind:     by_value
      - .offset:         36
        .size:           4
        .value_kind:     by_value
      - .offset:         40
        .size:           12
        .value_kind:     by_value
      - .offset:         52
        .size:           12
        .value_kind:     by_value
      - .offset:         64
        .size:           12
        .value_kind:     by_value
    .group_segment_fixed_size: 0
    .kernarg_segment_align: 8
    .kernarg_segment_size: 76
    .language:       OpenCL C
    .language_version:
      - 2
      - 0
    .max_flat_workgroup_size: 64
    .name:           _ZL33flash_attn_stream_k_fixup_uniformILi64ELi4ELi8EEvPfPK15HIP_vector_typeIfLj2EEiiiiiiS1_IjLj3EES5_S5_
    .private_segment_fixed_size: 0
    .sgpr_count:     24
    .sgpr_spill_count: 0
    .symbol:         _ZL33flash_attn_stream_k_fixup_uniformILi64ELi4ELi8EEvPfPK15HIP_vector_typeIfLj2EEiiiiiiS1_IjLj3EES5_S5_.kd
    .uniform_work_group_size: 1
    .uses_dynamic_stack: false
    .vgpr_count:     17
    .vgpr_spill_count: 0
    .wavefront_size: 64
  - .agpr_count:     0
    .args:
      - .address_space:  global
        .offset:         0
        .size:           8
        .value_kind:     global_buffer
      - .address_space:  global
        .offset:         8
        .size:           8
        .value_kind:     global_buffer
      - .offset:         16
        .size:           4
        .value_kind:     by_value
      - .offset:         20
        .size:           4
        .value_kind:     by_value
      - .offset:         24
        .size:           4
        .value_kind:     by_value
      - .offset:         28
        .size:           4
        .value_kind:     by_value
      - .offset:         32
        .size:           12
        .value_kind:     by_value
      - .offset:         44
        .size:           12
        .value_kind:     by_value
      - .offset:         56
        .size:           12
        .value_kind:     by_value
      - .offset:         68
        .size:           12
        .value_kind:     by_value
      - .offset:         80
        .size:           4
        .value_kind:     hidden_block_count_x
      - .offset:         84
        .size:           4
        .value_kind:     hidden_block_count_y
      - .offset:         88
        .size:           4
        .value_kind:     hidden_block_count_z
      - .offset:         92
        .size:           2
        .value_kind:     hidden_group_size_x
      - .offset:         94
        .size:           2
        .value_kind:     hidden_group_size_y
      - .offset:         96
        .size:           2
        .value_kind:     hidden_group_size_z
      - .offset:         98
        .size:           2
        .value_kind:     hidden_remainder_x
      - .offset:         100
        .size:           2
        .value_kind:     hidden_remainder_y
      - .offset:         102
        .size:           2
        .value_kind:     hidden_remainder_z
      - .offset:         120
        .size:           8
        .value_kind:     hidden_global_offset_x
      - .offset:         128
        .size:           8
        .value_kind:     hidden_global_offset_y
      - .offset:         136
        .size:           8
        .value_kind:     hidden_global_offset_z
      - .offset:         144
        .size:           2
        .value_kind:     hidden_grid_dims
    .group_segment_fixed_size: 0
    .kernarg_segment_align: 8
    .kernarg_segment_size: 336
    .language:       OpenCL C
    .language_version:
      - 2
      - 0
    .max_flat_workgroup_size: 64
    .name:           _ZL33flash_attn_stream_k_fixup_generalILi64ELi4ELi8EEvPfPK15HIP_vector_typeIfLj2EEiiiiS1_IjLj3EES5_S5_S5_
    .private_segment_fixed_size: 0
    .sgpr_count:     36
    .sgpr_spill_count: 0
    .symbol:         _ZL33flash_attn_stream_k_fixup_generalILi64ELi4ELi8EEvPfPK15HIP_vector_typeIfLj2EEiiiiS1_IjLj3EES5_S5_S5_.kd
    .uniform_work_group_size: 1
    .uses_dynamic_stack: false
    .vgpr_count:     22
    .vgpr_spill_count: 0
    .wavefront_size: 64
  - .agpr_count:     0
    .args:
      - .address_space:  global
        .offset:         0
        .size:           8
        .value_kind:     global_buffer
      - .address_space:  global
        .offset:         8
        .size:           8
        .value_kind:     global_buffer
      - .address_space:  global
        .offset:         16
        .size:           8
        .value_kind:     global_buffer
      - .address_space:  global
        .offset:         24
        .size:           8
        .value_kind:     global_buffer
      - .address_space:  global
        .offset:         32
        .size:           8
        .value_kind:     global_buffer
      - .address_space:  global
        .offset:         40
        .size:           8
        .value_kind:     global_buffer
      - .address_space:  global
        .offset:         48
        .size:           8
        .value_kind:     global_buffer
      - .address_space:  global
        .offset:         56
        .size:           8
        .value_kind:     global_buffer
      - .offset:         64
        .size:           4
        .value_kind:     by_value
      - .offset:         68
        .size:           4
        .value_kind:     by_value
      - .offset:         72
        .size:           4
        .value_kind:     by_value
      - .offset:         76
        .size:           4
        .value_kind:     by_value
      - .offset:         80
        .size:           4
        .value_kind:     by_value
      - .offset:         84
        .size:           4
        .value_kind:     by_value
      - .offset:         88
        .size:           4
        .value_kind:     by_value
      - .offset:         92
        .size:           12
        .value_kind:     by_value
      - .offset:         104
        .size:           4
        .value_kind:     by_value
      - .offset:         108
        .size:           4
        .value_kind:     by_value
      - .offset:         112
        .size:           4
        .value_kind:     by_value
      - .offset:         116
        .size:           4
        .value_kind:     by_value
      - .offset:         120
        .size:           4
        .value_kind:     by_value
      - .offset:         124
        .size:           4
        .value_kind:     by_value
      - .offset:         128
        .size:           4
        .value_kind:     by_value
      - .offset:         132
        .size:           4
        .value_kind:     by_value
      - .offset:         136
        .size:           4
        .value_kind:     by_value
      - .offset:         140
        .size:           4
        .value_kind:     by_value
      - .offset:         144
        .size:           4
        .value_kind:     by_value
      - .offset:         152
        .size:           8
        .value_kind:     by_value
      - .offset:         160
        .size:           4
        .value_kind:     by_value
      - .offset:         164
        .size:           4
        .value_kind:     by_value
      - .offset:         168
        .size:           8
        .value_kind:     by_value
      - .offset:         176
        .size:           4
        .value_kind:     by_value
      - .offset:         180
        .size:           4
        .value_kind:     by_value
      - .offset:         184
        .size:           4
        .value_kind:     by_value
      - .offset:         188
        .size:           4
        .value_kind:     by_value
      - .offset:         192
        .size:           4
        .value_kind:     by_value
      - .offset:         200
        .size:           8
        .value_kind:     by_value
      - .offset:         208
        .size:           4
        .value_kind:     hidden_block_count_x
      - .offset:         212
        .size:           4
        .value_kind:     hidden_block_count_y
      - .offset:         216
        .size:           4
        .value_kind:     hidden_block_count_z
      - .offset:         220
        .size:           2
        .value_kind:     hidden_group_size_x
      - .offset:         222
        .size:           2
        .value_kind:     hidden_group_size_y
      - .offset:         224
        .size:           2
        .value_kind:     hidden_group_size_z
      - .offset:         226
        .size:           2
        .value_kind:     hidden_remainder_x
      - .offset:         228
        .size:           2
        .value_kind:     hidden_remainder_y
      - .offset:         230
        .size:           2
        .value_kind:     hidden_remainder_z
      - .offset:         248
        .size:           8
        .value_kind:     hidden_global_offset_x
      - .offset:         256
        .size:           8
        .value_kind:     hidden_global_offset_y
      - .offset:         264
        .size:           8
        .value_kind:     hidden_global_offset_z
      - .offset:         272
        .size:           2
        .value_kind:     hidden_grid_dims
    .group_segment_fixed_size: 24576
    .kernarg_segment_align: 8
    .kernarg_segment_size: 464
    .language:       OpenCL C
    .language_version:
      - 2
      - 0
    .max_flat_workgroup_size: 256
    .name:           _ZL15flash_attn_tileILi64ELi64ELi2ELi8ELb0EEvPKcS1_S1_S1_S1_PKiPfP15HIP_vector_typeIfLj2EEffffjfiS5_IjLj3EEiiiiiiiiiiiliiliiiiil
    .private_segment_fixed_size: 0
    .sgpr_count:     71
    .sgpr_spill_count: 0
    .symbol:         _ZL15flash_attn_tileILi64ELi64ELi2ELi8ELb0EEvPKcS1_S1_S1_S1_PKiPfP15HIP_vector_typeIfLj2EEffffjfiS5_IjLj3EEiiiiiiiiiiiliiliiiiil.kd
    .uniform_work_group_size: 1
    .uses_dynamic_stack: false
    .vgpr_count:     250
    .vgpr_spill_count: 0
    .wavefront_size: 64
  - .agpr_count:     0
    .args:
      - .actual_access:  read_only
        .address_space:  global
        .offset:         0
        .size:           8
        .value_kind:     global_buffer
      - .actual_access:  write_only
        .address_space:  global
        .offset:         8
        .size:           8
        .value_kind:     global_buffer
      - .offset:         16
        .size:           4
        .value_kind:     by_value
      - .offset:         20
        .size:           4
        .value_kind:     by_value
      - .offset:         24
        .size:           4
        .value_kind:     by_value
      - .offset:         32
        .size:           4
        .value_kind:     hidden_block_count_x
      - .offset:         36
        .size:           4
        .value_kind:     hidden_block_count_y
      - .offset:         40
        .size:           4
        .value_kind:     hidden_block_count_z
      - .offset:         44
        .size:           2
        .value_kind:     hidden_group_size_x
      - .offset:         46
        .size:           2
        .value_kind:     hidden_group_size_y
      - .offset:         48
        .size:           2
        .value_kind:     hidden_group_size_z
      - .offset:         50
        .size:           2
        .value_kind:     hidden_remainder_x
      - .offset:         52
        .size:           2
        .value_kind:     hidden_remainder_y
      - .offset:         54
        .size:           2
        .value_kind:     hidden_remainder_z
      - .offset:         72
        .size:           8
        .value_kind:     hidden_global_offset_x
      - .offset:         80
        .size:           8
        .value_kind:     hidden_global_offset_y
      - .offset:         88
        .size:           8
        .value_kind:     hidden_global_offset_z
      - .offset:         96
        .size:           2
        .value_kind:     hidden_grid_dims
    .group_segment_fixed_size: 128
    .kernarg_segment_align: 8
    .kernarg_segment_size: 288
    .language:       OpenCL C
    .language_version:
      - 2
      - 0
    .max_flat_workgroup_size: 128
    .name:           _ZL25flash_attn_mask_to_KV_maxILi2EEvPK7__half2Piiii
    .private_segment_fixed_size: 0
    .sgpr_count:     30
    .sgpr_spill_count: 0
    .symbol:         _ZL25flash_attn_mask_to_KV_maxILi2EEvPK7__half2Piiii.kd
    .uniform_work_group_size: 1
    .uses_dynamic_stack: false
    .vgpr_count:     17
    .vgpr_spill_count: 0
    .wavefront_size: 64
  - .agpr_count:     0
    .args:
      - .address_space:  global
        .offset:         0
        .size:           8
        .value_kind:     global_buffer
      - .address_space:  global
        .offset:         8
        .size:           8
        .value_kind:     global_buffer
      - .offset:         16
        .size:           4
        .value_kind:     by_value
      - .offset:         20
        .size:           4
        .value_kind:     by_value
      - .offset:         24
        .size:           4
        .value_kind:     by_value
      - .offset:         28
        .size:           4
        .value_kind:     by_value
      - .offset:         32
        .size:           4
        .value_kind:     by_value
      - .offset:         36
        .size:           4
        .value_kind:     by_value
      - .offset:         40
        .size:           12
        .value_kind:     by_value
      - .offset:         52
        .size:           12
        .value_kind:     by_value
      - .offset:         64
        .size:           12
        .value_kind:     by_value
    .group_segment_fixed_size: 0
    .kernarg_segment_align: 8
    .kernarg_segment_size: 76
    .language:       OpenCL C
    .language_version:
      - 2
      - 0
    .max_flat_workgroup_size: 64
    .name:           _ZL33flash_attn_stream_k_fixup_uniformILi64ELi2ELi8EEvPfPK15HIP_vector_typeIfLj2EEiiiiiiS1_IjLj3EES5_S5_
    .private_segment_fixed_size: 0
    .sgpr_count:     24
    .sgpr_spill_count: 0
    .symbol:         _ZL33flash_attn_stream_k_fixup_uniformILi64ELi2ELi8EEvPfPK15HIP_vector_typeIfLj2EEiiiiiiS1_IjLj3EES5_S5_.kd
    .uniform_work_group_size: 1
    .uses_dynamic_stack: false
    .vgpr_count:     17
    .vgpr_spill_count: 0
    .wavefront_size: 64
  - .agpr_count:     0
    .args:
      - .address_space:  global
        .offset:         0
        .size:           8
        .value_kind:     global_buffer
      - .address_space:  global
        .offset:         8
        .size:           8
        .value_kind:     global_buffer
      - .offset:         16
        .size:           4
        .value_kind:     by_value
      - .offset:         20
        .size:           4
        .value_kind:     by_value
      - .offset:         24
        .size:           4
        .value_kind:     by_value
      - .offset:         28
        .size:           4
        .value_kind:     by_value
      - .offset:         32
        .size:           12
        .value_kind:     by_value
      - .offset:         44
        .size:           12
        .value_kind:     by_value
      - .offset:         56
        .size:           12
        .value_kind:     by_value
      - .offset:         68
        .size:           12
        .value_kind:     by_value
      - .offset:         80
        .size:           4
        .value_kind:     hidden_block_count_x
      - .offset:         84
        .size:           4
        .value_kind:     hidden_block_count_y
      - .offset:         88
        .size:           4
        .value_kind:     hidden_block_count_z
      - .offset:         92
        .size:           2
        .value_kind:     hidden_group_size_x
      - .offset:         94
        .size:           2
        .value_kind:     hidden_group_size_y
      - .offset:         96
        .size:           2
        .value_kind:     hidden_group_size_z
      - .offset:         98
        .size:           2
        .value_kind:     hidden_remainder_x
      - .offset:         100
        .size:           2
        .value_kind:     hidden_remainder_y
      - .offset:         102
        .size:           2
        .value_kind:     hidden_remainder_z
      - .offset:         120
        .size:           8
        .value_kind:     hidden_global_offset_x
      - .offset:         128
        .size:           8
        .value_kind:     hidden_global_offset_y
      - .offset:         136
        .size:           8
        .value_kind:     hidden_global_offset_z
      - .offset:         144
        .size:           2
        .value_kind:     hidden_grid_dims
    .group_segment_fixed_size: 0
    .kernarg_segment_align: 8
    .kernarg_segment_size: 336
    .language:       OpenCL C
    .language_version:
      - 2
      - 0
    .max_flat_workgroup_size: 64
    .name:           _ZL33flash_attn_stream_k_fixup_generalILi64ELi2ELi8EEvPfPK15HIP_vector_typeIfLj2EEiiiiS1_IjLj3EES5_S5_S5_
    .private_segment_fixed_size: 0
    .sgpr_count:     36
    .sgpr_spill_count: 0
    .symbol:         _ZL33flash_attn_stream_k_fixup_generalILi64ELi2ELi8EEvPfPK15HIP_vector_typeIfLj2EEiiiiS1_IjLj3EES5_S5_S5_.kd
    .uniform_work_group_size: 1
    .uses_dynamic_stack: false
    .vgpr_count:     22
    .vgpr_spill_count: 0
    .wavefront_size: 64
  - .agpr_count:     0
    .args:
      - .address_space:  global
        .offset:         0
        .size:           8
        .value_kind:     global_buffer
      - .address_space:  global
        .offset:         8
        .size:           8
        .value_kind:     global_buffer
      - .address_space:  global
        .offset:         16
        .size:           8
        .value_kind:     global_buffer
      - .address_space:  global
        .offset:         24
        .size:           8
        .value_kind:     global_buffer
      - .address_space:  global
        .offset:         32
        .size:           8
        .value_kind:     global_buffer
      - .address_space:  global
        .offset:         40
        .size:           8
        .value_kind:     global_buffer
      - .address_space:  global
        .offset:         48
        .size:           8
        .value_kind:     global_buffer
      - .address_space:  global
        .offset:         56
        .size:           8
        .value_kind:     global_buffer
      - .offset:         64
        .size:           4
        .value_kind:     by_value
      - .offset:         68
        .size:           4
        .value_kind:     by_value
      - .offset:         72
        .size:           4
        .value_kind:     by_value
      - .offset:         76
        .size:           4
        .value_kind:     by_value
      - .offset:         80
        .size:           4
        .value_kind:     by_value
      - .offset:         84
        .size:           4
        .value_kind:     by_value
      - .offset:         88
        .size:           4
        .value_kind:     by_value
      - .offset:         92
        .size:           12
        .value_kind:     by_value
      - .offset:         104
        .size:           4
        .value_kind:     by_value
      - .offset:         108
        .size:           4
        .value_kind:     by_value
      - .offset:         112
        .size:           4
        .value_kind:     by_value
      - .offset:         116
        .size:           4
        .value_kind:     by_value
      - .offset:         120
        .size:           4
        .value_kind:     by_value
      - .offset:         124
        .size:           4
        .value_kind:     by_value
      - .offset:         128
        .size:           4
        .value_kind:     by_value
      - .offset:         132
        .size:           4
        .value_kind:     by_value
      - .offset:         136
        .size:           4
        .value_kind:     by_value
      - .offset:         140
        .size:           4
        .value_kind:     by_value
      - .offset:         144
        .size:           4
        .value_kind:     by_value
      - .offset:         152
        .size:           8
        .value_kind:     by_value
      - .offset:         160
        .size:           4
        .value_kind:     by_value
      - .offset:         164
        .size:           4
        .value_kind:     by_value
      - .offset:         168
        .size:           8
        .value_kind:     by_value
      - .offset:         176
        .size:           4
        .value_kind:     by_value
      - .offset:         180
        .size:           4
        .value_kind:     by_value
      - .offset:         184
        .size:           4
        .value_kind:     by_value
      - .offset:         188
        .size:           4
        .value_kind:     by_value
      - .offset:         192
        .size:           4
        .value_kind:     by_value
      - .offset:         200
        .size:           8
        .value_kind:     by_value
      - .offset:         208
        .size:           4
        .value_kind:     hidden_block_count_x
      - .offset:         212
        .size:           4
        .value_kind:     hidden_block_count_y
      - .offset:         216
        .size:           4
        .value_kind:     hidden_block_count_z
      - .offset:         220
        .size:           2
        .value_kind:     hidden_group_size_x
      - .offset:         222
        .size:           2
        .value_kind:     hidden_group_size_y
      - .offset:         224
        .size:           2
        .value_kind:     hidden_group_size_z
      - .offset:         226
        .size:           2
        .value_kind:     hidden_remainder_x
      - .offset:         228
        .size:           2
        .value_kind:     hidden_remainder_y
      - .offset:         230
        .size:           2
        .value_kind:     hidden_remainder_z
      - .offset:         248
        .size:           8
        .value_kind:     hidden_global_offset_x
      - .offset:         256
        .size:           8
        .value_kind:     hidden_global_offset_y
      - .offset:         264
        .size:           8
        .value_kind:     hidden_global_offset_z
      - .offset:         272
        .size:           2
        .value_kind:     hidden_grid_dims
    .group_segment_fixed_size: 6144
    .kernarg_segment_align: 8
    .kernarg_segment_size: 464
    .language:       OpenCL C
    .language_version:
      - 2
      - 0
    .max_flat_workgroup_size: 128
    .name:           _ZL15flash_attn_tileILi64ELi64ELi1ELi8ELb0EEvPKcS1_S1_S1_S1_PKiPfP15HIP_vector_typeIfLj2EEffffjfiS5_IjLj3EEiiiiiiiiiiiliiliiiiil
    .private_segment_fixed_size: 0
    .sgpr_count:     48
    .sgpr_spill_count: 0
    .symbol:         _ZL15flash_attn_tileILi64ELi64ELi1ELi8ELb0EEvPKcS1_S1_S1_S1_PKiPfP15HIP_vector_typeIfLj2EEffffjfiS5_IjLj3EEiiiiiiiiiiiliiliiiiil.kd
    .uniform_work_group_size: 1
    .uses_dynamic_stack: false
    .vgpr_count:     90
    .vgpr_spill_count: 0
    .wavefront_size: 64
  - .agpr_count:     0
    .args:
      - .actual_access:  read_only
        .address_space:  global
        .offset:         0
        .size:           8
        .value_kind:     global_buffer
      - .actual_access:  write_only
        .address_space:  global
        .offset:         8
        .size:           8
        .value_kind:     global_buffer
      - .offset:         16
        .size:           4
        .value_kind:     by_value
      - .offset:         20
        .size:           4
        .value_kind:     by_value
      - .offset:         24
        .size:           4
        .value_kind:     by_value
      - .offset:         32
        .size:           4
        .value_kind:     hidden_block_count_x
      - .offset:         36
        .size:           4
        .value_kind:     hidden_block_count_y
      - .offset:         40
        .size:           4
        .value_kind:     hidden_block_count_z
      - .offset:         44
        .size:           2
        .value_kind:     hidden_group_size_x
      - .offset:         46
        .size:           2
        .value_kind:     hidden_group_size_y
      - .offset:         48
        .size:           2
        .value_kind:     hidden_group_size_z
      - .offset:         50
        .size:           2
        .value_kind:     hidden_remainder_x
      - .offset:         52
        .size:           2
        .value_kind:     hidden_remainder_y
      - .offset:         54
        .size:           2
        .value_kind:     hidden_remainder_z
      - .offset:         72
        .size:           8
        .value_kind:     hidden_global_offset_x
      - .offset:         80
        .size:           8
        .value_kind:     hidden_global_offset_y
      - .offset:         88
        .size:           8
        .value_kind:     hidden_global_offset_z
      - .offset:         96
        .size:           2
        .value_kind:     hidden_grid_dims
    .group_segment_fixed_size: 128
    .kernarg_segment_align: 8
    .kernarg_segment_size: 288
    .language:       OpenCL C
    .language_version:
      - 2
      - 0
    .max_flat_workgroup_size: 128
    .name:           _ZL25flash_attn_mask_to_KV_maxILi1EEvPK7__half2Piiii
    .private_segment_fixed_size: 0
    .sgpr_count:     24
    .sgpr_spill_count: 0
    .symbol:         _ZL25flash_attn_mask_to_KV_maxILi1EEvPK7__half2Piiii.kd
    .uniform_work_group_size: 1
    .uses_dynamic_stack: false
    .vgpr_count:     18
    .vgpr_spill_count: 0
    .wavefront_size: 64
  - .agpr_count:     0
    .args:
      - .address_space:  global
        .offset:         0
        .size:           8
        .value_kind:     global_buffer
      - .address_space:  global
        .offset:         8
        .size:           8
        .value_kind:     global_buffer
      - .offset:         16
        .size:           4
        .value_kind:     by_value
      - .offset:         20
        .size:           4
        .value_kind:     by_value
      - .offset:         24
        .size:           4
        .value_kind:     by_value
      - .offset:         28
        .size:           4
        .value_kind:     by_value
      - .offset:         32
        .size:           4
        .value_kind:     by_value
      - .offset:         36
        .size:           4
        .value_kind:     by_value
      - .offset:         40
        .size:           12
        .value_kind:     by_value
      - .offset:         52
        .size:           12
        .value_kind:     by_value
      - .offset:         64
        .size:           12
        .value_kind:     by_value
    .group_segment_fixed_size: 0
    .kernarg_segment_align: 8
    .kernarg_segment_size: 76
    .language:       OpenCL C
    .language_version:
      - 2
      - 0
    .max_flat_workgroup_size: 64
    .name:           _ZL33flash_attn_stream_k_fixup_uniformILi64ELi1ELi8EEvPfPK15HIP_vector_typeIfLj2EEiiiiiiS1_IjLj3EES5_S5_
    .private_segment_fixed_size: 0
    .sgpr_count:     24
    .sgpr_spill_count: 0
    .symbol:         _ZL33flash_attn_stream_k_fixup_uniformILi64ELi1ELi8EEvPfPK15HIP_vector_typeIfLj2EEiiiiiiS1_IjLj3EES5_S5_.kd
    .uniform_work_group_size: 1
    .uses_dynamic_stack: false
    .vgpr_count:     17
    .vgpr_spill_count: 0
    .wavefront_size: 64
  - .agpr_count:     0
    .args:
      - .address_space:  global
        .offset:         0
        .size:           8
        .value_kind:     global_buffer
      - .address_space:  global
        .offset:         8
        .size:           8
        .value_kind:     global_buffer
      - .offset:         16
        .size:           4
        .value_kind:     by_value
      - .offset:         20
        .size:           4
        .value_kind:     by_value
      - .offset:         24
        .size:           4
        .value_kind:     by_value
      - .offset:         28
        .size:           4
        .value_kind:     by_value
      - .offset:         32
        .size:           12
        .value_kind:     by_value
      - .offset:         44
        .size:           12
        .value_kind:     by_value
      - .offset:         56
        .size:           12
        .value_kind:     by_value
      - .offset:         68
        .size:           12
        .value_kind:     by_value
      - .offset:         80
        .size:           4
        .value_kind:     hidden_block_count_x
      - .offset:         84
        .size:           4
        .value_kind:     hidden_block_count_y
      - .offset:         88
        .size:           4
        .value_kind:     hidden_block_count_z
      - .offset:         92
        .size:           2
        .value_kind:     hidden_group_size_x
      - .offset:         94
        .size:           2
        .value_kind:     hidden_group_size_y
      - .offset:         96
        .size:           2
        .value_kind:     hidden_group_size_z
      - .offset:         98
        .size:           2
        .value_kind:     hidden_remainder_x
      - .offset:         100
        .size:           2
        .value_kind:     hidden_remainder_y
      - .offset:         102
        .size:           2
        .value_kind:     hidden_remainder_z
      - .offset:         120
        .size:           8
        .value_kind:     hidden_global_offset_x
      - .offset:         128
        .size:           8
        .value_kind:     hidden_global_offset_y
      - .offset:         136
        .size:           8
        .value_kind:     hidden_global_offset_z
      - .offset:         144
        .size:           2
        .value_kind:     hidden_grid_dims
    .group_segment_fixed_size: 0
    .kernarg_segment_align: 8
    .kernarg_segment_size: 336
    .language:       OpenCL C
    .language_version:
      - 2
      - 0
    .max_flat_workgroup_size: 64
    .name:           _ZL33flash_attn_stream_k_fixup_generalILi64ELi1ELi8EEvPfPK15HIP_vector_typeIfLj2EEiiiiS1_IjLj3EES5_S5_S5_
    .private_segment_fixed_size: 0
    .sgpr_count:     36
    .sgpr_spill_count: 0
    .symbol:         _ZL33flash_attn_stream_k_fixup_generalILi64ELi1ELi8EEvPfPK15HIP_vector_typeIfLj2EEiiiiS1_IjLj3EES5_S5_S5_.kd
    .uniform_work_group_size: 1
    .uses_dynamic_stack: false
    .vgpr_count:     22
    .vgpr_spill_count: 0
    .wavefront_size: 64
  - .agpr_count:     0
    .args:
      - .address_space:  global
        .offset:         0
        .size:           8
        .value_kind:     global_buffer
      - .address_space:  global
        .offset:         8
        .size:           8
        .value_kind:     global_buffer
      - .address_space:  global
        .offset:         16
        .size:           8
        .value_kind:     global_buffer
      - .address_space:  global
        .offset:         24
        .size:           8
        .value_kind:     global_buffer
      - .address_space:  global
        .offset:         32
        .size:           8
        .value_kind:     global_buffer
      - .address_space:  global
        .offset:         40
        .size:           8
        .value_kind:     global_buffer
      - .address_space:  global
        .offset:         48
        .size:           8
        .value_kind:     global_buffer
      - .address_space:  global
        .offset:         56
        .size:           8
        .value_kind:     global_buffer
      - .offset:         64
        .size:           4
        .value_kind:     by_value
      - .offset:         68
        .size:           4
        .value_kind:     by_value
      - .offset:         72
        .size:           4
        .value_kind:     by_value
      - .offset:         76
        .size:           4
        .value_kind:     by_value
      - .offset:         80
        .size:           4
        .value_kind:     by_value
      - .offset:         84
        .size:           4
        .value_kind:     by_value
      - .offset:         88
        .size:           4
        .value_kind:     by_value
      - .offset:         92
        .size:           12
        .value_kind:     by_value
      - .offset:         104
        .size:           4
        .value_kind:     by_value
      - .offset:         108
        .size:           4
        .value_kind:     by_value
      - .offset:         112
        .size:           4
        .value_kind:     by_value
      - .offset:         116
        .size:           4
        .value_kind:     by_value
      - .offset:         120
        .size:           4
        .value_kind:     by_value
      - .offset:         124
        .size:           4
        .value_kind:     by_value
      - .offset:         128
        .size:           4
        .value_kind:     by_value
      - .offset:         132
        .size:           4
        .value_kind:     by_value
      - .offset:         136
        .size:           4
        .value_kind:     by_value
      - .offset:         140
        .size:           4
        .value_kind:     by_value
      - .offset:         144
        .size:           4
        .value_kind:     by_value
      - .offset:         152
        .size:           8
        .value_kind:     by_value
      - .offset:         160
        .size:           4
        .value_kind:     by_value
      - .offset:         164
        .size:           4
        .value_kind:     by_value
      - .offset:         168
        .size:           8
        .value_kind:     by_value
      - .offset:         176
        .size:           4
        .value_kind:     by_value
      - .offset:         180
        .size:           4
        .value_kind:     by_value
      - .offset:         184
        .size:           4
        .value_kind:     by_value
      - .offset:         188
        .size:           4
        .value_kind:     by_value
      - .offset:         192
        .size:           4
        .value_kind:     by_value
      - .offset:         200
        .size:           8
        .value_kind:     by_value
      - .offset:         208
        .size:           4
        .value_kind:     hidden_block_count_x
      - .offset:         212
        .size:           4
        .value_kind:     hidden_block_count_y
      - .offset:         216
        .size:           4
        .value_kind:     hidden_block_count_z
      - .offset:         220
        .size:           2
        .value_kind:     hidden_group_size_x
      - .offset:         222
        .size:           2
        .value_kind:     hidden_group_size_y
      - .offset:         224
        .size:           2
        .value_kind:     hidden_group_size_z
      - .offset:         226
        .size:           2
        .value_kind:     hidden_remainder_x
      - .offset:         228
        .size:           2
        .value_kind:     hidden_remainder_y
      - .offset:         230
        .size:           2
        .value_kind:     hidden_remainder_z
      - .offset:         248
        .size:           8
        .value_kind:     hidden_global_offset_x
      - .offset:         256
        .size:           8
        .value_kind:     hidden_global_offset_y
      - .offset:         264
        .size:           8
        .value_kind:     hidden_global_offset_z
      - .offset:         272
        .size:           2
        .value_kind:     hidden_grid_dims
    .group_segment_fixed_size: 25600
    .kernarg_segment_align: 8
    .kernarg_segment_size: 464
    .language:       OpenCL C
    .language_version:
      - 2
      - 0
    .max_flat_workgroup_size: 256
    .name:           _ZL15flash_attn_tileILi64ELi64ELi16ELi4ELb0EEvPKcS1_S1_S1_S1_PKiPfP15HIP_vector_typeIfLj2EEffffjfiS5_IjLj3EEiiiiiiiiiiiliiliiiiil
    .private_segment_fixed_size: 0
    .sgpr_count:     46
    .sgpr_spill_count: 0
    .symbol:         _ZL15flash_attn_tileILi64ELi64ELi16ELi4ELb0EEvPKcS1_S1_S1_S1_PKiPfP15HIP_vector_typeIfLj2EEffffjfiS5_IjLj3EEiiiiiiiiiiiliiliiiiil.kd
    .uniform_work_group_size: 1
    .uses_dynamic_stack: false
    .vgpr_count:     136
    .vgpr_spill_count: 0
    .wavefront_size: 64
  - .agpr_count:     0
    .args:
      - .actual_access:  read_only
        .address_space:  global
        .offset:         0
        .size:           8
        .value_kind:     global_buffer
      - .actual_access:  write_only
        .address_space:  global
        .offset:         8
        .size:           8
        .value_kind:     global_buffer
      - .offset:         16
        .size:           4
        .value_kind:     by_value
      - .offset:         20
        .size:           4
        .value_kind:     by_value
      - .offset:         24
        .size:           4
        .value_kind:     by_value
      - .offset:         32
        .size:           4
        .value_kind:     hidden_block_count_x
      - .offset:         36
        .size:           4
        .value_kind:     hidden_block_count_y
      - .offset:         40
        .size:           4
        .value_kind:     hidden_block_count_z
      - .offset:         44
        .size:           2
        .value_kind:     hidden_group_size_x
      - .offset:         46
        .size:           2
        .value_kind:     hidden_group_size_y
      - .offset:         48
        .size:           2
        .value_kind:     hidden_group_size_z
      - .offset:         50
        .size:           2
        .value_kind:     hidden_remainder_x
      - .offset:         52
        .size:           2
        .value_kind:     hidden_remainder_y
      - .offset:         54
        .size:           2
        .value_kind:     hidden_remainder_z
      - .offset:         72
        .size:           8
        .value_kind:     hidden_global_offset_x
      - .offset:         80
        .size:           8
        .value_kind:     hidden_global_offset_y
      - .offset:         88
        .size:           8
        .value_kind:     hidden_global_offset_z
      - .offset:         96
        .size:           2
        .value_kind:     hidden_grid_dims
    .group_segment_fixed_size: 128
    .kernarg_segment_align: 8
    .kernarg_segment_size: 288
    .language:       OpenCL C
    .language_version:
      - 2
      - 0
    .max_flat_workgroup_size: 128
    .name:           _ZL25flash_attn_mask_to_KV_maxILi16EEvPK7__half2Piiii
    .private_segment_fixed_size: 0
    .sgpr_count:     86
    .sgpr_spill_count: 0
    .symbol:         _ZL25flash_attn_mask_to_KV_maxILi16EEvPK7__half2Piiii.kd
    .uniform_work_group_size: 1
    .uses_dynamic_stack: false
    .vgpr_count:     12
    .vgpr_spill_count: 0
    .wavefront_size: 64
  - .agpr_count:     0
    .args:
      - .address_space:  global
        .offset:         0
        .size:           8
        .value_kind:     global_buffer
      - .address_space:  global
        .offset:         8
        .size:           8
        .value_kind:     global_buffer
      - .offset:         16
        .size:           4
        .value_kind:     by_value
      - .offset:         20
        .size:           4
        .value_kind:     by_value
      - .offset:         24
        .size:           4
        .value_kind:     by_value
      - .offset:         28
        .size:           4
        .value_kind:     by_value
      - .offset:         32
        .size:           4
        .value_kind:     by_value
      - .offset:         36
        .size:           4
        .value_kind:     by_value
      - .offset:         40
        .size:           12
        .value_kind:     by_value
      - .offset:         52
        .size:           12
        .value_kind:     by_value
      - .offset:         64
        .size:           12
        .value_kind:     by_value
    .group_segment_fixed_size: 0
    .kernarg_segment_align: 8
    .kernarg_segment_size: 76
    .language:       OpenCL C
    .language_version:
      - 2
      - 0
    .max_flat_workgroup_size: 64
    .name:           _ZL33flash_attn_stream_k_fixup_uniformILi64ELi16ELi4EEvPfPK15HIP_vector_typeIfLj2EEiiiiiiS1_IjLj3EES5_S5_
    .private_segment_fixed_size: 0
    .sgpr_count:     24
    .sgpr_spill_count: 0
    .symbol:         _ZL33flash_attn_stream_k_fixup_uniformILi64ELi16ELi4EEvPfPK15HIP_vector_typeIfLj2EEiiiiiiS1_IjLj3EES5_S5_.kd
    .uniform_work_group_size: 1
    .uses_dynamic_stack: false
    .vgpr_count:     17
    .vgpr_spill_count: 0
    .wavefront_size: 64
  - .agpr_count:     0
    .args:
      - .address_space:  global
        .offset:         0
        .size:           8
        .value_kind:     global_buffer
      - .address_space:  global
        .offset:         8
        .size:           8
        .value_kind:     global_buffer
      - .offset:         16
        .size:           4
        .value_kind:     by_value
      - .offset:         20
        .size:           4
        .value_kind:     by_value
      - .offset:         24
        .size:           4
        .value_kind:     by_value
      - .offset:         28
        .size:           4
        .value_kind:     by_value
      - .offset:         32
        .size:           12
        .value_kind:     by_value
      - .offset:         44
        .size:           12
        .value_kind:     by_value
      - .offset:         56
        .size:           12
        .value_kind:     by_value
      - .offset:         68
        .size:           12
        .value_kind:     by_value
      - .offset:         80
        .size:           4
        .value_kind:     hidden_block_count_x
      - .offset:         84
        .size:           4
        .value_kind:     hidden_block_count_y
      - .offset:         88
        .size:           4
        .value_kind:     hidden_block_count_z
      - .offset:         92
        .size:           2
        .value_kind:     hidden_group_size_x
      - .offset:         94
        .size:           2
        .value_kind:     hidden_group_size_y
      - .offset:         96
        .size:           2
        .value_kind:     hidden_group_size_z
      - .offset:         98
        .size:           2
        .value_kind:     hidden_remainder_x
      - .offset:         100
        .size:           2
        .value_kind:     hidden_remainder_y
      - .offset:         102
        .size:           2
        .value_kind:     hidden_remainder_z
      - .offset:         120
        .size:           8
        .value_kind:     hidden_global_offset_x
      - .offset:         128
        .size:           8
        .value_kind:     hidden_global_offset_y
      - .offset:         136
        .size:           8
        .value_kind:     hidden_global_offset_z
      - .offset:         144
        .size:           2
        .value_kind:     hidden_grid_dims
    .group_segment_fixed_size: 0
    .kernarg_segment_align: 8
    .kernarg_segment_size: 336
    .language:       OpenCL C
    .language_version:
      - 2
      - 0
    .max_flat_workgroup_size: 64
    .name:           _ZL33flash_attn_stream_k_fixup_generalILi64ELi16ELi4EEvPfPK15HIP_vector_typeIfLj2EEiiiiS1_IjLj3EES5_S5_S5_
    .private_segment_fixed_size: 0
    .sgpr_count:     36
    .sgpr_spill_count: 0
    .symbol:         _ZL33flash_attn_stream_k_fixup_generalILi64ELi16ELi4EEvPfPK15HIP_vector_typeIfLj2EEiiiiS1_IjLj3EES5_S5_S5_.kd
    .uniform_work_group_size: 1
    .uses_dynamic_stack: false
    .vgpr_count:     22
    .vgpr_spill_count: 0
    .wavefront_size: 64
  - .agpr_count:     0
    .args:
      - .address_space:  global
        .offset:         0
        .size:           8
        .value_kind:     global_buffer
      - .address_space:  global
        .offset:         8
        .size:           8
        .value_kind:     global_buffer
      - .address_space:  global
        .offset:         16
        .size:           8
        .value_kind:     global_buffer
      - .address_space:  global
        .offset:         24
        .size:           8
        .value_kind:     global_buffer
      - .address_space:  global
        .offset:         32
        .size:           8
        .value_kind:     global_buffer
      - .address_space:  global
        .offset:         40
        .size:           8
        .value_kind:     global_buffer
      - .address_space:  global
        .offset:         48
        .size:           8
        .value_kind:     global_buffer
      - .address_space:  global
        .offset:         56
        .size:           8
        .value_kind:     global_buffer
      - .offset:         64
        .size:           4
        .value_kind:     by_value
      - .offset:         68
        .size:           4
        .value_kind:     by_value
      - .offset:         72
        .size:           4
        .value_kind:     by_value
      - .offset:         76
        .size:           4
        .value_kind:     by_value
      - .offset:         80
        .size:           4
        .value_kind:     by_value
      - .offset:         84
        .size:           4
        .value_kind:     by_value
      - .offset:         88
        .size:           4
        .value_kind:     by_value
      - .offset:         92
        .size:           12
        .value_kind:     by_value
      - .offset:         104
        .size:           4
        .value_kind:     by_value
      - .offset:         108
        .size:           4
        .value_kind:     by_value
      - .offset:         112
        .size:           4
        .value_kind:     by_value
      - .offset:         116
        .size:           4
        .value_kind:     by_value
      - .offset:         120
        .size:           4
        .value_kind:     by_value
      - .offset:         124
        .size:           4
        .value_kind:     by_value
      - .offset:         128
        .size:           4
        .value_kind:     by_value
      - .offset:         132
        .size:           4
        .value_kind:     by_value
      - .offset:         136
        .size:           4
        .value_kind:     by_value
      - .offset:         140
        .size:           4
        .value_kind:     by_value
      - .offset:         144
        .size:           4
        .value_kind:     by_value
      - .offset:         152
        .size:           8
        .value_kind:     by_value
      - .offset:         160
        .size:           4
        .value_kind:     by_value
      - .offset:         164
        .size:           4
        .value_kind:     by_value
      - .offset:         168
        .size:           8
        .value_kind:     by_value
      - .offset:         176
        .size:           4
        .value_kind:     by_value
      - .offset:         180
        .size:           4
        .value_kind:     by_value
      - .offset:         184
        .size:           4
        .value_kind:     by_value
      - .offset:         188
        .size:           4
        .value_kind:     by_value
      - .offset:         192
        .size:           4
        .value_kind:     by_value
      - .offset:         200
        .size:           8
        .value_kind:     by_value
      - .offset:         208
        .size:           4
        .value_kind:     hidden_block_count_x
      - .offset:         212
        .size:           4
        .value_kind:     hidden_block_count_y
      - .offset:         216
        .size:           4
        .value_kind:     hidden_block_count_z
      - .offset:         220
        .size:           2
        .value_kind:     hidden_group_size_x
      - .offset:         222
        .size:           2
        .value_kind:     hidden_group_size_y
      - .offset:         224
        .size:           2
        .value_kind:     hidden_group_size_z
      - .offset:         226
        .size:           2
        .value_kind:     hidden_remainder_x
      - .offset:         228
        .size:           2
        .value_kind:     hidden_remainder_y
      - .offset:         230
        .size:           2
        .value_kind:     hidden_remainder_z
      - .offset:         248
        .size:           8
        .value_kind:     hidden_global_offset_x
      - .offset:         256
        .size:           8
        .value_kind:     hidden_global_offset_y
      - .offset:         264
        .size:           8
        .value_kind:     hidden_global_offset_z
      - .offset:         272
        .size:           2
        .value_kind:     hidden_grid_dims
    .group_segment_fixed_size: 17408
    .kernarg_segment_align: 8
    .kernarg_segment_size: 464
    .language:       OpenCL C
    .language_version:
      - 2
      - 0
    .max_flat_workgroup_size: 256
    .name:           _ZL15flash_attn_tileILi64ELi64ELi8ELi4ELb0EEvPKcS1_S1_S1_S1_PKiPfP15HIP_vector_typeIfLj2EEffffjfiS5_IjLj3EEiiiiiiiiiiiliiliiiiil
    .private_segment_fixed_size: 0
    .sgpr_count:     79
    .sgpr_spill_count: 0
    .symbol:         _ZL15flash_attn_tileILi64ELi64ELi8ELi4ELb0EEvPKcS1_S1_S1_S1_PKiPfP15HIP_vector_typeIfLj2EEffffjfiS5_IjLj3EEiiiiiiiiiiiliiliiiiil.kd
    .uniform_work_group_size: 1
    .uses_dynamic_stack: false
    .vgpr_count:     157
    .vgpr_spill_count: 0
    .wavefront_size: 64
  - .agpr_count:     0
    .args:
      - .address_space:  global
        .offset:         0
        .size:           8
        .value_kind:     global_buffer
      - .address_space:  global
        .offset:         8
        .size:           8
        .value_kind:     global_buffer
      - .offset:         16
        .size:           4
        .value_kind:     by_value
      - .offset:         20
        .size:           4
        .value_kind:     by_value
      - .offset:         24
        .size:           4
        .value_kind:     by_value
      - .offset:         28
        .size:           4
        .value_kind:     by_value
      - .offset:         32
        .size:           4
        .value_kind:     by_value
      - .offset:         36
        .size:           4
        .value_kind:     by_value
      - .offset:         40
        .size:           12
        .value_kind:     by_value
      - .offset:         52
        .size:           12
        .value_kind:     by_value
      - .offset:         64
        .size:           12
        .value_kind:     by_value
    .group_segment_fixed_size: 0
    .kernarg_segment_align: 8
    .kernarg_segment_size: 76
    .language:       OpenCL C
    .language_version:
      - 2
      - 0
    .max_flat_workgroup_size: 64
    .name:           _ZL33flash_attn_stream_k_fixup_uniformILi64ELi8ELi4EEvPfPK15HIP_vector_typeIfLj2EEiiiiiiS1_IjLj3EES5_S5_
    .private_segment_fixed_size: 0
    .sgpr_count:     24
    .sgpr_spill_count: 0
    .symbol:         _ZL33flash_attn_stream_k_fixup_uniformILi64ELi8ELi4EEvPfPK15HIP_vector_typeIfLj2EEiiiiiiS1_IjLj3EES5_S5_.kd
    .uniform_work_group_size: 1
    .uses_dynamic_stack: false
    .vgpr_count:     17
    .vgpr_spill_count: 0
    .wavefront_size: 64
  - .agpr_count:     0
    .args:
      - .address_space:  global
        .offset:         0
        .size:           8
        .value_kind:     global_buffer
      - .address_space:  global
        .offset:         8
        .size:           8
        .value_kind:     global_buffer
      - .offset:         16
        .size:           4
        .value_kind:     by_value
      - .offset:         20
        .size:           4
        .value_kind:     by_value
      - .offset:         24
        .size:           4
        .value_kind:     by_value
      - .offset:         28
        .size:           4
        .value_kind:     by_value
      - .offset:         32
        .size:           12
        .value_kind:     by_value
      - .offset:         44
        .size:           12
        .value_kind:     by_value
      - .offset:         56
        .size:           12
        .value_kind:     by_value
      - .offset:         68
        .size:           12
        .value_kind:     by_value
      - .offset:         80
        .size:           4
        .value_kind:     hidden_block_count_x
      - .offset:         84
        .size:           4
        .value_kind:     hidden_block_count_y
      - .offset:         88
        .size:           4
        .value_kind:     hidden_block_count_z
      - .offset:         92
        .size:           2
        .value_kind:     hidden_group_size_x
      - .offset:         94
        .size:           2
        .value_kind:     hidden_group_size_y
      - .offset:         96
        .size:           2
        .value_kind:     hidden_group_size_z
      - .offset:         98
        .size:           2
        .value_kind:     hidden_remainder_x
      - .offset:         100
        .size:           2
        .value_kind:     hidden_remainder_y
      - .offset:         102
        .size:           2
        .value_kind:     hidden_remainder_z
      - .offset:         120
        .size:           8
        .value_kind:     hidden_global_offset_x
      - .offset:         128
        .size:           8
        .value_kind:     hidden_global_offset_y
      - .offset:         136
        .size:           8
        .value_kind:     hidden_global_offset_z
      - .offset:         144
        .size:           2
        .value_kind:     hidden_grid_dims
    .group_segment_fixed_size: 0
    .kernarg_segment_align: 8
    .kernarg_segment_size: 336
    .language:       OpenCL C
    .language_version:
      - 2
      - 0
    .max_flat_workgroup_size: 64
    .name:           _ZL33flash_attn_stream_k_fixup_generalILi64ELi8ELi4EEvPfPK15HIP_vector_typeIfLj2EEiiiiS1_IjLj3EES5_S5_S5_
    .private_segment_fixed_size: 0
    .sgpr_count:     36
    .sgpr_spill_count: 0
    .symbol:         _ZL33flash_attn_stream_k_fixup_generalILi64ELi8ELi4EEvPfPK15HIP_vector_typeIfLj2EEiiiiS1_IjLj3EES5_S5_S5_.kd
    .uniform_work_group_size: 1
    .uses_dynamic_stack: false
    .vgpr_count:     22
    .vgpr_spill_count: 0
    .wavefront_size: 64
  - .agpr_count:     0
    .args:
      - .address_space:  global
        .offset:         0
        .size:           8
        .value_kind:     global_buffer
      - .address_space:  global
        .offset:         8
        .size:           8
        .value_kind:     global_buffer
      - .address_space:  global
        .offset:         16
        .size:           8
        .value_kind:     global_buffer
      - .address_space:  global
        .offset:         24
        .size:           8
        .value_kind:     global_buffer
      - .address_space:  global
        .offset:         32
        .size:           8
        .value_kind:     global_buffer
      - .address_space:  global
        .offset:         40
        .size:           8
        .value_kind:     global_buffer
      - .address_space:  global
        .offset:         48
        .size:           8
        .value_kind:     global_buffer
      - .address_space:  global
        .offset:         56
        .size:           8
        .value_kind:     global_buffer
      - .offset:         64
        .size:           4
        .value_kind:     by_value
      - .offset:         68
        .size:           4
        .value_kind:     by_value
      - .offset:         72
        .size:           4
        .value_kind:     by_value
      - .offset:         76
        .size:           4
        .value_kind:     by_value
      - .offset:         80
        .size:           4
        .value_kind:     by_value
      - .offset:         84
        .size:           4
        .value_kind:     by_value
      - .offset:         88
        .size:           4
        .value_kind:     by_value
      - .offset:         92
        .size:           12
        .value_kind:     by_value
      - .offset:         104
        .size:           4
        .value_kind:     by_value
      - .offset:         108
        .size:           4
        .value_kind:     by_value
      - .offset:         112
        .size:           4
        .value_kind:     by_value
      - .offset:         116
        .size:           4
        .value_kind:     by_value
      - .offset:         120
        .size:           4
        .value_kind:     by_value
      - .offset:         124
        .size:           4
        .value_kind:     by_value
      - .offset:         128
        .size:           4
        .value_kind:     by_value
      - .offset:         132
        .size:           4
        .value_kind:     by_value
      - .offset:         136
        .size:           4
        .value_kind:     by_value
      - .offset:         140
        .size:           4
        .value_kind:     by_value
      - .offset:         144
        .size:           4
        .value_kind:     by_value
      - .offset:         152
        .size:           8
        .value_kind:     by_value
      - .offset:         160
        .size:           4
        .value_kind:     by_value
      - .offset:         164
        .size:           4
        .value_kind:     by_value
      - .offset:         168
        .size:           8
        .value_kind:     by_value
      - .offset:         176
        .size:           4
        .value_kind:     by_value
      - .offset:         180
        .size:           4
        .value_kind:     by_value
      - .offset:         184
        .size:           4
        .value_kind:     by_value
      - .offset:         188
        .size:           4
        .value_kind:     by_value
      - .offset:         192
        .size:           4
        .value_kind:     by_value
      - .offset:         200
        .size:           8
        .value_kind:     by_value
      - .offset:         208
        .size:           4
        .value_kind:     hidden_block_count_x
      - .offset:         212
        .size:           4
        .value_kind:     hidden_block_count_y
      - .offset:         216
        .size:           4
        .value_kind:     hidden_block_count_z
      - .offset:         220
        .size:           2
        .value_kind:     hidden_group_size_x
      - .offset:         222
        .size:           2
        .value_kind:     hidden_group_size_y
      - .offset:         224
        .size:           2
        .value_kind:     hidden_group_size_z
      - .offset:         226
        .size:           2
        .value_kind:     hidden_remainder_x
      - .offset:         228
        .size:           2
        .value_kind:     hidden_remainder_y
      - .offset:         230
        .size:           2
        .value_kind:     hidden_remainder_z
      - .offset:         248
        .size:           8
        .value_kind:     hidden_global_offset_x
      - .offset:         256
        .size:           8
        .value_kind:     hidden_global_offset_y
      - .offset:         264
        .size:           8
        .value_kind:     hidden_global_offset_z
      - .offset:         272
        .size:           2
        .value_kind:     hidden_grid_dims
    .group_segment_fixed_size: 24576
    .kernarg_segment_align: 8
    .kernarg_segment_size: 464
    .language:       OpenCL C
    .language_version:
      - 2
      - 0
    .max_flat_workgroup_size: 256
    .name:           _ZL15flash_attn_tileILi64ELi64ELi4ELi4ELb0EEvPKcS1_S1_S1_S1_PKiPfP15HIP_vector_typeIfLj2EEffffjfiS5_IjLj3EEiiiiiiiiiiiliiliiiiil
    .private_segment_fixed_size: 0
    .sgpr_count:     71
    .sgpr_spill_count: 0
    .symbol:         _ZL15flash_attn_tileILi64ELi64ELi4ELi4ELb0EEvPKcS1_S1_S1_S1_PKiPfP15HIP_vector_typeIfLj2EEffffjfiS5_IjLj3EEiiiiiiiiiiiliiliiiiil.kd
    .uniform_work_group_size: 1
    .uses_dynamic_stack: false
    .vgpr_count:     250
    .vgpr_spill_count: 0
    .wavefront_size: 64
  - .agpr_count:     0
    .args:
      - .address_space:  global
        .offset:         0
        .size:           8
        .value_kind:     global_buffer
      - .address_space:  global
        .offset:         8
        .size:           8
        .value_kind:     global_buffer
      - .offset:         16
        .size:           4
        .value_kind:     by_value
      - .offset:         20
        .size:           4
        .value_kind:     by_value
      - .offset:         24
        .size:           4
        .value_kind:     by_value
      - .offset:         28
        .size:           4
        .value_kind:     by_value
      - .offset:         32
        .size:           4
        .value_kind:     by_value
      - .offset:         36
        .size:           4
        .value_kind:     by_value
      - .offset:         40
        .size:           12
        .value_kind:     by_value
      - .offset:         52
        .size:           12
        .value_kind:     by_value
      - .offset:         64
        .size:           12
        .value_kind:     by_value
    .group_segment_fixed_size: 0
    .kernarg_segment_align: 8
    .kernarg_segment_size: 76
    .language:       OpenCL C
    .language_version:
      - 2
      - 0
    .max_flat_workgroup_size: 64
    .name:           _ZL33flash_attn_stream_k_fixup_uniformILi64ELi4ELi4EEvPfPK15HIP_vector_typeIfLj2EEiiiiiiS1_IjLj3EES5_S5_
    .private_segment_fixed_size: 0
    .sgpr_count:     24
    .sgpr_spill_count: 0
    .symbol:         _ZL33flash_attn_stream_k_fixup_uniformILi64ELi4ELi4EEvPfPK15HIP_vector_typeIfLj2EEiiiiiiS1_IjLj3EES5_S5_.kd
    .uniform_work_group_size: 1
    .uses_dynamic_stack: false
    .vgpr_count:     17
    .vgpr_spill_count: 0
    .wavefront_size: 64
  - .agpr_count:     0
    .args:
      - .address_space:  global
        .offset:         0
        .size:           8
        .value_kind:     global_buffer
      - .address_space:  global
        .offset:         8
        .size:           8
        .value_kind:     global_buffer
      - .offset:         16
        .size:           4
        .value_kind:     by_value
      - .offset:         20
        .size:           4
        .value_kind:     by_value
      - .offset:         24
        .size:           4
        .value_kind:     by_value
      - .offset:         28
        .size:           4
        .value_kind:     by_value
      - .offset:         32
        .size:           12
        .value_kind:     by_value
      - .offset:         44
        .size:           12
        .value_kind:     by_value
      - .offset:         56
        .size:           12
        .value_kind:     by_value
      - .offset:         68
        .size:           12
        .value_kind:     by_value
      - .offset:         80
        .size:           4
        .value_kind:     hidden_block_count_x
      - .offset:         84
        .size:           4
        .value_kind:     hidden_block_count_y
      - .offset:         88
        .size:           4
        .value_kind:     hidden_block_count_z
      - .offset:         92
        .size:           2
        .value_kind:     hidden_group_size_x
      - .offset:         94
        .size:           2
        .value_kind:     hidden_group_size_y
      - .offset:         96
        .size:           2
        .value_kind:     hidden_group_size_z
      - .offset:         98
        .size:           2
        .value_kind:     hidden_remainder_x
      - .offset:         100
        .size:           2
        .value_kind:     hidden_remainder_y
      - .offset:         102
        .size:           2
        .value_kind:     hidden_remainder_z
      - .offset:         120
        .size:           8
        .value_kind:     hidden_global_offset_x
      - .offset:         128
        .size:           8
        .value_kind:     hidden_global_offset_y
      - .offset:         136
        .size:           8
        .value_kind:     hidden_global_offset_z
      - .offset:         144
        .size:           2
        .value_kind:     hidden_grid_dims
    .group_segment_fixed_size: 0
    .kernarg_segment_align: 8
    .kernarg_segment_size: 336
    .language:       OpenCL C
    .language_version:
      - 2
      - 0
    .max_flat_workgroup_size: 64
    .name:           _ZL33flash_attn_stream_k_fixup_generalILi64ELi4ELi4EEvPfPK15HIP_vector_typeIfLj2EEiiiiS1_IjLj3EES5_S5_S5_
    .private_segment_fixed_size: 0
    .sgpr_count:     36
    .sgpr_spill_count: 0
    .symbol:         _ZL33flash_attn_stream_k_fixup_generalILi64ELi4ELi4EEvPfPK15HIP_vector_typeIfLj2EEiiiiS1_IjLj3EES5_S5_S5_.kd
    .uniform_work_group_size: 1
    .uses_dynamic_stack: false
    .vgpr_count:     22
    .vgpr_spill_count: 0
    .wavefront_size: 64
  - .agpr_count:     0
    .args:
      - .address_space:  global
        .offset:         0
        .size:           8
        .value_kind:     global_buffer
      - .address_space:  global
        .offset:         8
        .size:           8
        .value_kind:     global_buffer
      - .address_space:  global
        .offset:         16
        .size:           8
        .value_kind:     global_buffer
      - .address_space:  global
        .offset:         24
        .size:           8
        .value_kind:     global_buffer
      - .address_space:  global
        .offset:         32
        .size:           8
        .value_kind:     global_buffer
      - .address_space:  global
        .offset:         40
        .size:           8
        .value_kind:     global_buffer
      - .address_space:  global
        .offset:         48
        .size:           8
        .value_kind:     global_buffer
      - .address_space:  global
        .offset:         56
        .size:           8
        .value_kind:     global_buffer
      - .offset:         64
        .size:           4
        .value_kind:     by_value
      - .offset:         68
        .size:           4
        .value_kind:     by_value
      - .offset:         72
        .size:           4
        .value_kind:     by_value
      - .offset:         76
        .size:           4
        .value_kind:     by_value
      - .offset:         80
        .size:           4
        .value_kind:     by_value
      - .offset:         84
        .size:           4
        .value_kind:     by_value
      - .offset:         88
        .size:           4
        .value_kind:     by_value
      - .offset:         92
        .size:           12
        .value_kind:     by_value
      - .offset:         104
        .size:           4
        .value_kind:     by_value
      - .offset:         108
        .size:           4
        .value_kind:     by_value
      - .offset:         112
        .size:           4
        .value_kind:     by_value
      - .offset:         116
        .size:           4
        .value_kind:     by_value
      - .offset:         120
        .size:           4
        .value_kind:     by_value
      - .offset:         124
        .size:           4
        .value_kind:     by_value
      - .offset:         128
        .size:           4
        .value_kind:     by_value
      - .offset:         132
        .size:           4
        .value_kind:     by_value
      - .offset:         136
        .size:           4
        .value_kind:     by_value
      - .offset:         140
        .size:           4
        .value_kind:     by_value
      - .offset:         144
        .size:           4
        .value_kind:     by_value
      - .offset:         152
        .size:           8
        .value_kind:     by_value
      - .offset:         160
        .size:           4
        .value_kind:     by_value
      - .offset:         164
        .size:           4
        .value_kind:     by_value
      - .offset:         168
        .size:           8
        .value_kind:     by_value
      - .offset:         176
        .size:           4
        .value_kind:     by_value
      - .offset:         180
        .size:           4
        .value_kind:     by_value
      - .offset:         184
        .size:           4
        .value_kind:     by_value
      - .offset:         188
        .size:           4
        .value_kind:     by_value
      - .offset:         192
        .size:           4
        .value_kind:     by_value
      - .offset:         200
        .size:           8
        .value_kind:     by_value
      - .offset:         208
        .size:           4
        .value_kind:     hidden_block_count_x
      - .offset:         212
        .size:           4
        .value_kind:     hidden_block_count_y
      - .offset:         216
        .size:           4
        .value_kind:     hidden_block_count_z
      - .offset:         220
        .size:           2
        .value_kind:     hidden_group_size_x
      - .offset:         222
        .size:           2
        .value_kind:     hidden_group_size_y
      - .offset:         224
        .size:           2
        .value_kind:     hidden_group_size_z
      - .offset:         226
        .size:           2
        .value_kind:     hidden_remainder_x
      - .offset:         228
        .size:           2
        .value_kind:     hidden_remainder_y
      - .offset:         230
        .size:           2
        .value_kind:     hidden_remainder_z
      - .offset:         248
        .size:           8
        .value_kind:     hidden_global_offset_x
      - .offset:         256
        .size:           8
        .value_kind:     hidden_global_offset_y
      - .offset:         264
        .size:           8
        .value_kind:     hidden_global_offset_z
      - .offset:         272
        .size:           2
        .value_kind:     hidden_grid_dims
    .group_segment_fixed_size: 6144
    .kernarg_segment_align: 8
    .kernarg_segment_size: 464
    .language:       OpenCL C
    .language_version:
      - 2
      - 0
    .max_flat_workgroup_size: 128
    .name:           _ZL15flash_attn_tileILi64ELi64ELi2ELi4ELb0EEvPKcS1_S1_S1_S1_PKiPfP15HIP_vector_typeIfLj2EEffffjfiS5_IjLj3EEiiiiiiiiiiiliiliiiiil
    .private_segment_fixed_size: 0
    .sgpr_count:     47
    .sgpr_spill_count: 0
    .symbol:         _ZL15flash_attn_tileILi64ELi64ELi2ELi4ELb0EEvPKcS1_S1_S1_S1_PKiPfP15HIP_vector_typeIfLj2EEffffjfiS5_IjLj3EEiiiiiiiiiiiliiliiiiil.kd
    .uniform_work_group_size: 1
    .uses_dynamic_stack: false
    .vgpr_count:     90
    .vgpr_spill_count: 0
    .wavefront_size: 64
  - .agpr_count:     0
    .args:
      - .address_space:  global
        .offset:         0
        .size:           8
        .value_kind:     global_buffer
      - .address_space:  global
        .offset:         8
        .size:           8
        .value_kind:     global_buffer
      - .offset:         16
        .size:           4
        .value_kind:     by_value
      - .offset:         20
        .size:           4
        .value_kind:     by_value
      - .offset:         24
        .size:           4
        .value_kind:     by_value
      - .offset:         28
        .size:           4
        .value_kind:     by_value
      - .offset:         32
        .size:           4
        .value_kind:     by_value
      - .offset:         36
        .size:           4
        .value_kind:     by_value
      - .offset:         40
        .size:           12
        .value_kind:     by_value
      - .offset:         52
        .size:           12
        .value_kind:     by_value
      - .offset:         64
        .size:           12
        .value_kind:     by_value
    .group_segment_fixed_size: 0
    .kernarg_segment_align: 8
    .kernarg_segment_size: 76
    .language:       OpenCL C
    .language_version:
      - 2
      - 0
    .max_flat_workgroup_size: 64
    .name:           _ZL33flash_attn_stream_k_fixup_uniformILi64ELi2ELi4EEvPfPK15HIP_vector_typeIfLj2EEiiiiiiS1_IjLj3EES5_S5_
    .private_segment_fixed_size: 0
    .sgpr_count:     24
    .sgpr_spill_count: 0
    .symbol:         _ZL33flash_attn_stream_k_fixup_uniformILi64ELi2ELi4EEvPfPK15HIP_vector_typeIfLj2EEiiiiiiS1_IjLj3EES5_S5_.kd
    .uniform_work_group_size: 1
    .uses_dynamic_stack: false
    .vgpr_count:     17
    .vgpr_spill_count: 0
    .wavefront_size: 64
  - .agpr_count:     0
    .args:
      - .address_space:  global
        .offset:         0
        .size:           8
        .value_kind:     global_buffer
      - .address_space:  global
        .offset:         8
        .size:           8
        .value_kind:     global_buffer
      - .offset:         16
        .size:           4
        .value_kind:     by_value
      - .offset:         20
        .size:           4
        .value_kind:     by_value
      - .offset:         24
        .size:           4
        .value_kind:     by_value
      - .offset:         28
        .size:           4
        .value_kind:     by_value
      - .offset:         32
        .size:           12
        .value_kind:     by_value
      - .offset:         44
        .size:           12
        .value_kind:     by_value
      - .offset:         56
        .size:           12
        .value_kind:     by_value
      - .offset:         68
        .size:           12
        .value_kind:     by_value
      - .offset:         80
        .size:           4
        .value_kind:     hidden_block_count_x
      - .offset:         84
        .size:           4
        .value_kind:     hidden_block_count_y
      - .offset:         88
        .size:           4
        .value_kind:     hidden_block_count_z
      - .offset:         92
        .size:           2
        .value_kind:     hidden_group_size_x
      - .offset:         94
        .size:           2
        .value_kind:     hidden_group_size_y
      - .offset:         96
        .size:           2
        .value_kind:     hidden_group_size_z
      - .offset:         98
        .size:           2
        .value_kind:     hidden_remainder_x
      - .offset:         100
        .size:           2
        .value_kind:     hidden_remainder_y
      - .offset:         102
        .size:           2
        .value_kind:     hidden_remainder_z
      - .offset:         120
        .size:           8
        .value_kind:     hidden_global_offset_x
      - .offset:         128
        .size:           8
        .value_kind:     hidden_global_offset_y
      - .offset:         136
        .size:           8
        .value_kind:     hidden_global_offset_z
      - .offset:         144
        .size:           2
        .value_kind:     hidden_grid_dims
    .group_segment_fixed_size: 0
    .kernarg_segment_align: 8
    .kernarg_segment_size: 336
    .language:       OpenCL C
    .language_version:
      - 2
      - 0
    .max_flat_workgroup_size: 64
    .name:           _ZL33flash_attn_stream_k_fixup_generalILi64ELi2ELi4EEvPfPK15HIP_vector_typeIfLj2EEiiiiS1_IjLj3EES5_S5_S5_
    .private_segment_fixed_size: 0
    .sgpr_count:     36
    .sgpr_spill_count: 0
    .symbol:         _ZL33flash_attn_stream_k_fixup_generalILi64ELi2ELi4EEvPfPK15HIP_vector_typeIfLj2EEiiiiS1_IjLj3EES5_S5_S5_.kd
    .uniform_work_group_size: 1
    .uses_dynamic_stack: false
    .vgpr_count:     22
    .vgpr_spill_count: 0
    .wavefront_size: 64
  - .agpr_count:     0
    .args:
      - .address_space:  global
        .offset:         0
        .size:           8
        .value_kind:     global_buffer
      - .address_space:  global
        .offset:         8
        .size:           8
        .value_kind:     global_buffer
      - .address_space:  global
        .offset:         16
        .size:           8
        .value_kind:     global_buffer
      - .address_space:  global
        .offset:         24
        .size:           8
        .value_kind:     global_buffer
      - .address_space:  global
        .offset:         32
        .size:           8
        .value_kind:     global_buffer
      - .address_space:  global
        .offset:         40
        .size:           8
        .value_kind:     global_buffer
      - .address_space:  global
        .offset:         48
        .size:           8
        .value_kind:     global_buffer
      - .address_space:  global
        .offset:         56
        .size:           8
        .value_kind:     global_buffer
      - .offset:         64
        .size:           4
        .value_kind:     by_value
      - .offset:         68
        .size:           4
        .value_kind:     by_value
      - .offset:         72
        .size:           4
        .value_kind:     by_value
      - .offset:         76
        .size:           4
        .value_kind:     by_value
      - .offset:         80
        .size:           4
        .value_kind:     by_value
      - .offset:         84
        .size:           4
        .value_kind:     by_value
      - .offset:         88
        .size:           4
        .value_kind:     by_value
      - .offset:         92
        .size:           12
        .value_kind:     by_value
      - .offset:         104
        .size:           4
        .value_kind:     by_value
      - .offset:         108
        .size:           4
        .value_kind:     by_value
      - .offset:         112
        .size:           4
        .value_kind:     by_value
      - .offset:         116
        .size:           4
        .value_kind:     by_value
      - .offset:         120
        .size:           4
        .value_kind:     by_value
      - .offset:         124
        .size:           4
        .value_kind:     by_value
      - .offset:         128
        .size:           4
        .value_kind:     by_value
      - .offset:         132
        .size:           4
        .value_kind:     by_value
      - .offset:         136
        .size:           4
        .value_kind:     by_value
      - .offset:         140
        .size:           4
        .value_kind:     by_value
      - .offset:         144
        .size:           4
        .value_kind:     by_value
      - .offset:         152
        .size:           8
        .value_kind:     by_value
      - .offset:         160
        .size:           4
        .value_kind:     by_value
      - .offset:         164
        .size:           4
        .value_kind:     by_value
      - .offset:         168
        .size:           8
        .value_kind:     by_value
      - .offset:         176
        .size:           4
        .value_kind:     by_value
      - .offset:         180
        .size:           4
        .value_kind:     by_value
      - .offset:         184
        .size:           4
        .value_kind:     by_value
      - .offset:         188
        .size:           4
        .value_kind:     by_value
      - .offset:         192
        .size:           4
        .value_kind:     by_value
      - .offset:         200
        .size:           8
        .value_kind:     by_value
      - .offset:         208
        .size:           4
        .value_kind:     hidden_block_count_x
      - .offset:         212
        .size:           4
        .value_kind:     hidden_block_count_y
      - .offset:         216
        .size:           4
        .value_kind:     hidden_block_count_z
      - .offset:         220
        .size:           2
        .value_kind:     hidden_group_size_x
      - .offset:         222
        .size:           2
        .value_kind:     hidden_group_size_y
      - .offset:         224
        .size:           2
        .value_kind:     hidden_group_size_z
      - .offset:         226
        .size:           2
        .value_kind:     hidden_remainder_x
      - .offset:         228
        .size:           2
        .value_kind:     hidden_remainder_y
      - .offset:         230
        .size:           2
        .value_kind:     hidden_remainder_z
      - .offset:         248
        .size:           8
        .value_kind:     hidden_global_offset_x
      - .offset:         256
        .size:           8
        .value_kind:     hidden_global_offset_y
      - .offset:         264
        .size:           8
        .value_kind:     hidden_global_offset_z
      - .offset:         272
        .size:           2
        .value_kind:     hidden_grid_dims
    .group_segment_fixed_size: 10240
    .kernarg_segment_align: 8
    .kernarg_segment_size: 464
    .language:       OpenCL C
    .language_version:
      - 2
      - 0
    .max_flat_workgroup_size: 128
    .name:           _ZL15flash_attn_tileILi64ELi64ELi1ELi4ELb0EEvPKcS1_S1_S1_S1_PKiPfP15HIP_vector_typeIfLj2EEffffjfiS5_IjLj3EEiiiiiiiiiiiliiliiiiil
    .private_segment_fixed_size: 0
    .sgpr_count:     48
    .sgpr_spill_count: 0
    .symbol:         _ZL15flash_attn_tileILi64ELi64ELi1ELi4ELb0EEvPKcS1_S1_S1_S1_PKiPfP15HIP_vector_typeIfLj2EEffffjfiS5_IjLj3EEiiiiiiiiiiiliiliiiiil.kd
    .uniform_work_group_size: 1
    .uses_dynamic_stack: false
    .vgpr_count:     152
    .vgpr_spill_count: 0
    .wavefront_size: 64
  - .agpr_count:     0
    .args:
      - .address_space:  global
        .offset:         0
        .size:           8
        .value_kind:     global_buffer
      - .address_space:  global
        .offset:         8
        .size:           8
        .value_kind:     global_buffer
      - .offset:         16
        .size:           4
        .value_kind:     by_value
      - .offset:         20
        .size:           4
        .value_kind:     by_value
      - .offset:         24
        .size:           4
        .value_kind:     by_value
      - .offset:         28
        .size:           4
        .value_kind:     by_value
      - .offset:         32
        .size:           4
        .value_kind:     by_value
      - .offset:         36
        .size:           4
        .value_kind:     by_value
      - .offset:         40
        .size:           12
        .value_kind:     by_value
      - .offset:         52
        .size:           12
        .value_kind:     by_value
      - .offset:         64
        .size:           12
        .value_kind:     by_value
    .group_segment_fixed_size: 0
    .kernarg_segment_align: 8
    .kernarg_segment_size: 76
    .language:       OpenCL C
    .language_version:
      - 2
      - 0
    .max_flat_workgroup_size: 64
    .name:           _ZL33flash_attn_stream_k_fixup_uniformILi64ELi1ELi4EEvPfPK15HIP_vector_typeIfLj2EEiiiiiiS1_IjLj3EES5_S5_
    .private_segment_fixed_size: 0
    .sgpr_count:     24
    .sgpr_spill_count: 0
    .symbol:         _ZL33flash_attn_stream_k_fixup_uniformILi64ELi1ELi4EEvPfPK15HIP_vector_typeIfLj2EEiiiiiiS1_IjLj3EES5_S5_.kd
    .uniform_work_group_size: 1
    .uses_dynamic_stack: false
    .vgpr_count:     17
    .vgpr_spill_count: 0
    .wavefront_size: 64
  - .agpr_count:     0
    .args:
      - .address_space:  global
        .offset:         0
        .size:           8
        .value_kind:     global_buffer
      - .address_space:  global
        .offset:         8
        .size:           8
        .value_kind:     global_buffer
      - .offset:         16
        .size:           4
        .value_kind:     by_value
      - .offset:         20
        .size:           4
        .value_kind:     by_value
      - .offset:         24
        .size:           4
        .value_kind:     by_value
      - .offset:         28
        .size:           4
        .value_kind:     by_value
      - .offset:         32
        .size:           12
        .value_kind:     by_value
      - .offset:         44
        .size:           12
        .value_kind:     by_value
      - .offset:         56
        .size:           12
        .value_kind:     by_value
      - .offset:         68
        .size:           12
        .value_kind:     by_value
      - .offset:         80
        .size:           4
        .value_kind:     hidden_block_count_x
      - .offset:         84
        .size:           4
        .value_kind:     hidden_block_count_y
      - .offset:         88
        .size:           4
        .value_kind:     hidden_block_count_z
      - .offset:         92
        .size:           2
        .value_kind:     hidden_group_size_x
      - .offset:         94
        .size:           2
        .value_kind:     hidden_group_size_y
      - .offset:         96
        .size:           2
        .value_kind:     hidden_group_size_z
      - .offset:         98
        .size:           2
        .value_kind:     hidden_remainder_x
      - .offset:         100
        .size:           2
        .value_kind:     hidden_remainder_y
      - .offset:         102
        .size:           2
        .value_kind:     hidden_remainder_z
      - .offset:         120
        .size:           8
        .value_kind:     hidden_global_offset_x
      - .offset:         128
        .size:           8
        .value_kind:     hidden_global_offset_y
      - .offset:         136
        .size:           8
        .value_kind:     hidden_global_offset_z
      - .offset:         144
        .size:           2
        .value_kind:     hidden_grid_dims
    .group_segment_fixed_size: 0
    .kernarg_segment_align: 8
    .kernarg_segment_size: 336
    .language:       OpenCL C
    .language_version:
      - 2
      - 0
    .max_flat_workgroup_size: 64
    .name:           _ZL33flash_attn_stream_k_fixup_generalILi64ELi1ELi4EEvPfPK15HIP_vector_typeIfLj2EEiiiiS1_IjLj3EES5_S5_S5_
    .private_segment_fixed_size: 0
    .sgpr_count:     36
    .sgpr_spill_count: 0
    .symbol:         _ZL33flash_attn_stream_k_fixup_generalILi64ELi1ELi4EEvPfPK15HIP_vector_typeIfLj2EEiiiiS1_IjLj3EES5_S5_S5_.kd
    .uniform_work_group_size: 1
    .uses_dynamic_stack: false
    .vgpr_count:     22
    .vgpr_spill_count: 0
    .wavefront_size: 64
  - .agpr_count:     0
    .args:
      - .address_space:  global
        .offset:         0
        .size:           8
        .value_kind:     global_buffer
      - .address_space:  global
        .offset:         8
        .size:           8
        .value_kind:     global_buffer
      - .address_space:  global
        .offset:         16
        .size:           8
        .value_kind:     global_buffer
      - .address_space:  global
        .offset:         24
        .size:           8
        .value_kind:     global_buffer
      - .address_space:  global
        .offset:         32
        .size:           8
        .value_kind:     global_buffer
      - .address_space:  global
        .offset:         40
        .size:           8
        .value_kind:     global_buffer
      - .address_space:  global
        .offset:         48
        .size:           8
        .value_kind:     global_buffer
      - .address_space:  global
        .offset:         56
        .size:           8
        .value_kind:     global_buffer
      - .offset:         64
        .size:           4
        .value_kind:     by_value
      - .offset:         68
        .size:           4
        .value_kind:     by_value
      - .offset:         72
        .size:           4
        .value_kind:     by_value
      - .offset:         76
        .size:           4
        .value_kind:     by_value
      - .offset:         80
        .size:           4
        .value_kind:     by_value
      - .offset:         84
        .size:           4
        .value_kind:     by_value
      - .offset:         88
        .size:           4
        .value_kind:     by_value
      - .offset:         92
        .size:           12
        .value_kind:     by_value
      - .offset:         104
        .size:           4
        .value_kind:     by_value
      - .offset:         108
        .size:           4
        .value_kind:     by_value
      - .offset:         112
        .size:           4
        .value_kind:     by_value
      - .offset:         116
        .size:           4
        .value_kind:     by_value
      - .offset:         120
        .size:           4
        .value_kind:     by_value
      - .offset:         124
        .size:           4
        .value_kind:     by_value
      - .offset:         128
        .size:           4
        .value_kind:     by_value
      - .offset:         132
        .size:           4
        .value_kind:     by_value
      - .offset:         136
        .size:           4
        .value_kind:     by_value
      - .offset:         140
        .size:           4
        .value_kind:     by_value
      - .offset:         144
        .size:           4
        .value_kind:     by_value
      - .offset:         152
        .size:           8
        .value_kind:     by_value
      - .offset:         160
        .size:           4
        .value_kind:     by_value
      - .offset:         164
        .size:           4
        .value_kind:     by_value
      - .offset:         168
        .size:           8
        .value_kind:     by_value
      - .offset:         176
        .size:           4
        .value_kind:     by_value
      - .offset:         180
        .size:           4
        .value_kind:     by_value
      - .offset:         184
        .size:           4
        .value_kind:     by_value
      - .offset:         188
        .size:           4
        .value_kind:     by_value
      - .offset:         192
        .size:           4
        .value_kind:     by_value
      - .offset:         200
        .size:           8
        .value_kind:     by_value
      - .offset:         208
        .size:           4
        .value_kind:     hidden_block_count_x
      - .offset:         212
        .size:           4
        .value_kind:     hidden_block_count_y
      - .offset:         216
        .size:           4
        .value_kind:     hidden_block_count_z
      - .offset:         220
        .size:           2
        .value_kind:     hidden_group_size_x
      - .offset:         222
        .size:           2
        .value_kind:     hidden_group_size_y
      - .offset:         224
        .size:           2
        .value_kind:     hidden_group_size_z
      - .offset:         226
        .size:           2
        .value_kind:     hidden_remainder_x
      - .offset:         228
        .size:           2
        .value_kind:     hidden_remainder_y
      - .offset:         230
        .size:           2
        .value_kind:     hidden_remainder_z
      - .offset:         248
        .size:           8
        .value_kind:     hidden_global_offset_x
      - .offset:         256
        .size:           8
        .value_kind:     hidden_global_offset_y
      - .offset:         264
        .size:           8
        .value_kind:     hidden_global_offset_z
      - .offset:         272
        .size:           2
        .value_kind:     hidden_grid_dims
    .group_segment_fixed_size: 25600
    .kernarg_segment_align: 8
    .kernarg_segment_size: 464
    .language:       OpenCL C
    .language_version:
      - 2
      - 0
    .max_flat_workgroup_size: 256
    .name:           _ZL15flash_attn_tileILi64ELi64ELi32ELi2ELb0EEvPKcS1_S1_S1_S1_PKiPfP15HIP_vector_typeIfLj2EEffffjfiS5_IjLj3EEiiiiiiiiiiiliiliiiiil
    .private_segment_fixed_size: 0
    .sgpr_count:     45
    .sgpr_spill_count: 0
    .symbol:         _ZL15flash_attn_tileILi64ELi64ELi32ELi2ELb0EEvPKcS1_S1_S1_S1_PKiPfP15HIP_vector_typeIfLj2EEffffjfiS5_IjLj3EEiiiiiiiiiiiliiliiiiil.kd
    .uniform_work_group_size: 1
    .uses_dynamic_stack: false
    .vgpr_count:     142
    .vgpr_spill_count: 0
    .wavefront_size: 64
  - .agpr_count:     0
    .args:
      - .actual_access:  read_only
        .address_space:  global
        .offset:         0
        .size:           8
        .value_kind:     global_buffer
      - .actual_access:  write_only
        .address_space:  global
        .offset:         8
        .size:           8
        .value_kind:     global_buffer
      - .offset:         16
        .size:           4
        .value_kind:     by_value
      - .offset:         20
        .size:           4
        .value_kind:     by_value
      - .offset:         24
        .size:           4
        .value_kind:     by_value
      - .offset:         32
        .size:           4
        .value_kind:     hidden_block_count_x
      - .offset:         36
        .size:           4
        .value_kind:     hidden_block_count_y
      - .offset:         40
        .size:           4
        .value_kind:     hidden_block_count_z
      - .offset:         44
        .size:           2
        .value_kind:     hidden_group_size_x
      - .offset:         46
        .size:           2
        .value_kind:     hidden_group_size_y
      - .offset:         48
        .size:           2
        .value_kind:     hidden_group_size_z
      - .offset:         50
        .size:           2
        .value_kind:     hidden_remainder_x
      - .offset:         52
        .size:           2
        .value_kind:     hidden_remainder_y
      - .offset:         54
        .size:           2
        .value_kind:     hidden_remainder_z
      - .offset:         72
        .size:           8
        .value_kind:     hidden_global_offset_x
      - .offset:         80
        .size:           8
        .value_kind:     hidden_global_offset_y
      - .offset:         88
        .size:           8
        .value_kind:     hidden_global_offset_z
      - .offset:         96
        .size:           2
        .value_kind:     hidden_grid_dims
    .group_segment_fixed_size: 128
    .kernarg_segment_align: 8
    .kernarg_segment_size: 288
    .language:       OpenCL C
    .language_version:
      - 2
      - 0
    .max_flat_workgroup_size: 128
    .name:           _ZL25flash_attn_mask_to_KV_maxILi32EEvPK7__half2Piiii
    .private_segment_fixed_size: 0
    .sgpr_count:     100
    .sgpr_spill_count: 48
    .symbol:         _ZL25flash_attn_mask_to_KV_maxILi32EEvPK7__half2Piiii.kd
    .uniform_work_group_size: 1
    .uses_dynamic_stack: false
    .vgpr_count:     13
    .vgpr_spill_count: 0
    .wavefront_size: 64
  - .agpr_count:     0
    .args:
      - .address_space:  global
        .offset:         0
        .size:           8
        .value_kind:     global_buffer
      - .address_space:  global
        .offset:         8
        .size:           8
        .value_kind:     global_buffer
      - .offset:         16
        .size:           4
        .value_kind:     by_value
      - .offset:         20
        .size:           4
        .value_kind:     by_value
      - .offset:         24
        .size:           4
        .value_kind:     by_value
      - .offset:         28
        .size:           4
        .value_kind:     by_value
      - .offset:         32
        .size:           4
        .value_kind:     by_value
      - .offset:         36
        .size:           4
        .value_kind:     by_value
      - .offset:         40
        .size:           12
        .value_kind:     by_value
      - .offset:         52
        .size:           12
        .value_kind:     by_value
      - .offset:         64
        .size:           12
        .value_kind:     by_value
    .group_segment_fixed_size: 0
    .kernarg_segment_align: 8
    .kernarg_segment_size: 76
    .language:       OpenCL C
    .language_version:
      - 2
      - 0
    .max_flat_workgroup_size: 64
    .name:           _ZL33flash_attn_stream_k_fixup_uniformILi64ELi32ELi2EEvPfPK15HIP_vector_typeIfLj2EEiiiiiiS1_IjLj3EES5_S5_
    .private_segment_fixed_size: 0
    .sgpr_count:     24
    .sgpr_spill_count: 0
    .symbol:         _ZL33flash_attn_stream_k_fixup_uniformILi64ELi32ELi2EEvPfPK15HIP_vector_typeIfLj2EEiiiiiiS1_IjLj3EES5_S5_.kd
    .uniform_work_group_size: 1
    .uses_dynamic_stack: false
    .vgpr_count:     17
    .vgpr_spill_count: 0
    .wavefront_size: 64
  - .agpr_count:     0
    .args:
      - .address_space:  global
        .offset:         0
        .size:           8
        .value_kind:     global_buffer
      - .address_space:  global
        .offset:         8
        .size:           8
        .value_kind:     global_buffer
      - .offset:         16
        .size:           4
        .value_kind:     by_value
      - .offset:         20
        .size:           4
        .value_kind:     by_value
      - .offset:         24
        .size:           4
        .value_kind:     by_value
      - .offset:         28
        .size:           4
        .value_kind:     by_value
      - .offset:         32
        .size:           12
        .value_kind:     by_value
      - .offset:         44
        .size:           12
        .value_kind:     by_value
      - .offset:         56
        .size:           12
        .value_kind:     by_value
      - .offset:         68
        .size:           12
        .value_kind:     by_value
      - .offset:         80
        .size:           4
        .value_kind:     hidden_block_count_x
      - .offset:         84
        .size:           4
        .value_kind:     hidden_block_count_y
      - .offset:         88
        .size:           4
        .value_kind:     hidden_block_count_z
      - .offset:         92
        .size:           2
        .value_kind:     hidden_group_size_x
      - .offset:         94
        .size:           2
        .value_kind:     hidden_group_size_y
      - .offset:         96
        .size:           2
        .value_kind:     hidden_group_size_z
      - .offset:         98
        .size:           2
        .value_kind:     hidden_remainder_x
      - .offset:         100
        .size:           2
        .value_kind:     hidden_remainder_y
      - .offset:         102
        .size:           2
        .value_kind:     hidden_remainder_z
      - .offset:         120
        .size:           8
        .value_kind:     hidden_global_offset_x
      - .offset:         128
        .size:           8
        .value_kind:     hidden_global_offset_y
      - .offset:         136
        .size:           8
        .value_kind:     hidden_global_offset_z
      - .offset:         144
        .size:           2
        .value_kind:     hidden_grid_dims
    .group_segment_fixed_size: 0
    .kernarg_segment_align: 8
    .kernarg_segment_size: 336
    .language:       OpenCL C
    .language_version:
      - 2
      - 0
    .max_flat_workgroup_size: 64
    .name:           _ZL33flash_attn_stream_k_fixup_generalILi64ELi32ELi2EEvPfPK15HIP_vector_typeIfLj2EEiiiiS1_IjLj3EES5_S5_S5_
    .private_segment_fixed_size: 0
    .sgpr_count:     36
    .sgpr_spill_count: 0
    .symbol:         _ZL33flash_attn_stream_k_fixup_generalILi64ELi32ELi2EEvPfPK15HIP_vector_typeIfLj2EEiiiiS1_IjLj3EES5_S5_S5_.kd
    .uniform_work_group_size: 1
    .uses_dynamic_stack: false
    .vgpr_count:     22
    .vgpr_spill_count: 0
    .wavefront_size: 64
  - .agpr_count:     0
    .args:
      - .address_space:  global
        .offset:         0
        .size:           8
        .value_kind:     global_buffer
      - .address_space:  global
        .offset:         8
        .size:           8
        .value_kind:     global_buffer
      - .address_space:  global
        .offset:         16
        .size:           8
        .value_kind:     global_buffer
      - .address_space:  global
        .offset:         24
        .size:           8
        .value_kind:     global_buffer
      - .address_space:  global
        .offset:         32
        .size:           8
        .value_kind:     global_buffer
      - .address_space:  global
        .offset:         40
        .size:           8
        .value_kind:     global_buffer
      - .address_space:  global
        .offset:         48
        .size:           8
        .value_kind:     global_buffer
      - .address_space:  global
        .offset:         56
        .size:           8
        .value_kind:     global_buffer
      - .offset:         64
        .size:           4
        .value_kind:     by_value
      - .offset:         68
        .size:           4
        .value_kind:     by_value
      - .offset:         72
        .size:           4
        .value_kind:     by_value
      - .offset:         76
        .size:           4
        .value_kind:     by_value
      - .offset:         80
        .size:           4
        .value_kind:     by_value
      - .offset:         84
        .size:           4
        .value_kind:     by_value
      - .offset:         88
        .size:           4
        .value_kind:     by_value
      - .offset:         92
        .size:           12
        .value_kind:     by_value
      - .offset:         104
        .size:           4
        .value_kind:     by_value
      - .offset:         108
        .size:           4
        .value_kind:     by_value
      - .offset:         112
        .size:           4
        .value_kind:     by_value
      - .offset:         116
        .size:           4
        .value_kind:     by_value
      - .offset:         120
        .size:           4
        .value_kind:     by_value
      - .offset:         124
        .size:           4
        .value_kind:     by_value
      - .offset:         128
        .size:           4
        .value_kind:     by_value
      - .offset:         132
        .size:           4
        .value_kind:     by_value
      - .offset:         136
        .size:           4
        .value_kind:     by_value
      - .offset:         140
        .size:           4
        .value_kind:     by_value
      - .offset:         144
        .size:           4
        .value_kind:     by_value
      - .offset:         152
        .size:           8
        .value_kind:     by_value
      - .offset:         160
        .size:           4
        .value_kind:     by_value
      - .offset:         164
        .size:           4
        .value_kind:     by_value
      - .offset:         168
        .size:           8
        .value_kind:     by_value
      - .offset:         176
        .size:           4
        .value_kind:     by_value
      - .offset:         180
        .size:           4
        .value_kind:     by_value
      - .offset:         184
        .size:           4
        .value_kind:     by_value
      - .offset:         188
        .size:           4
        .value_kind:     by_value
      - .offset:         192
        .size:           4
        .value_kind:     by_value
      - .offset:         200
        .size:           8
        .value_kind:     by_value
      - .offset:         208
        .size:           4
        .value_kind:     hidden_block_count_x
      - .offset:         212
        .size:           4
        .value_kind:     hidden_block_count_y
      - .offset:         216
        .size:           4
        .value_kind:     hidden_block_count_z
      - .offset:         220
        .size:           2
        .value_kind:     hidden_group_size_x
      - .offset:         222
        .size:           2
        .value_kind:     hidden_group_size_y
      - .offset:         224
        .size:           2
        .value_kind:     hidden_group_size_z
      - .offset:         226
        .size:           2
        .value_kind:     hidden_remainder_x
      - .offset:         228
        .size:           2
        .value_kind:     hidden_remainder_y
      - .offset:         230
        .size:           2
        .value_kind:     hidden_remainder_z
      - .offset:         248
        .size:           8
        .value_kind:     hidden_global_offset_x
      - .offset:         256
        .size:           8
        .value_kind:     hidden_global_offset_y
      - .offset:         264
        .size:           8
        .value_kind:     hidden_global_offset_z
      - .offset:         272
        .size:           2
        .value_kind:     hidden_grid_dims
    .group_segment_fixed_size: 17408
    .kernarg_segment_align: 8
    .kernarg_segment_size: 464
    .language:       OpenCL C
    .language_version:
      - 2
      - 0
    .max_flat_workgroup_size: 256
    .name:           _ZL15flash_attn_tileILi64ELi64ELi16ELi2ELb0EEvPKcS1_S1_S1_S1_PKiPfP15HIP_vector_typeIfLj2EEffffjfiS5_IjLj3EEiiiiiiiiiiiliiliiiiil
    .private_segment_fixed_size: 0
    .sgpr_count:     45
    .sgpr_spill_count: 0
    .symbol:         _ZL15flash_attn_tileILi64ELi64ELi16ELi2ELb0EEvPKcS1_S1_S1_S1_PKiPfP15HIP_vector_typeIfLj2EEffffjfiS5_IjLj3EEiiiiiiiiiiiliiliiiiil.kd
    .uniform_work_group_size: 1
    .uses_dynamic_stack: false
    .vgpr_count:     90
    .vgpr_spill_count: 0
    .wavefront_size: 64
  - .agpr_count:     0
    .args:
      - .address_space:  global
        .offset:         0
        .size:           8
        .value_kind:     global_buffer
      - .address_space:  global
        .offset:         8
        .size:           8
        .value_kind:     global_buffer
      - .offset:         16
        .size:           4
        .value_kind:     by_value
      - .offset:         20
        .size:           4
        .value_kind:     by_value
      - .offset:         24
        .size:           4
        .value_kind:     by_value
      - .offset:         28
        .size:           4
        .value_kind:     by_value
      - .offset:         32
        .size:           4
        .value_kind:     by_value
      - .offset:         36
        .size:           4
        .value_kind:     by_value
      - .offset:         40
        .size:           12
        .value_kind:     by_value
      - .offset:         52
        .size:           12
        .value_kind:     by_value
      - .offset:         64
        .size:           12
        .value_kind:     by_value
    .group_segment_fixed_size: 0
    .kernarg_segment_align: 8
    .kernarg_segment_size: 76
    .language:       OpenCL C
    .language_version:
      - 2
      - 0
    .max_flat_workgroup_size: 64
    .name:           _ZL33flash_attn_stream_k_fixup_uniformILi64ELi16ELi2EEvPfPK15HIP_vector_typeIfLj2EEiiiiiiS1_IjLj3EES5_S5_
    .private_segment_fixed_size: 0
    .sgpr_count:     24
    .sgpr_spill_count: 0
    .symbol:         _ZL33flash_attn_stream_k_fixup_uniformILi64ELi16ELi2EEvPfPK15HIP_vector_typeIfLj2EEiiiiiiS1_IjLj3EES5_S5_.kd
    .uniform_work_group_size: 1
    .uses_dynamic_stack: false
    .vgpr_count:     17
    .vgpr_spill_count: 0
    .wavefront_size: 64
  - .agpr_count:     0
    .args:
      - .address_space:  global
        .offset:         0
        .size:           8
        .value_kind:     global_buffer
      - .address_space:  global
        .offset:         8
        .size:           8
        .value_kind:     global_buffer
      - .offset:         16
        .size:           4
        .value_kind:     by_value
      - .offset:         20
        .size:           4
        .value_kind:     by_value
      - .offset:         24
        .size:           4
        .value_kind:     by_value
      - .offset:         28
        .size:           4
        .value_kind:     by_value
      - .offset:         32
        .size:           12
        .value_kind:     by_value
      - .offset:         44
        .size:           12
        .value_kind:     by_value
      - .offset:         56
        .size:           12
        .value_kind:     by_value
      - .offset:         68
        .size:           12
        .value_kind:     by_value
      - .offset:         80
        .size:           4
        .value_kind:     hidden_block_count_x
      - .offset:         84
        .size:           4
        .value_kind:     hidden_block_count_y
      - .offset:         88
        .size:           4
        .value_kind:     hidden_block_count_z
      - .offset:         92
        .size:           2
        .value_kind:     hidden_group_size_x
      - .offset:         94
        .size:           2
        .value_kind:     hidden_group_size_y
      - .offset:         96
        .size:           2
        .value_kind:     hidden_group_size_z
      - .offset:         98
        .size:           2
        .value_kind:     hidden_remainder_x
      - .offset:         100
        .size:           2
        .value_kind:     hidden_remainder_y
      - .offset:         102
        .size:           2
        .value_kind:     hidden_remainder_z
      - .offset:         120
        .size:           8
        .value_kind:     hidden_global_offset_x
      - .offset:         128
        .size:           8
        .value_kind:     hidden_global_offset_y
      - .offset:         136
        .size:           8
        .value_kind:     hidden_global_offset_z
      - .offset:         144
        .size:           2
        .value_kind:     hidden_grid_dims
    .group_segment_fixed_size: 0
    .kernarg_segment_align: 8
    .kernarg_segment_size: 336
    .language:       OpenCL C
    .language_version:
      - 2
      - 0
    .max_flat_workgroup_size: 64
    .name:           _ZL33flash_attn_stream_k_fixup_generalILi64ELi16ELi2EEvPfPK15HIP_vector_typeIfLj2EEiiiiS1_IjLj3EES5_S5_S5_
    .private_segment_fixed_size: 0
    .sgpr_count:     36
    .sgpr_spill_count: 0
    .symbol:         _ZL33flash_attn_stream_k_fixup_generalILi64ELi16ELi2EEvPfPK15HIP_vector_typeIfLj2EEiiiiS1_IjLj3EES5_S5_S5_.kd
    .uniform_work_group_size: 1
    .uses_dynamic_stack: false
    .vgpr_count:     22
    .vgpr_spill_count: 0
    .wavefront_size: 64
  - .agpr_count:     0
    .args:
      - .address_space:  global
        .offset:         0
        .size:           8
        .value_kind:     global_buffer
      - .address_space:  global
        .offset:         8
        .size:           8
        .value_kind:     global_buffer
      - .address_space:  global
        .offset:         16
        .size:           8
        .value_kind:     global_buffer
      - .address_space:  global
        .offset:         24
        .size:           8
        .value_kind:     global_buffer
      - .address_space:  global
        .offset:         32
        .size:           8
        .value_kind:     global_buffer
      - .address_space:  global
        .offset:         40
        .size:           8
        .value_kind:     global_buffer
      - .address_space:  global
        .offset:         48
        .size:           8
        .value_kind:     global_buffer
      - .address_space:  global
        .offset:         56
        .size:           8
        .value_kind:     global_buffer
      - .offset:         64
        .size:           4
        .value_kind:     by_value
      - .offset:         68
        .size:           4
        .value_kind:     by_value
      - .offset:         72
        .size:           4
        .value_kind:     by_value
      - .offset:         76
        .size:           4
        .value_kind:     by_value
      - .offset:         80
        .size:           4
        .value_kind:     by_value
      - .offset:         84
        .size:           4
        .value_kind:     by_value
      - .offset:         88
        .size:           4
        .value_kind:     by_value
      - .offset:         92
        .size:           12
        .value_kind:     by_value
      - .offset:         104
        .size:           4
        .value_kind:     by_value
      - .offset:         108
        .size:           4
        .value_kind:     by_value
      - .offset:         112
        .size:           4
        .value_kind:     by_value
      - .offset:         116
        .size:           4
        .value_kind:     by_value
      - .offset:         120
        .size:           4
        .value_kind:     by_value
      - .offset:         124
        .size:           4
        .value_kind:     by_value
      - .offset:         128
        .size:           4
        .value_kind:     by_value
      - .offset:         132
        .size:           4
        .value_kind:     by_value
      - .offset:         136
        .size:           4
        .value_kind:     by_value
      - .offset:         140
        .size:           4
        .value_kind:     by_value
      - .offset:         144
        .size:           4
        .value_kind:     by_value
      - .offset:         152
        .size:           8
        .value_kind:     by_value
      - .offset:         160
        .size:           4
        .value_kind:     by_value
      - .offset:         164
        .size:           4
        .value_kind:     by_value
      - .offset:         168
        .size:           8
        .value_kind:     by_value
      - .offset:         176
        .size:           4
        .value_kind:     by_value
      - .offset:         180
        .size:           4
        .value_kind:     by_value
      - .offset:         184
        .size:           4
        .value_kind:     by_value
      - .offset:         188
        .size:           4
        .value_kind:     by_value
      - .offset:         192
        .size:           4
        .value_kind:     by_value
      - .offset:         200
        .size:           8
        .value_kind:     by_value
      - .offset:         208
        .size:           4
        .value_kind:     hidden_block_count_x
      - .offset:         212
        .size:           4
        .value_kind:     hidden_block_count_y
      - .offset:         216
        .size:           4
        .value_kind:     hidden_block_count_z
      - .offset:         220
        .size:           2
        .value_kind:     hidden_group_size_x
      - .offset:         222
        .size:           2
        .value_kind:     hidden_group_size_y
      - .offset:         224
        .size:           2
        .value_kind:     hidden_group_size_z
      - .offset:         226
        .size:           2
        .value_kind:     hidden_remainder_x
      - .offset:         228
        .size:           2
        .value_kind:     hidden_remainder_y
      - .offset:         230
        .size:           2
        .value_kind:     hidden_remainder_z
      - .offset:         248
        .size:           8
        .value_kind:     hidden_global_offset_x
      - .offset:         256
        .size:           8
        .value_kind:     hidden_global_offset_y
      - .offset:         264
        .size:           8
        .value_kind:     hidden_global_offset_z
      - .offset:         272
        .size:           2
        .value_kind:     hidden_grid_dims
    .group_segment_fixed_size: 24576
    .kernarg_segment_align: 8
    .kernarg_segment_size: 464
    .language:       OpenCL C
    .language_version:
      - 2
      - 0
    .max_flat_workgroup_size: 256
    .name:           _ZL15flash_attn_tileILi64ELi64ELi8ELi2ELb0EEvPKcS1_S1_S1_S1_PKiPfP15HIP_vector_typeIfLj2EEffffjfiS5_IjLj3EEiiiiiiiiiiiliiliiiiil
    .private_segment_fixed_size: 0
    .sgpr_count:     71
    .sgpr_spill_count: 0
    .symbol:         _ZL15flash_attn_tileILi64ELi64ELi8ELi2ELb0EEvPKcS1_S1_S1_S1_PKiPfP15HIP_vector_typeIfLj2EEffffjfiS5_IjLj3EEiiiiiiiiiiiliiliiiiil.kd
    .uniform_work_group_size: 1
    .uses_dynamic_stack: false
    .vgpr_count:     250
    .vgpr_spill_count: 0
    .wavefront_size: 64
  - .agpr_count:     0
    .args:
      - .address_space:  global
        .offset:         0
        .size:           8
        .value_kind:     global_buffer
      - .address_space:  global
        .offset:         8
        .size:           8
        .value_kind:     global_buffer
      - .offset:         16
        .size:           4
        .value_kind:     by_value
      - .offset:         20
        .size:           4
        .value_kind:     by_value
      - .offset:         24
        .size:           4
        .value_kind:     by_value
      - .offset:         28
        .size:           4
        .value_kind:     by_value
      - .offset:         32
        .size:           4
        .value_kind:     by_value
      - .offset:         36
        .size:           4
        .value_kind:     by_value
      - .offset:         40
        .size:           12
        .value_kind:     by_value
      - .offset:         52
        .size:           12
        .value_kind:     by_value
      - .offset:         64
        .size:           12
        .value_kind:     by_value
    .group_segment_fixed_size: 0
    .kernarg_segment_align: 8
    .kernarg_segment_size: 76
    .language:       OpenCL C
    .language_version:
      - 2
      - 0
    .max_flat_workgroup_size: 64
    .name:           _ZL33flash_attn_stream_k_fixup_uniformILi64ELi8ELi2EEvPfPK15HIP_vector_typeIfLj2EEiiiiiiS1_IjLj3EES5_S5_
    .private_segment_fixed_size: 0
    .sgpr_count:     24
    .sgpr_spill_count: 0
    .symbol:         _ZL33flash_attn_stream_k_fixup_uniformILi64ELi8ELi2EEvPfPK15HIP_vector_typeIfLj2EEiiiiiiS1_IjLj3EES5_S5_.kd
    .uniform_work_group_size: 1
    .uses_dynamic_stack: false
    .vgpr_count:     17
    .vgpr_spill_count: 0
    .wavefront_size: 64
  - .agpr_count:     0
    .args:
      - .address_space:  global
        .offset:         0
        .size:           8
        .value_kind:     global_buffer
      - .address_space:  global
        .offset:         8
        .size:           8
        .value_kind:     global_buffer
      - .offset:         16
        .size:           4
        .value_kind:     by_value
      - .offset:         20
        .size:           4
        .value_kind:     by_value
      - .offset:         24
        .size:           4
        .value_kind:     by_value
      - .offset:         28
        .size:           4
        .value_kind:     by_value
      - .offset:         32
        .size:           12
        .value_kind:     by_value
      - .offset:         44
        .size:           12
        .value_kind:     by_value
      - .offset:         56
        .size:           12
        .value_kind:     by_value
      - .offset:         68
        .size:           12
        .value_kind:     by_value
      - .offset:         80
        .size:           4
        .value_kind:     hidden_block_count_x
      - .offset:         84
        .size:           4
        .value_kind:     hidden_block_count_y
      - .offset:         88
        .size:           4
        .value_kind:     hidden_block_count_z
      - .offset:         92
        .size:           2
        .value_kind:     hidden_group_size_x
      - .offset:         94
        .size:           2
        .value_kind:     hidden_group_size_y
      - .offset:         96
        .size:           2
        .value_kind:     hidden_group_size_z
      - .offset:         98
        .size:           2
        .value_kind:     hidden_remainder_x
      - .offset:         100
        .size:           2
        .value_kind:     hidden_remainder_y
      - .offset:         102
        .size:           2
        .value_kind:     hidden_remainder_z
      - .offset:         120
        .size:           8
        .value_kind:     hidden_global_offset_x
      - .offset:         128
        .size:           8
        .value_kind:     hidden_global_offset_y
      - .offset:         136
        .size:           8
        .value_kind:     hidden_global_offset_z
      - .offset:         144
        .size:           2
        .value_kind:     hidden_grid_dims
    .group_segment_fixed_size: 0
    .kernarg_segment_align: 8
    .kernarg_segment_size: 336
    .language:       OpenCL C
    .language_version:
      - 2
      - 0
    .max_flat_workgroup_size: 64
    .name:           _ZL33flash_attn_stream_k_fixup_generalILi64ELi8ELi2EEvPfPK15HIP_vector_typeIfLj2EEiiiiS1_IjLj3EES5_S5_S5_
    .private_segment_fixed_size: 0
    .sgpr_count:     36
    .sgpr_spill_count: 0
    .symbol:         _ZL33flash_attn_stream_k_fixup_generalILi64ELi8ELi2EEvPfPK15HIP_vector_typeIfLj2EEiiiiS1_IjLj3EES5_S5_S5_.kd
    .uniform_work_group_size: 1
    .uses_dynamic_stack: false
    .vgpr_count:     22
    .vgpr_spill_count: 0
    .wavefront_size: 64
  - .agpr_count:     0
    .args:
      - .address_space:  global
        .offset:         0
        .size:           8
        .value_kind:     global_buffer
      - .address_space:  global
        .offset:         8
        .size:           8
        .value_kind:     global_buffer
      - .address_space:  global
        .offset:         16
        .size:           8
        .value_kind:     global_buffer
      - .address_space:  global
        .offset:         24
        .size:           8
        .value_kind:     global_buffer
      - .address_space:  global
        .offset:         32
        .size:           8
        .value_kind:     global_buffer
      - .address_space:  global
        .offset:         40
        .size:           8
        .value_kind:     global_buffer
      - .address_space:  global
        .offset:         48
        .size:           8
        .value_kind:     global_buffer
      - .address_space:  global
        .offset:         56
        .size:           8
        .value_kind:     global_buffer
      - .offset:         64
        .size:           4
        .value_kind:     by_value
      - .offset:         68
        .size:           4
        .value_kind:     by_value
      - .offset:         72
        .size:           4
        .value_kind:     by_value
      - .offset:         76
        .size:           4
        .value_kind:     by_value
      - .offset:         80
        .size:           4
        .value_kind:     by_value
      - .offset:         84
        .size:           4
        .value_kind:     by_value
      - .offset:         88
        .size:           4
        .value_kind:     by_value
      - .offset:         92
        .size:           12
        .value_kind:     by_value
      - .offset:         104
        .size:           4
        .value_kind:     by_value
      - .offset:         108
        .size:           4
        .value_kind:     by_value
      - .offset:         112
        .size:           4
        .value_kind:     by_value
      - .offset:         116
        .size:           4
        .value_kind:     by_value
      - .offset:         120
        .size:           4
        .value_kind:     by_value
      - .offset:         124
        .size:           4
        .value_kind:     by_value
      - .offset:         128
        .size:           4
        .value_kind:     by_value
      - .offset:         132
        .size:           4
        .value_kind:     by_value
      - .offset:         136
        .size:           4
        .value_kind:     by_value
      - .offset:         140
        .size:           4
        .value_kind:     by_value
      - .offset:         144
        .size:           4
        .value_kind:     by_value
      - .offset:         152
        .size:           8
        .value_kind:     by_value
      - .offset:         160
        .size:           4
        .value_kind:     by_value
      - .offset:         164
        .size:           4
        .value_kind:     by_value
      - .offset:         168
        .size:           8
        .value_kind:     by_value
      - .offset:         176
        .size:           4
        .value_kind:     by_value
      - .offset:         180
        .size:           4
        .value_kind:     by_value
      - .offset:         184
        .size:           4
        .value_kind:     by_value
      - .offset:         188
        .size:           4
        .value_kind:     by_value
      - .offset:         192
        .size:           4
        .value_kind:     by_value
      - .offset:         200
        .size:           8
        .value_kind:     by_value
      - .offset:         208
        .size:           4
        .value_kind:     hidden_block_count_x
      - .offset:         212
        .size:           4
        .value_kind:     hidden_block_count_y
      - .offset:         216
        .size:           4
        .value_kind:     hidden_block_count_z
      - .offset:         220
        .size:           2
        .value_kind:     hidden_group_size_x
      - .offset:         222
        .size:           2
        .value_kind:     hidden_group_size_y
      - .offset:         224
        .size:           2
        .value_kind:     hidden_group_size_z
      - .offset:         226
        .size:           2
        .value_kind:     hidden_remainder_x
      - .offset:         228
        .size:           2
        .value_kind:     hidden_remainder_y
      - .offset:         230
        .size:           2
        .value_kind:     hidden_remainder_z
      - .offset:         248
        .size:           8
        .value_kind:     hidden_global_offset_x
      - .offset:         256
        .size:           8
        .value_kind:     hidden_global_offset_y
      - .offset:         264
        .size:           8
        .value_kind:     hidden_global_offset_z
      - .offset:         272
        .size:           2
        .value_kind:     hidden_grid_dims
    .group_segment_fixed_size: 6144
    .kernarg_segment_align: 8
    .kernarg_segment_size: 464
    .language:       OpenCL C
    .language_version:
      - 2
      - 0
    .max_flat_workgroup_size: 128
    .name:           _ZL15flash_attn_tileILi64ELi64ELi4ELi2ELb0EEvPKcS1_S1_S1_S1_PKiPfP15HIP_vector_typeIfLj2EEffffjfiS5_IjLj3EEiiiiiiiiiiiliiliiiiil
    .private_segment_fixed_size: 0
    .sgpr_count:     47
    .sgpr_spill_count: 0
    .symbol:         _ZL15flash_attn_tileILi64ELi64ELi4ELi2ELb0EEvPKcS1_S1_S1_S1_PKiPfP15HIP_vector_typeIfLj2EEffffjfiS5_IjLj3EEiiiiiiiiiiiliiliiiiil.kd
    .uniform_work_group_size: 1
    .uses_dynamic_stack: false
    .vgpr_count:     90
    .vgpr_spill_count: 0
    .wavefront_size: 64
  - .agpr_count:     0
    .args:
      - .address_space:  global
        .offset:         0
        .size:           8
        .value_kind:     global_buffer
      - .address_space:  global
        .offset:         8
        .size:           8
        .value_kind:     global_buffer
      - .offset:         16
        .size:           4
        .value_kind:     by_value
      - .offset:         20
        .size:           4
        .value_kind:     by_value
      - .offset:         24
        .size:           4
        .value_kind:     by_value
      - .offset:         28
        .size:           4
        .value_kind:     by_value
      - .offset:         32
        .size:           4
        .value_kind:     by_value
      - .offset:         36
        .size:           4
        .value_kind:     by_value
      - .offset:         40
        .size:           12
        .value_kind:     by_value
      - .offset:         52
        .size:           12
        .value_kind:     by_value
      - .offset:         64
        .size:           12
        .value_kind:     by_value
    .group_segment_fixed_size: 0
    .kernarg_segment_align: 8
    .kernarg_segment_size: 76
    .language:       OpenCL C
    .language_version:
      - 2
      - 0
    .max_flat_workgroup_size: 64
    .name:           _ZL33flash_attn_stream_k_fixup_uniformILi64ELi4ELi2EEvPfPK15HIP_vector_typeIfLj2EEiiiiiiS1_IjLj3EES5_S5_
    .private_segment_fixed_size: 0
    .sgpr_count:     24
    .sgpr_spill_count: 0
    .symbol:         _ZL33flash_attn_stream_k_fixup_uniformILi64ELi4ELi2EEvPfPK15HIP_vector_typeIfLj2EEiiiiiiS1_IjLj3EES5_S5_.kd
    .uniform_work_group_size: 1
    .uses_dynamic_stack: false
    .vgpr_count:     17
    .vgpr_spill_count: 0
    .wavefront_size: 64
  - .agpr_count:     0
    .args:
      - .address_space:  global
        .offset:         0
        .size:           8
        .value_kind:     global_buffer
      - .address_space:  global
        .offset:         8
        .size:           8
        .value_kind:     global_buffer
      - .offset:         16
        .size:           4
        .value_kind:     by_value
      - .offset:         20
        .size:           4
        .value_kind:     by_value
      - .offset:         24
        .size:           4
        .value_kind:     by_value
      - .offset:         28
        .size:           4
        .value_kind:     by_value
      - .offset:         32
        .size:           12
        .value_kind:     by_value
      - .offset:         44
        .size:           12
        .value_kind:     by_value
      - .offset:         56
        .size:           12
        .value_kind:     by_value
      - .offset:         68
        .size:           12
        .value_kind:     by_value
      - .offset:         80
        .size:           4
        .value_kind:     hidden_block_count_x
      - .offset:         84
        .size:           4
        .value_kind:     hidden_block_count_y
      - .offset:         88
        .size:           4
        .value_kind:     hidden_block_count_z
      - .offset:         92
        .size:           2
        .value_kind:     hidden_group_size_x
      - .offset:         94
        .size:           2
        .value_kind:     hidden_group_size_y
      - .offset:         96
        .size:           2
        .value_kind:     hidden_group_size_z
      - .offset:         98
        .size:           2
        .value_kind:     hidden_remainder_x
      - .offset:         100
        .size:           2
        .value_kind:     hidden_remainder_y
      - .offset:         102
        .size:           2
        .value_kind:     hidden_remainder_z
      - .offset:         120
        .size:           8
        .value_kind:     hidden_global_offset_x
      - .offset:         128
        .size:           8
        .value_kind:     hidden_global_offset_y
      - .offset:         136
        .size:           8
        .value_kind:     hidden_global_offset_z
      - .offset:         144
        .size:           2
        .value_kind:     hidden_grid_dims
    .group_segment_fixed_size: 0
    .kernarg_segment_align: 8
    .kernarg_segment_size: 336
    .language:       OpenCL C
    .language_version:
      - 2
      - 0
    .max_flat_workgroup_size: 64
    .name:           _ZL33flash_attn_stream_k_fixup_generalILi64ELi4ELi2EEvPfPK15HIP_vector_typeIfLj2EEiiiiS1_IjLj3EES5_S5_S5_
    .private_segment_fixed_size: 0
    .sgpr_count:     36
    .sgpr_spill_count: 0
    .symbol:         _ZL33flash_attn_stream_k_fixup_generalILi64ELi4ELi2EEvPfPK15HIP_vector_typeIfLj2EEiiiiS1_IjLj3EES5_S5_S5_.kd
    .uniform_work_group_size: 1
    .uses_dynamic_stack: false
    .vgpr_count:     22
    .vgpr_spill_count: 0
    .wavefront_size: 64
  - .agpr_count:     0
    .args:
      - .address_space:  global
        .offset:         0
        .size:           8
        .value_kind:     global_buffer
      - .address_space:  global
        .offset:         8
        .size:           8
        .value_kind:     global_buffer
      - .address_space:  global
        .offset:         16
        .size:           8
        .value_kind:     global_buffer
      - .address_space:  global
        .offset:         24
        .size:           8
        .value_kind:     global_buffer
      - .address_space:  global
        .offset:         32
        .size:           8
        .value_kind:     global_buffer
      - .address_space:  global
        .offset:         40
        .size:           8
        .value_kind:     global_buffer
      - .address_space:  global
        .offset:         48
        .size:           8
        .value_kind:     global_buffer
      - .address_space:  global
        .offset:         56
        .size:           8
        .value_kind:     global_buffer
      - .offset:         64
        .size:           4
        .value_kind:     by_value
      - .offset:         68
        .size:           4
        .value_kind:     by_value
      - .offset:         72
        .size:           4
        .value_kind:     by_value
      - .offset:         76
        .size:           4
        .value_kind:     by_value
      - .offset:         80
        .size:           4
        .value_kind:     by_value
      - .offset:         84
        .size:           4
        .value_kind:     by_value
      - .offset:         88
        .size:           4
        .value_kind:     by_value
      - .offset:         92
        .size:           12
        .value_kind:     by_value
      - .offset:         104
        .size:           4
        .value_kind:     by_value
      - .offset:         108
        .size:           4
        .value_kind:     by_value
      - .offset:         112
        .size:           4
        .value_kind:     by_value
      - .offset:         116
        .size:           4
        .value_kind:     by_value
      - .offset:         120
        .size:           4
        .value_kind:     by_value
      - .offset:         124
        .size:           4
        .value_kind:     by_value
      - .offset:         128
        .size:           4
        .value_kind:     by_value
      - .offset:         132
        .size:           4
        .value_kind:     by_value
      - .offset:         136
        .size:           4
        .value_kind:     by_value
      - .offset:         140
        .size:           4
        .value_kind:     by_value
      - .offset:         144
        .size:           4
        .value_kind:     by_value
      - .offset:         152
        .size:           8
        .value_kind:     by_value
      - .offset:         160
        .size:           4
        .value_kind:     by_value
      - .offset:         164
        .size:           4
        .value_kind:     by_value
      - .offset:         168
        .size:           8
        .value_kind:     by_value
      - .offset:         176
        .size:           4
        .value_kind:     by_value
      - .offset:         180
        .size:           4
        .value_kind:     by_value
      - .offset:         184
        .size:           4
        .value_kind:     by_value
      - .offset:         188
        .size:           4
        .value_kind:     by_value
      - .offset:         192
        .size:           4
        .value_kind:     by_value
      - .offset:         200
        .size:           8
        .value_kind:     by_value
      - .offset:         208
        .size:           4
        .value_kind:     hidden_block_count_x
      - .offset:         212
        .size:           4
        .value_kind:     hidden_block_count_y
      - .offset:         216
        .size:           4
        .value_kind:     hidden_block_count_z
      - .offset:         220
        .size:           2
        .value_kind:     hidden_group_size_x
      - .offset:         222
        .size:           2
        .value_kind:     hidden_group_size_y
      - .offset:         224
        .size:           2
        .value_kind:     hidden_group_size_z
      - .offset:         226
        .size:           2
        .value_kind:     hidden_remainder_x
      - .offset:         228
        .size:           2
        .value_kind:     hidden_remainder_y
      - .offset:         230
        .size:           2
        .value_kind:     hidden_remainder_z
      - .offset:         248
        .size:           8
        .value_kind:     hidden_global_offset_x
      - .offset:         256
        .size:           8
        .value_kind:     hidden_global_offset_y
      - .offset:         264
        .size:           8
        .value_kind:     hidden_global_offset_z
      - .offset:         272
        .size:           2
        .value_kind:     hidden_grid_dims
    .group_segment_fixed_size: 10240
    .kernarg_segment_align: 8
    .kernarg_segment_size: 464
    .language:       OpenCL C
    .language_version:
      - 2
      - 0
    .max_flat_workgroup_size: 128
    .name:           _ZL15flash_attn_tileILi64ELi64ELi2ELi2ELb0EEvPKcS1_S1_S1_S1_PKiPfP15HIP_vector_typeIfLj2EEffffjfiS5_IjLj3EEiiiiiiiiiiiliiliiiiil
    .private_segment_fixed_size: 0
    .sgpr_count:     48
    .sgpr_spill_count: 0
    .symbol:         _ZL15flash_attn_tileILi64ELi64ELi2ELi2ELb0EEvPKcS1_S1_S1_S1_PKiPfP15HIP_vector_typeIfLj2EEffffjfiS5_IjLj3EEiiiiiiiiiiiliiliiiiil.kd
    .uniform_work_group_size: 1
    .uses_dynamic_stack: false
    .vgpr_count:     152
    .vgpr_spill_count: 0
    .wavefront_size: 64
  - .agpr_count:     0
    .args:
      - .address_space:  global
        .offset:         0
        .size:           8
        .value_kind:     global_buffer
      - .address_space:  global
        .offset:         8
        .size:           8
        .value_kind:     global_buffer
      - .offset:         16
        .size:           4
        .value_kind:     by_value
      - .offset:         20
        .size:           4
        .value_kind:     by_value
      - .offset:         24
        .size:           4
        .value_kind:     by_value
      - .offset:         28
        .size:           4
        .value_kind:     by_value
      - .offset:         32
        .size:           4
        .value_kind:     by_value
      - .offset:         36
        .size:           4
        .value_kind:     by_value
      - .offset:         40
        .size:           12
        .value_kind:     by_value
      - .offset:         52
        .size:           12
        .value_kind:     by_value
      - .offset:         64
        .size:           12
        .value_kind:     by_value
    .group_segment_fixed_size: 0
    .kernarg_segment_align: 8
    .kernarg_segment_size: 76
    .language:       OpenCL C
    .language_version:
      - 2
      - 0
    .max_flat_workgroup_size: 64
    .name:           _ZL33flash_attn_stream_k_fixup_uniformILi64ELi2ELi2EEvPfPK15HIP_vector_typeIfLj2EEiiiiiiS1_IjLj3EES5_S5_
    .private_segment_fixed_size: 0
    .sgpr_count:     24
    .sgpr_spill_count: 0
    .symbol:         _ZL33flash_attn_stream_k_fixup_uniformILi64ELi2ELi2EEvPfPK15HIP_vector_typeIfLj2EEiiiiiiS1_IjLj3EES5_S5_.kd
    .uniform_work_group_size: 1
    .uses_dynamic_stack: false
    .vgpr_count:     17
    .vgpr_spill_count: 0
    .wavefront_size: 64
  - .agpr_count:     0
    .args:
      - .address_space:  global
        .offset:         0
        .size:           8
        .value_kind:     global_buffer
      - .address_space:  global
        .offset:         8
        .size:           8
        .value_kind:     global_buffer
      - .offset:         16
        .size:           4
        .value_kind:     by_value
      - .offset:         20
        .size:           4
        .value_kind:     by_value
      - .offset:         24
        .size:           4
        .value_kind:     by_value
      - .offset:         28
        .size:           4
        .value_kind:     by_value
      - .offset:         32
        .size:           12
        .value_kind:     by_value
      - .offset:         44
        .size:           12
        .value_kind:     by_value
      - .offset:         56
        .size:           12
        .value_kind:     by_value
      - .offset:         68
        .size:           12
        .value_kind:     by_value
      - .offset:         80
        .size:           4
        .value_kind:     hidden_block_count_x
      - .offset:         84
        .size:           4
        .value_kind:     hidden_block_count_y
      - .offset:         88
        .size:           4
        .value_kind:     hidden_block_count_z
      - .offset:         92
        .size:           2
        .value_kind:     hidden_group_size_x
      - .offset:         94
        .size:           2
        .value_kind:     hidden_group_size_y
      - .offset:         96
        .size:           2
        .value_kind:     hidden_group_size_z
      - .offset:         98
        .size:           2
        .value_kind:     hidden_remainder_x
      - .offset:         100
        .size:           2
        .value_kind:     hidden_remainder_y
      - .offset:         102
        .size:           2
        .value_kind:     hidden_remainder_z
      - .offset:         120
        .size:           8
        .value_kind:     hidden_global_offset_x
      - .offset:         128
        .size:           8
        .value_kind:     hidden_global_offset_y
      - .offset:         136
        .size:           8
        .value_kind:     hidden_global_offset_z
      - .offset:         144
        .size:           2
        .value_kind:     hidden_grid_dims
    .group_segment_fixed_size: 0
    .kernarg_segment_align: 8
    .kernarg_segment_size: 336
    .language:       OpenCL C
    .language_version:
      - 2
      - 0
    .max_flat_workgroup_size: 64
    .name:           _ZL33flash_attn_stream_k_fixup_generalILi64ELi2ELi2EEvPfPK15HIP_vector_typeIfLj2EEiiiiS1_IjLj3EES5_S5_S5_
    .private_segment_fixed_size: 0
    .sgpr_count:     36
    .sgpr_spill_count: 0
    .symbol:         _ZL33flash_attn_stream_k_fixup_generalILi64ELi2ELi2EEvPfPK15HIP_vector_typeIfLj2EEiiiiS1_IjLj3EES5_S5_S5_.kd
    .uniform_work_group_size: 1
    .uses_dynamic_stack: false
    .vgpr_count:     22
    .vgpr_spill_count: 0
    .wavefront_size: 64
  - .agpr_count:     0
    .args:
      - .address_space:  global
        .offset:         0
        .size:           8
        .value_kind:     global_buffer
      - .address_space:  global
        .offset:         8
        .size:           8
        .value_kind:     global_buffer
      - .address_space:  global
        .offset:         16
        .size:           8
        .value_kind:     global_buffer
      - .address_space:  global
        .offset:         24
        .size:           8
        .value_kind:     global_buffer
      - .address_space:  global
        .offset:         32
        .size:           8
        .value_kind:     global_buffer
      - .address_space:  global
        .offset:         40
        .size:           8
        .value_kind:     global_buffer
      - .address_space:  global
        .offset:         48
        .size:           8
        .value_kind:     global_buffer
      - .address_space:  global
        .offset:         56
        .size:           8
        .value_kind:     global_buffer
      - .offset:         64
        .size:           4
        .value_kind:     by_value
      - .offset:         68
        .size:           4
        .value_kind:     by_value
      - .offset:         72
        .size:           4
        .value_kind:     by_value
      - .offset:         76
        .size:           4
        .value_kind:     by_value
      - .offset:         80
        .size:           4
        .value_kind:     by_value
      - .offset:         84
        .size:           4
        .value_kind:     by_value
      - .offset:         88
        .size:           4
        .value_kind:     by_value
      - .offset:         92
        .size:           12
        .value_kind:     by_value
      - .offset:         104
        .size:           4
        .value_kind:     by_value
      - .offset:         108
        .size:           4
        .value_kind:     by_value
      - .offset:         112
        .size:           4
        .value_kind:     by_value
      - .offset:         116
        .size:           4
        .value_kind:     by_value
      - .offset:         120
        .size:           4
        .value_kind:     by_value
      - .offset:         124
        .size:           4
        .value_kind:     by_value
      - .offset:         128
        .size:           4
        .value_kind:     by_value
      - .offset:         132
        .size:           4
        .value_kind:     by_value
      - .offset:         136
        .size:           4
        .value_kind:     by_value
      - .offset:         140
        .size:           4
        .value_kind:     by_value
      - .offset:         144
        .size:           4
        .value_kind:     by_value
      - .offset:         152
        .size:           8
        .value_kind:     by_value
      - .offset:         160
        .size:           4
        .value_kind:     by_value
      - .offset:         164
        .size:           4
        .value_kind:     by_value
      - .offset:         168
        .size:           8
        .value_kind:     by_value
      - .offset:         176
        .size:           4
        .value_kind:     by_value
      - .offset:         180
        .size:           4
        .value_kind:     by_value
      - .offset:         184
        .size:           4
        .value_kind:     by_value
      - .offset:         188
        .size:           4
        .value_kind:     by_value
      - .offset:         192
        .size:           4
        .value_kind:     by_value
      - .offset:         200
        .size:           8
        .value_kind:     by_value
      - .offset:         208
        .size:           4
        .value_kind:     hidden_block_count_x
      - .offset:         212
        .size:           4
        .value_kind:     hidden_block_count_y
      - .offset:         216
        .size:           4
        .value_kind:     hidden_block_count_z
      - .offset:         220
        .size:           2
        .value_kind:     hidden_group_size_x
      - .offset:         222
        .size:           2
        .value_kind:     hidden_group_size_y
      - .offset:         224
        .size:           2
        .value_kind:     hidden_group_size_z
      - .offset:         226
        .size:           2
        .value_kind:     hidden_remainder_x
      - .offset:         228
        .size:           2
        .value_kind:     hidden_remainder_y
      - .offset:         230
        .size:           2
        .value_kind:     hidden_remainder_z
      - .offset:         248
        .size:           8
        .value_kind:     hidden_global_offset_x
      - .offset:         256
        .size:           8
        .value_kind:     hidden_global_offset_y
      - .offset:         264
        .size:           8
        .value_kind:     hidden_global_offset_z
      - .offset:         272
        .size:           2
        .value_kind:     hidden_grid_dims
    .group_segment_fixed_size: 4992
    .kernarg_segment_align: 8
    .kernarg_segment_size: 464
    .language:       OpenCL C
    .language_version:
      - 2
      - 0
    .max_flat_workgroup_size: 64
    .name:           _ZL15flash_attn_tileILi64ELi64ELi1ELi2ELb0EEvPKcS1_S1_S1_S1_PKiPfP15HIP_vector_typeIfLj2EEffffjfiS5_IjLj3EEiiiiiiiiiiiliiliiiiil
    .private_segment_fixed_size: 0
    .sgpr_count:     48
    .sgpr_spill_count: 0
    .symbol:         _ZL15flash_attn_tileILi64ELi64ELi1ELi2ELb0EEvPKcS1_S1_S1_S1_PKiPfP15HIP_vector_typeIfLj2EEffffjfiS5_IjLj3EEiiiiiiiiiiiliiliiiiil.kd
    .uniform_work_group_size: 1
    .uses_dynamic_stack: false
    .vgpr_count:     99
    .vgpr_spill_count: 0
    .wavefront_size: 64
  - .agpr_count:     0
    .args:
      - .address_space:  global
        .offset:         0
        .size:           8
        .value_kind:     global_buffer
      - .address_space:  global
        .offset:         8
        .size:           8
        .value_kind:     global_buffer
      - .offset:         16
        .size:           4
        .value_kind:     by_value
      - .offset:         20
        .size:           4
        .value_kind:     by_value
      - .offset:         24
        .size:           4
        .value_kind:     by_value
      - .offset:         28
        .size:           4
        .value_kind:     by_value
      - .offset:         32
        .size:           4
        .value_kind:     by_value
      - .offset:         36
        .size:           4
        .value_kind:     by_value
      - .offset:         40
        .size:           12
        .value_kind:     by_value
      - .offset:         52
        .size:           12
        .value_kind:     by_value
      - .offset:         64
        .size:           12
        .value_kind:     by_value
    .group_segment_fixed_size: 0
    .kernarg_segment_align: 8
    .kernarg_segment_size: 76
    .language:       OpenCL C
    .language_version:
      - 2
      - 0
    .max_flat_workgroup_size: 64
    .name:           _ZL33flash_attn_stream_k_fixup_uniformILi64ELi1ELi2EEvPfPK15HIP_vector_typeIfLj2EEiiiiiiS1_IjLj3EES5_S5_
    .private_segment_fixed_size: 0
    .sgpr_count:     24
    .sgpr_spill_count: 0
    .symbol:         _ZL33flash_attn_stream_k_fixup_uniformILi64ELi1ELi2EEvPfPK15HIP_vector_typeIfLj2EEiiiiiiS1_IjLj3EES5_S5_.kd
    .uniform_work_group_size: 1
    .uses_dynamic_stack: false
    .vgpr_count:     17
    .vgpr_spill_count: 0
    .wavefront_size: 64
  - .agpr_count:     0
    .args:
      - .address_space:  global
        .offset:         0
        .size:           8
        .value_kind:     global_buffer
      - .address_space:  global
        .offset:         8
        .size:           8
        .value_kind:     global_buffer
      - .offset:         16
        .size:           4
        .value_kind:     by_value
      - .offset:         20
        .size:           4
        .value_kind:     by_value
      - .offset:         24
        .size:           4
        .value_kind:     by_value
      - .offset:         28
        .size:           4
        .value_kind:     by_value
      - .offset:         32
        .size:           12
        .value_kind:     by_value
      - .offset:         44
        .size:           12
        .value_kind:     by_value
      - .offset:         56
        .size:           12
        .value_kind:     by_value
      - .offset:         68
        .size:           12
        .value_kind:     by_value
      - .offset:         80
        .size:           4
        .value_kind:     hidden_block_count_x
      - .offset:         84
        .size:           4
        .value_kind:     hidden_block_count_y
      - .offset:         88
        .size:           4
        .value_kind:     hidden_block_count_z
      - .offset:         92
        .size:           2
        .value_kind:     hidden_group_size_x
      - .offset:         94
        .size:           2
        .value_kind:     hidden_group_size_y
      - .offset:         96
        .size:           2
        .value_kind:     hidden_group_size_z
      - .offset:         98
        .size:           2
        .value_kind:     hidden_remainder_x
      - .offset:         100
        .size:           2
        .value_kind:     hidden_remainder_y
      - .offset:         102
        .size:           2
        .value_kind:     hidden_remainder_z
      - .offset:         120
        .size:           8
        .value_kind:     hidden_global_offset_x
      - .offset:         128
        .size:           8
        .value_kind:     hidden_global_offset_y
      - .offset:         136
        .size:           8
        .value_kind:     hidden_global_offset_z
      - .offset:         144
        .size:           2
        .value_kind:     hidden_grid_dims
    .group_segment_fixed_size: 0
    .kernarg_segment_align: 8
    .kernarg_segment_size: 336
    .language:       OpenCL C
    .language_version:
      - 2
      - 0
    .max_flat_workgroup_size: 64
    .name:           _ZL33flash_attn_stream_k_fixup_generalILi64ELi1ELi2EEvPfPK15HIP_vector_typeIfLj2EEiiiiS1_IjLj3EES5_S5_S5_
    .private_segment_fixed_size: 0
    .sgpr_count:     36
    .sgpr_spill_count: 0
    .symbol:         _ZL33flash_attn_stream_k_fixup_generalILi64ELi1ELi2EEvPfPK15HIP_vector_typeIfLj2EEiiiiS1_IjLj3EES5_S5_S5_.kd
    .uniform_work_group_size: 1
    .uses_dynamic_stack: false
    .vgpr_count:     22
    .vgpr_spill_count: 0
    .wavefront_size: 64
  - .agpr_count:     0
    .args:
      - .address_space:  global
        .offset:         0
        .size:           8
        .value_kind:     global_buffer
      - .address_space:  global
        .offset:         8
        .size:           8
        .value_kind:     global_buffer
      - .address_space:  global
        .offset:         16
        .size:           8
        .value_kind:     global_buffer
      - .address_space:  global
        .offset:         24
        .size:           8
        .value_kind:     global_buffer
      - .address_space:  global
        .offset:         32
        .size:           8
        .value_kind:     global_buffer
      - .address_space:  global
        .offset:         40
        .size:           8
        .value_kind:     global_buffer
      - .address_space:  global
        .offset:         48
        .size:           8
        .value_kind:     global_buffer
      - .address_space:  global
        .offset:         56
        .size:           8
        .value_kind:     global_buffer
      - .offset:         64
        .size:           4
        .value_kind:     by_value
      - .offset:         68
        .size:           4
        .value_kind:     by_value
      - .offset:         72
        .size:           4
        .value_kind:     by_value
      - .offset:         76
        .size:           4
        .value_kind:     by_value
      - .offset:         80
        .size:           4
        .value_kind:     by_value
      - .offset:         84
        .size:           4
        .value_kind:     by_value
      - .offset:         88
        .size:           4
        .value_kind:     by_value
      - .offset:         92
        .size:           12
        .value_kind:     by_value
      - .offset:         104
        .size:           4
        .value_kind:     by_value
      - .offset:         108
        .size:           4
        .value_kind:     by_value
      - .offset:         112
        .size:           4
        .value_kind:     by_value
      - .offset:         116
        .size:           4
        .value_kind:     by_value
      - .offset:         120
        .size:           4
        .value_kind:     by_value
      - .offset:         124
        .size:           4
        .value_kind:     by_value
      - .offset:         128
        .size:           4
        .value_kind:     by_value
      - .offset:         132
        .size:           4
        .value_kind:     by_value
      - .offset:         136
        .size:           4
        .value_kind:     by_value
      - .offset:         140
        .size:           4
        .value_kind:     by_value
      - .offset:         144
        .size:           4
        .value_kind:     by_value
      - .offset:         152
        .size:           8
        .value_kind:     by_value
      - .offset:         160
        .size:           4
        .value_kind:     by_value
      - .offset:         164
        .size:           4
        .value_kind:     by_value
      - .offset:         168
        .size:           8
        .value_kind:     by_value
      - .offset:         176
        .size:           4
        .value_kind:     by_value
      - .offset:         180
        .size:           4
        .value_kind:     by_value
      - .offset:         184
        .size:           4
        .value_kind:     by_value
      - .offset:         188
        .size:           4
        .value_kind:     by_value
      - .offset:         192
        .size:           4
        .value_kind:     by_value
      - .offset:         200
        .size:           8
        .value_kind:     by_value
      - .offset:         208
        .size:           4
        .value_kind:     hidden_block_count_x
      - .offset:         212
        .size:           4
        .value_kind:     hidden_block_count_y
      - .offset:         216
        .size:           4
        .value_kind:     hidden_block_count_z
      - .offset:         220
        .size:           2
        .value_kind:     hidden_group_size_x
      - .offset:         222
        .size:           2
        .value_kind:     hidden_group_size_y
      - .offset:         224
        .size:           2
        .value_kind:     hidden_group_size_z
      - .offset:         226
        .size:           2
        .value_kind:     hidden_remainder_x
      - .offset:         228
        .size:           2
        .value_kind:     hidden_remainder_y
      - .offset:         230
        .size:           2
        .value_kind:     hidden_remainder_z
      - .offset:         248
        .size:           8
        .value_kind:     hidden_global_offset_x
      - .offset:         256
        .size:           8
        .value_kind:     hidden_global_offset_y
      - .offset:         264
        .size:           8
        .value_kind:     hidden_global_offset_z
      - .offset:         272
        .size:           2
        .value_kind:     hidden_grid_dims
    .group_segment_fixed_size: 29696
    .kernarg_segment_align: 8
    .kernarg_segment_size: 464
    .language:       OpenCL C
    .language_version:
      - 2
      - 0
    .max_flat_workgroup_size: 256
    .name:           _ZL15flash_attn_tileILi64ELi64ELi64ELi1ELb0EEvPKcS1_S1_S1_S1_PKiPfP15HIP_vector_typeIfLj2EEffffjfiS5_IjLj3EEiiiiiiiiiiiliiliiiiil
    .private_segment_fixed_size: 32
    .sgpr_count:     62
    .sgpr_spill_count: 0
    .symbol:         _ZL15flash_attn_tileILi64ELi64ELi64ELi1ELb0EEvPKcS1_S1_S1_S1_PKiPfP15HIP_vector_typeIfLj2EEffffjfiS5_IjLj3EEiiiiiiiiiiiliiliiiiil.kd
    .uniform_work_group_size: 1
    .uses_dynamic_stack: false
    .vgpr_count:     140
    .vgpr_spill_count: 0
    .wavefront_size: 64
  - .agpr_count:     0
    .args:
      - .actual_access:  read_only
        .address_space:  global
        .offset:         0
        .size:           8
        .value_kind:     global_buffer
      - .actual_access:  write_only
        .address_space:  global
        .offset:         8
        .size:           8
        .value_kind:     global_buffer
      - .offset:         16
        .size:           4
        .value_kind:     by_value
      - .offset:         20
        .size:           4
        .value_kind:     by_value
      - .offset:         24
        .size:           4
        .value_kind:     by_value
      - .offset:         32
        .size:           4
        .value_kind:     hidden_block_count_x
      - .offset:         36
        .size:           4
        .value_kind:     hidden_block_count_y
      - .offset:         40
        .size:           4
        .value_kind:     hidden_block_count_z
      - .offset:         44
        .size:           2
        .value_kind:     hidden_group_size_x
      - .offset:         46
        .size:           2
        .value_kind:     hidden_group_size_y
      - .offset:         48
        .size:           2
        .value_kind:     hidden_group_size_z
      - .offset:         50
        .size:           2
        .value_kind:     hidden_remainder_x
      - .offset:         52
        .size:           2
        .value_kind:     hidden_remainder_y
      - .offset:         54
        .size:           2
        .value_kind:     hidden_remainder_z
      - .offset:         72
        .size:           8
        .value_kind:     hidden_global_offset_x
      - .offset:         80
        .size:           8
        .value_kind:     hidden_global_offset_y
      - .offset:         88
        .size:           8
        .value_kind:     hidden_global_offset_z
      - .offset:         96
        .size:           2
        .value_kind:     hidden_grid_dims
    .group_segment_fixed_size: 128
    .kernarg_segment_align: 8
    .kernarg_segment_size: 288
    .language:       OpenCL C
    .language_version:
      - 2
      - 0
    .max_flat_workgroup_size: 128
    .name:           _ZL25flash_attn_mask_to_KV_maxILi64EEvPK7__half2Piiii
    .private_segment_fixed_size: 0
    .sgpr_count:     100
    .sgpr_spill_count: 176
    .symbol:         _ZL25flash_attn_mask_to_KV_maxILi64EEvPK7__half2Piiii.kd
    .uniform_work_group_size: 1
    .uses_dynamic_stack: false
    .vgpr_count:     15
    .vgpr_spill_count: 0
    .wavefront_size: 64
  - .agpr_count:     0
    .args:
      - .address_space:  global
        .offset:         0
        .size:           8
        .value_kind:     global_buffer
      - .address_space:  global
        .offset:         8
        .size:           8
        .value_kind:     global_buffer
      - .offset:         16
        .size:           4
        .value_kind:     by_value
      - .offset:         20
        .size:           4
        .value_kind:     by_value
      - .offset:         24
        .size:           4
        .value_kind:     by_value
      - .offset:         28
        .size:           4
        .value_kind:     by_value
      - .offset:         32
        .size:           4
        .value_kind:     by_value
      - .offset:         36
        .size:           4
        .value_kind:     by_value
      - .offset:         40
        .size:           12
        .value_kind:     by_value
      - .offset:         52
        .size:           12
        .value_kind:     by_value
      - .offset:         64
        .size:           12
        .value_kind:     by_value
    .group_segment_fixed_size: 0
    .kernarg_segment_align: 8
    .kernarg_segment_size: 76
    .language:       OpenCL C
    .language_version:
      - 2
      - 0
    .max_flat_workgroup_size: 64
    .name:           _ZL33flash_attn_stream_k_fixup_uniformILi64ELi64ELi1EEvPfPK15HIP_vector_typeIfLj2EEiiiiiiS1_IjLj3EES5_S5_
    .private_segment_fixed_size: 0
    .sgpr_count:     24
    .sgpr_spill_count: 0
    .symbol:         _ZL33flash_attn_stream_k_fixup_uniformILi64ELi64ELi1EEvPfPK15HIP_vector_typeIfLj2EEiiiiiiS1_IjLj3EES5_S5_.kd
    .uniform_work_group_size: 1
    .uses_dynamic_stack: false
    .vgpr_count:     17
    .vgpr_spill_count: 0
    .wavefront_size: 64
  - .agpr_count:     0
    .args:
      - .address_space:  global
        .offset:         0
        .size:           8
        .value_kind:     global_buffer
      - .address_space:  global
        .offset:         8
        .size:           8
        .value_kind:     global_buffer
      - .offset:         16
        .size:           4
        .value_kind:     by_value
      - .offset:         20
        .size:           4
        .value_kind:     by_value
      - .offset:         24
        .size:           4
        .value_kind:     by_value
      - .offset:         28
        .size:           4
        .value_kind:     by_value
      - .offset:         32
        .size:           12
        .value_kind:     by_value
      - .offset:         44
        .size:           12
        .value_kind:     by_value
      - .offset:         56
        .size:           12
        .value_kind:     by_value
      - .offset:         68
        .size:           12
        .value_kind:     by_value
      - .offset:         80
        .size:           4
        .value_kind:     hidden_block_count_x
      - .offset:         84
        .size:           4
        .value_kind:     hidden_block_count_y
      - .offset:         88
        .size:           4
        .value_kind:     hidden_block_count_z
      - .offset:         92
        .size:           2
        .value_kind:     hidden_group_size_x
      - .offset:         94
        .size:           2
        .value_kind:     hidden_group_size_y
      - .offset:         96
        .size:           2
        .value_kind:     hidden_group_size_z
      - .offset:         98
        .size:           2
        .value_kind:     hidden_remainder_x
      - .offset:         100
        .size:           2
        .value_kind:     hidden_remainder_y
      - .offset:         102
        .size:           2
        .value_kind:     hidden_remainder_z
      - .offset:         120
        .size:           8
        .value_kind:     hidden_global_offset_x
      - .offset:         128
        .size:           8
        .value_kind:     hidden_global_offset_y
      - .offset:         136
        .size:           8
        .value_kind:     hidden_global_offset_z
      - .offset:         144
        .size:           2
        .value_kind:     hidden_grid_dims
    .group_segment_fixed_size: 0
    .kernarg_segment_align: 8
    .kernarg_segment_size: 336
    .language:       OpenCL C
    .language_version:
      - 2
      - 0
    .max_flat_workgroup_size: 64
    .name:           _ZL33flash_attn_stream_k_fixup_generalILi64ELi64ELi1EEvPfPK15HIP_vector_typeIfLj2EEiiiiS1_IjLj3EES5_S5_S5_
    .private_segment_fixed_size: 0
    .sgpr_count:     36
    .sgpr_spill_count: 0
    .symbol:         _ZL33flash_attn_stream_k_fixup_generalILi64ELi64ELi1EEvPfPK15HIP_vector_typeIfLj2EEiiiiS1_IjLj3EES5_S5_S5_.kd
    .uniform_work_group_size: 1
    .uses_dynamic_stack: false
    .vgpr_count:     22
    .vgpr_spill_count: 0
    .wavefront_size: 64
  - .agpr_count:     0
    .args:
      - .address_space:  global
        .offset:         0
        .size:           8
        .value_kind:     global_buffer
      - .address_space:  global
        .offset:         8
        .size:           8
        .value_kind:     global_buffer
      - .address_space:  global
        .offset:         16
        .size:           8
        .value_kind:     global_buffer
      - .address_space:  global
        .offset:         24
        .size:           8
        .value_kind:     global_buffer
      - .address_space:  global
        .offset:         32
        .size:           8
        .value_kind:     global_buffer
      - .address_space:  global
        .offset:         40
        .size:           8
        .value_kind:     global_buffer
      - .address_space:  global
        .offset:         48
        .size:           8
        .value_kind:     global_buffer
      - .address_space:  global
        .offset:         56
        .size:           8
        .value_kind:     global_buffer
      - .offset:         64
        .size:           4
        .value_kind:     by_value
      - .offset:         68
        .size:           4
        .value_kind:     by_value
      - .offset:         72
        .size:           4
        .value_kind:     by_value
      - .offset:         76
        .size:           4
        .value_kind:     by_value
      - .offset:         80
        .size:           4
        .value_kind:     by_value
      - .offset:         84
        .size:           4
        .value_kind:     by_value
      - .offset:         88
        .size:           4
        .value_kind:     by_value
      - .offset:         92
        .size:           12
        .value_kind:     by_value
      - .offset:         104
        .size:           4
        .value_kind:     by_value
      - .offset:         108
        .size:           4
        .value_kind:     by_value
      - .offset:         112
        .size:           4
        .value_kind:     by_value
      - .offset:         116
        .size:           4
        .value_kind:     by_value
      - .offset:         120
        .size:           4
        .value_kind:     by_value
      - .offset:         124
        .size:           4
        .value_kind:     by_value
      - .offset:         128
        .size:           4
        .value_kind:     by_value
      - .offset:         132
        .size:           4
        .value_kind:     by_value
      - .offset:         136
        .size:           4
        .value_kind:     by_value
      - .offset:         140
        .size:           4
        .value_kind:     by_value
      - .offset:         144
        .size:           4
        .value_kind:     by_value
      - .offset:         152
        .size:           8
        .value_kind:     by_value
      - .offset:         160
        .size:           4
        .value_kind:     by_value
      - .offset:         164
        .size:           4
        .value_kind:     by_value
      - .offset:         168
        .size:           8
        .value_kind:     by_value
      - .offset:         176
        .size:           4
        .value_kind:     by_value
      - .offset:         180
        .size:           4
        .value_kind:     by_value
      - .offset:         184
        .size:           4
        .value_kind:     by_value
      - .offset:         188
        .size:           4
        .value_kind:     by_value
      - .offset:         192
        .size:           4
        .value_kind:     by_value
      - .offset:         200
        .size:           8
        .value_kind:     by_value
      - .offset:         208
        .size:           4
        .value_kind:     hidden_block_count_x
      - .offset:         212
        .size:           4
        .value_kind:     hidden_block_count_y
      - .offset:         216
        .size:           4
        .value_kind:     hidden_block_count_z
      - .offset:         220
        .size:           2
        .value_kind:     hidden_group_size_x
      - .offset:         222
        .size:           2
        .value_kind:     hidden_group_size_y
      - .offset:         224
        .size:           2
        .value_kind:     hidden_group_size_z
      - .offset:         226
        .size:           2
        .value_kind:     hidden_remainder_x
      - .offset:         228
        .size:           2
        .value_kind:     hidden_remainder_y
      - .offset:         230
        .size:           2
        .value_kind:     hidden_remainder_z
      - .offset:         248
        .size:           8
        .value_kind:     hidden_global_offset_x
      - .offset:         256
        .size:           8
        .value_kind:     hidden_global_offset_y
      - .offset:         264
        .size:           8
        .value_kind:     hidden_global_offset_z
      - .offset:         272
        .size:           2
        .value_kind:     hidden_grid_dims
    .group_segment_fixed_size: 21504
    .kernarg_segment_align: 8
    .kernarg_segment_size: 464
    .language:       OpenCL C
    .language_version:
      - 2
      - 0
    .max_flat_workgroup_size: 256
    .name:           _ZL15flash_attn_tileILi64ELi64ELi32ELi1ELb0EEvPKcS1_S1_S1_S1_PKiPfP15HIP_vector_typeIfLj2EEffffjfiS5_IjLj3EEiiiiiiiiiiiliiliiiiil
    .private_segment_fixed_size: 32
    .sgpr_count:     62
    .sgpr_spill_count: 0
    .symbol:         _ZL15flash_attn_tileILi64ELi64ELi32ELi1ELb0EEvPKcS1_S1_S1_S1_PKiPfP15HIP_vector_typeIfLj2EEffffjfiS5_IjLj3EEiiiiiiiiiiiliiliiiiil.kd
    .uniform_work_group_size: 1
    .uses_dynamic_stack: false
    .vgpr_count:     90
    .vgpr_spill_count: 0
    .wavefront_size: 64
  - .agpr_count:     0
    .args:
      - .address_space:  global
        .offset:         0
        .size:           8
        .value_kind:     global_buffer
      - .address_space:  global
        .offset:         8
        .size:           8
        .value_kind:     global_buffer
      - .offset:         16
        .size:           4
        .value_kind:     by_value
      - .offset:         20
        .size:           4
        .value_kind:     by_value
      - .offset:         24
        .size:           4
        .value_kind:     by_value
      - .offset:         28
        .size:           4
        .value_kind:     by_value
      - .offset:         32
        .size:           4
        .value_kind:     by_value
      - .offset:         36
        .size:           4
        .value_kind:     by_value
      - .offset:         40
        .size:           12
        .value_kind:     by_value
      - .offset:         52
        .size:           12
        .value_kind:     by_value
      - .offset:         64
        .size:           12
        .value_kind:     by_value
    .group_segment_fixed_size: 0
    .kernarg_segment_align: 8
    .kernarg_segment_size: 76
    .language:       OpenCL C
    .language_version:
      - 2
      - 0
    .max_flat_workgroup_size: 64
    .name:           _ZL33flash_attn_stream_k_fixup_uniformILi64ELi32ELi1EEvPfPK15HIP_vector_typeIfLj2EEiiiiiiS1_IjLj3EES5_S5_
    .private_segment_fixed_size: 0
    .sgpr_count:     24
    .sgpr_spill_count: 0
    .symbol:         _ZL33flash_attn_stream_k_fixup_uniformILi64ELi32ELi1EEvPfPK15HIP_vector_typeIfLj2EEiiiiiiS1_IjLj3EES5_S5_.kd
    .uniform_work_group_size: 1
    .uses_dynamic_stack: false
    .vgpr_count:     17
    .vgpr_spill_count: 0
    .wavefront_size: 64
  - .agpr_count:     0
    .args:
      - .address_space:  global
        .offset:         0
        .size:           8
        .value_kind:     global_buffer
      - .address_space:  global
        .offset:         8
        .size:           8
        .value_kind:     global_buffer
      - .offset:         16
        .size:           4
        .value_kind:     by_value
      - .offset:         20
        .size:           4
        .value_kind:     by_value
      - .offset:         24
        .size:           4
        .value_kind:     by_value
      - .offset:         28
        .size:           4
        .value_kind:     by_value
      - .offset:         32
        .size:           12
        .value_kind:     by_value
      - .offset:         44
        .size:           12
        .value_kind:     by_value
      - .offset:         56
        .size:           12
        .value_kind:     by_value
      - .offset:         68
        .size:           12
        .value_kind:     by_value
      - .offset:         80
        .size:           4
        .value_kind:     hidden_block_count_x
      - .offset:         84
        .size:           4
        .value_kind:     hidden_block_count_y
      - .offset:         88
        .size:           4
        .value_kind:     hidden_block_count_z
      - .offset:         92
        .size:           2
        .value_kind:     hidden_group_size_x
      - .offset:         94
        .size:           2
        .value_kind:     hidden_group_size_y
      - .offset:         96
        .size:           2
        .value_kind:     hidden_group_size_z
      - .offset:         98
        .size:           2
        .value_kind:     hidden_remainder_x
      - .offset:         100
        .size:           2
        .value_kind:     hidden_remainder_y
      - .offset:         102
        .size:           2
        .value_kind:     hidden_remainder_z
      - .offset:         120
        .size:           8
        .value_kind:     hidden_global_offset_x
      - .offset:         128
        .size:           8
        .value_kind:     hidden_global_offset_y
      - .offset:         136
        .size:           8
        .value_kind:     hidden_global_offset_z
      - .offset:         144
        .size:           2
        .value_kind:     hidden_grid_dims
    .group_segment_fixed_size: 0
    .kernarg_segment_align: 8
    .kernarg_segment_size: 336
    .language:       OpenCL C
    .language_version:
      - 2
      - 0
    .max_flat_workgroup_size: 64
    .name:           _ZL33flash_attn_stream_k_fixup_generalILi64ELi32ELi1EEvPfPK15HIP_vector_typeIfLj2EEiiiiS1_IjLj3EES5_S5_S5_
    .private_segment_fixed_size: 0
    .sgpr_count:     36
    .sgpr_spill_count: 0
    .symbol:         _ZL33flash_attn_stream_k_fixup_generalILi64ELi32ELi1EEvPfPK15HIP_vector_typeIfLj2EEiiiiS1_IjLj3EES5_S5_S5_.kd
    .uniform_work_group_size: 1
    .uses_dynamic_stack: false
    .vgpr_count:     22
    .vgpr_spill_count: 0
    .wavefront_size: 64
  - .agpr_count:     0
    .args:
      - .address_space:  global
        .offset:         0
        .size:           8
        .value_kind:     global_buffer
      - .address_space:  global
        .offset:         8
        .size:           8
        .value_kind:     global_buffer
      - .address_space:  global
        .offset:         16
        .size:           8
        .value_kind:     global_buffer
      - .address_space:  global
        .offset:         24
        .size:           8
        .value_kind:     global_buffer
      - .address_space:  global
        .offset:         32
        .size:           8
        .value_kind:     global_buffer
      - .address_space:  global
        .offset:         40
        .size:           8
        .value_kind:     global_buffer
      - .address_space:  global
        .offset:         48
        .size:           8
        .value_kind:     global_buffer
      - .address_space:  global
        .offset:         56
        .size:           8
        .value_kind:     global_buffer
      - .offset:         64
        .size:           4
        .value_kind:     by_value
      - .offset:         68
        .size:           4
        .value_kind:     by_value
      - .offset:         72
        .size:           4
        .value_kind:     by_value
      - .offset:         76
        .size:           4
        .value_kind:     by_value
      - .offset:         80
        .size:           4
        .value_kind:     by_value
      - .offset:         84
        .size:           4
        .value_kind:     by_value
      - .offset:         88
        .size:           4
        .value_kind:     by_value
      - .offset:         92
        .size:           12
        .value_kind:     by_value
      - .offset:         104
        .size:           4
        .value_kind:     by_value
      - .offset:         108
        .size:           4
        .value_kind:     by_value
      - .offset:         112
        .size:           4
        .value_kind:     by_value
      - .offset:         116
        .size:           4
        .value_kind:     by_value
      - .offset:         120
        .size:           4
        .value_kind:     by_value
      - .offset:         124
        .size:           4
        .value_kind:     by_value
      - .offset:         128
        .size:           4
        .value_kind:     by_value
      - .offset:         132
        .size:           4
        .value_kind:     by_value
      - .offset:         136
        .size:           4
        .value_kind:     by_value
      - .offset:         140
        .size:           4
        .value_kind:     by_value
      - .offset:         144
        .size:           4
        .value_kind:     by_value
      - .offset:         152
        .size:           8
        .value_kind:     by_value
      - .offset:         160
        .size:           4
        .value_kind:     by_value
      - .offset:         164
        .size:           4
        .value_kind:     by_value
      - .offset:         168
        .size:           8
        .value_kind:     by_value
      - .offset:         176
        .size:           4
        .value_kind:     by_value
      - .offset:         180
        .size:           4
        .value_kind:     by_value
      - .offset:         184
        .size:           4
        .value_kind:     by_value
      - .offset:         188
        .size:           4
        .value_kind:     by_value
      - .offset:         192
        .size:           4
        .value_kind:     by_value
      - .offset:         200
        .size:           8
        .value_kind:     by_value
      - .offset:         208
        .size:           4
        .value_kind:     hidden_block_count_x
      - .offset:         212
        .size:           4
        .value_kind:     hidden_block_count_y
      - .offset:         216
        .size:           4
        .value_kind:     hidden_block_count_z
      - .offset:         220
        .size:           2
        .value_kind:     hidden_group_size_x
      - .offset:         222
        .size:           2
        .value_kind:     hidden_group_size_y
      - .offset:         224
        .size:           2
        .value_kind:     hidden_group_size_z
      - .offset:         226
        .size:           2
        .value_kind:     hidden_remainder_x
      - .offset:         228
        .size:           2
        .value_kind:     hidden_remainder_y
      - .offset:         230
        .size:           2
        .value_kind:     hidden_remainder_z
      - .offset:         248
        .size:           8
        .value_kind:     hidden_global_offset_x
      - .offset:         256
        .size:           8
        .value_kind:     hidden_global_offset_y
      - .offset:         264
        .size:           8
        .value_kind:     hidden_global_offset_z
      - .offset:         272
        .size:           2
        .value_kind:     hidden_grid_dims
    .group_segment_fixed_size: 32768
    .kernarg_segment_align: 8
    .kernarg_segment_size: 464
    .language:       OpenCL C
    .language_version:
      - 2
      - 0
    .max_flat_workgroup_size: 256
    .name:           _ZL15flash_attn_tileILi64ELi64ELi16ELi1ELb0EEvPKcS1_S1_S1_S1_PKiPfP15HIP_vector_typeIfLj2EEffffjfiS5_IjLj3EEiiiiiiiiiiiliiliiiiil
    .private_segment_fixed_size: 0
    .sgpr_count:     56
    .sgpr_spill_count: 0
    .symbol:         _ZL15flash_attn_tileILi64ELi64ELi16ELi1ELb0EEvPKcS1_S1_S1_S1_PKiPfP15HIP_vector_typeIfLj2EEffffjfiS5_IjLj3EEiiiiiiiiiiiliiliiiiil.kd
    .uniform_work_group_size: 1
    .uses_dynamic_stack: false
    .vgpr_count:     120
    .vgpr_spill_count: 0
    .wavefront_size: 64
  - .agpr_count:     0
    .args:
      - .address_space:  global
        .offset:         0
        .size:           8
        .value_kind:     global_buffer
      - .address_space:  global
        .offset:         8
        .size:           8
        .value_kind:     global_buffer
      - .offset:         16
        .size:           4
        .value_kind:     by_value
      - .offset:         20
        .size:           4
        .value_kind:     by_value
      - .offset:         24
        .size:           4
        .value_kind:     by_value
      - .offset:         28
        .size:           4
        .value_kind:     by_value
      - .offset:         32
        .size:           4
        .value_kind:     by_value
      - .offset:         36
        .size:           4
        .value_kind:     by_value
      - .offset:         40
        .size:           12
        .value_kind:     by_value
      - .offset:         52
        .size:           12
        .value_kind:     by_value
      - .offset:         64
        .size:           12
        .value_kind:     by_value
    .group_segment_fixed_size: 0
    .kernarg_segment_align: 8
    .kernarg_segment_size: 76
    .language:       OpenCL C
    .language_version:
      - 2
      - 0
    .max_flat_workgroup_size: 64
    .name:           _ZL33flash_attn_stream_k_fixup_uniformILi64ELi16ELi1EEvPfPK15HIP_vector_typeIfLj2EEiiiiiiS1_IjLj3EES5_S5_
    .private_segment_fixed_size: 0
    .sgpr_count:     24
    .sgpr_spill_count: 0
    .symbol:         _ZL33flash_attn_stream_k_fixup_uniformILi64ELi16ELi1EEvPfPK15HIP_vector_typeIfLj2EEiiiiiiS1_IjLj3EES5_S5_.kd
    .uniform_work_group_size: 1
    .uses_dynamic_stack: false
    .vgpr_count:     17
    .vgpr_spill_count: 0
    .wavefront_size: 64
  - .agpr_count:     0
    .args:
      - .address_space:  global
        .offset:         0
        .size:           8
        .value_kind:     global_buffer
      - .address_space:  global
        .offset:         8
        .size:           8
        .value_kind:     global_buffer
      - .offset:         16
        .size:           4
        .value_kind:     by_value
      - .offset:         20
        .size:           4
        .value_kind:     by_value
      - .offset:         24
        .size:           4
        .value_kind:     by_value
      - .offset:         28
        .size:           4
        .value_kind:     by_value
      - .offset:         32
        .size:           12
        .value_kind:     by_value
      - .offset:         44
        .size:           12
        .value_kind:     by_value
      - .offset:         56
        .size:           12
        .value_kind:     by_value
      - .offset:         68
        .size:           12
        .value_kind:     by_value
      - .offset:         80
        .size:           4
        .value_kind:     hidden_block_count_x
      - .offset:         84
        .size:           4
        .value_kind:     hidden_block_count_y
      - .offset:         88
        .size:           4
        .value_kind:     hidden_block_count_z
      - .offset:         92
        .size:           2
        .value_kind:     hidden_group_size_x
      - .offset:         94
        .size:           2
        .value_kind:     hidden_group_size_y
      - .offset:         96
        .size:           2
        .value_kind:     hidden_group_size_z
      - .offset:         98
        .size:           2
        .value_kind:     hidden_remainder_x
      - .offset:         100
        .size:           2
        .value_kind:     hidden_remainder_y
      - .offset:         102
        .size:           2
        .value_kind:     hidden_remainder_z
      - .offset:         120
        .size:           8
        .value_kind:     hidden_global_offset_x
      - .offset:         128
        .size:           8
        .value_kind:     hidden_global_offset_y
      - .offset:         136
        .size:           8
        .value_kind:     hidden_global_offset_z
      - .offset:         144
        .size:           2
        .value_kind:     hidden_grid_dims
    .group_segment_fixed_size: 0
    .kernarg_segment_align: 8
    .kernarg_segment_size: 336
    .language:       OpenCL C
    .language_version:
      - 2
      - 0
    .max_flat_workgroup_size: 64
    .name:           _ZL33flash_attn_stream_k_fixup_generalILi64ELi16ELi1EEvPfPK15HIP_vector_typeIfLj2EEiiiiS1_IjLj3EES5_S5_S5_
    .private_segment_fixed_size: 0
    .sgpr_count:     36
    .sgpr_spill_count: 0
    .symbol:         _ZL33flash_attn_stream_k_fixup_generalILi64ELi16ELi1EEvPfPK15HIP_vector_typeIfLj2EEiiiiS1_IjLj3EES5_S5_S5_.kd
    .uniform_work_group_size: 1
    .uses_dynamic_stack: false
    .vgpr_count:     22
    .vgpr_spill_count: 0
    .wavefront_size: 64
  - .agpr_count:     0
    .args:
      - .address_space:  global
        .offset:         0
        .size:           8
        .value_kind:     global_buffer
      - .address_space:  global
        .offset:         8
        .size:           8
        .value_kind:     global_buffer
      - .address_space:  global
        .offset:         16
        .size:           8
        .value_kind:     global_buffer
      - .address_space:  global
        .offset:         24
        .size:           8
        .value_kind:     global_buffer
      - .address_space:  global
        .offset:         32
        .size:           8
        .value_kind:     global_buffer
      - .address_space:  global
        .offset:         40
        .size:           8
        .value_kind:     global_buffer
      - .address_space:  global
        .offset:         48
        .size:           8
        .value_kind:     global_buffer
      - .address_space:  global
        .offset:         56
        .size:           8
        .value_kind:     global_buffer
      - .offset:         64
        .size:           4
        .value_kind:     by_value
      - .offset:         68
        .size:           4
        .value_kind:     by_value
      - .offset:         72
        .size:           4
        .value_kind:     by_value
      - .offset:         76
        .size:           4
        .value_kind:     by_value
      - .offset:         80
        .size:           4
        .value_kind:     by_value
      - .offset:         84
        .size:           4
        .value_kind:     by_value
      - .offset:         88
        .size:           4
        .value_kind:     by_value
      - .offset:         92
        .size:           12
        .value_kind:     by_value
      - .offset:         104
        .size:           4
        .value_kind:     by_value
      - .offset:         108
        .size:           4
        .value_kind:     by_value
      - .offset:         112
        .size:           4
        .value_kind:     by_value
      - .offset:         116
        .size:           4
        .value_kind:     by_value
      - .offset:         120
        .size:           4
        .value_kind:     by_value
      - .offset:         124
        .size:           4
        .value_kind:     by_value
      - .offset:         128
        .size:           4
        .value_kind:     by_value
      - .offset:         132
        .size:           4
        .value_kind:     by_value
      - .offset:         136
        .size:           4
        .value_kind:     by_value
      - .offset:         140
        .size:           4
        .value_kind:     by_value
      - .offset:         144
        .size:           4
        .value_kind:     by_value
      - .offset:         152
        .size:           8
        .value_kind:     by_value
      - .offset:         160
        .size:           4
        .value_kind:     by_value
      - .offset:         164
        .size:           4
        .value_kind:     by_value
      - .offset:         168
        .size:           8
        .value_kind:     by_value
      - .offset:         176
        .size:           4
        .value_kind:     by_value
      - .offset:         180
        .size:           4
        .value_kind:     by_value
      - .offset:         184
        .size:           4
        .value_kind:     by_value
      - .offset:         188
        .size:           4
        .value_kind:     by_value
      - .offset:         192
        .size:           4
        .value_kind:     by_value
      - .offset:         200
        .size:           8
        .value_kind:     by_value
      - .offset:         208
        .size:           4
        .value_kind:     hidden_block_count_x
      - .offset:         212
        .size:           4
        .value_kind:     hidden_block_count_y
      - .offset:         216
        .size:           4
        .value_kind:     hidden_block_count_z
      - .offset:         220
        .size:           2
        .value_kind:     hidden_group_size_x
      - .offset:         222
        .size:           2
        .value_kind:     hidden_group_size_y
      - .offset:         224
        .size:           2
        .value_kind:     hidden_group_size_z
      - .offset:         226
        .size:           2
        .value_kind:     hidden_remainder_x
      - .offset:         228
        .size:           2
        .value_kind:     hidden_remainder_y
      - .offset:         230
        .size:           2
        .value_kind:     hidden_remainder_z
      - .offset:         248
        .size:           8
        .value_kind:     hidden_global_offset_x
      - .offset:         256
        .size:           8
        .value_kind:     hidden_global_offset_y
      - .offset:         264
        .size:           8
        .value_kind:     hidden_global_offset_z
      - .offset:         272
        .size:           2
        .value_kind:     hidden_grid_dims
    .group_segment_fixed_size: 6144
    .kernarg_segment_align: 8
    .kernarg_segment_size: 464
    .language:       OpenCL C
    .language_version:
      - 2
      - 0
    .max_flat_workgroup_size: 128
    .name:           _ZL15flash_attn_tileILi64ELi64ELi8ELi1ELb0EEvPKcS1_S1_S1_S1_PKiPfP15HIP_vector_typeIfLj2EEffffjfiS5_IjLj3EEiiiiiiiiiiiliiliiiiil
    .private_segment_fixed_size: 32
    .sgpr_count:     62
    .sgpr_spill_count: 0
    .symbol:         _ZL15flash_attn_tileILi64ELi64ELi8ELi1ELb0EEvPKcS1_S1_S1_S1_PKiPfP15HIP_vector_typeIfLj2EEffffjfiS5_IjLj3EEiiiiiiiiiiiliiliiiiil.kd
    .uniform_work_group_size: 1
    .uses_dynamic_stack: false
    .vgpr_count:     89
    .vgpr_spill_count: 0
    .wavefront_size: 64
  - .agpr_count:     0
    .args:
      - .address_space:  global
        .offset:         0
        .size:           8
        .value_kind:     global_buffer
      - .address_space:  global
        .offset:         8
        .size:           8
        .value_kind:     global_buffer
      - .offset:         16
        .size:           4
        .value_kind:     by_value
      - .offset:         20
        .size:           4
        .value_kind:     by_value
      - .offset:         24
        .size:           4
        .value_kind:     by_value
      - .offset:         28
        .size:           4
        .value_kind:     by_value
      - .offset:         32
        .size:           4
        .value_kind:     by_value
      - .offset:         36
        .size:           4
        .value_kind:     by_value
      - .offset:         40
        .size:           12
        .value_kind:     by_value
      - .offset:         52
        .size:           12
        .value_kind:     by_value
      - .offset:         64
        .size:           12
        .value_kind:     by_value
    .group_segment_fixed_size: 0
    .kernarg_segment_align: 8
    .kernarg_segment_size: 76
    .language:       OpenCL C
    .language_version:
      - 2
      - 0
    .max_flat_workgroup_size: 64
    .name:           _ZL33flash_attn_stream_k_fixup_uniformILi64ELi8ELi1EEvPfPK15HIP_vector_typeIfLj2EEiiiiiiS1_IjLj3EES5_S5_
    .private_segment_fixed_size: 0
    .sgpr_count:     24
    .sgpr_spill_count: 0
    .symbol:         _ZL33flash_attn_stream_k_fixup_uniformILi64ELi8ELi1EEvPfPK15HIP_vector_typeIfLj2EEiiiiiiS1_IjLj3EES5_S5_.kd
    .uniform_work_group_size: 1
    .uses_dynamic_stack: false
    .vgpr_count:     17
    .vgpr_spill_count: 0
    .wavefront_size: 64
  - .agpr_count:     0
    .args:
      - .address_space:  global
        .offset:         0
        .size:           8
        .value_kind:     global_buffer
      - .address_space:  global
        .offset:         8
        .size:           8
        .value_kind:     global_buffer
      - .offset:         16
        .size:           4
        .value_kind:     by_value
      - .offset:         20
        .size:           4
        .value_kind:     by_value
      - .offset:         24
        .size:           4
        .value_kind:     by_value
      - .offset:         28
        .size:           4
        .value_kind:     by_value
      - .offset:         32
        .size:           12
        .value_kind:     by_value
      - .offset:         44
        .size:           12
        .value_kind:     by_value
      - .offset:         56
        .size:           12
        .value_kind:     by_value
      - .offset:         68
        .size:           12
        .value_kind:     by_value
      - .offset:         80
        .size:           4
        .value_kind:     hidden_block_count_x
      - .offset:         84
        .size:           4
        .value_kind:     hidden_block_count_y
      - .offset:         88
        .size:           4
        .value_kind:     hidden_block_count_z
      - .offset:         92
        .size:           2
        .value_kind:     hidden_group_size_x
      - .offset:         94
        .size:           2
        .value_kind:     hidden_group_size_y
      - .offset:         96
        .size:           2
        .value_kind:     hidden_group_size_z
      - .offset:         98
        .size:           2
        .value_kind:     hidden_remainder_x
      - .offset:         100
        .size:           2
        .value_kind:     hidden_remainder_y
      - .offset:         102
        .size:           2
        .value_kind:     hidden_remainder_z
      - .offset:         120
        .size:           8
        .value_kind:     hidden_global_offset_x
      - .offset:         128
        .size:           8
        .value_kind:     hidden_global_offset_y
      - .offset:         136
        .size:           8
        .value_kind:     hidden_global_offset_z
      - .offset:         144
        .size:           2
        .value_kind:     hidden_grid_dims
    .group_segment_fixed_size: 0
    .kernarg_segment_align: 8
    .kernarg_segment_size: 336
    .language:       OpenCL C
    .language_version:
      - 2
      - 0
    .max_flat_workgroup_size: 64
    .name:           _ZL33flash_attn_stream_k_fixup_generalILi64ELi8ELi1EEvPfPK15HIP_vector_typeIfLj2EEiiiiS1_IjLj3EES5_S5_S5_
    .private_segment_fixed_size: 0
    .sgpr_count:     36
    .sgpr_spill_count: 0
    .symbol:         _ZL33flash_attn_stream_k_fixup_generalILi64ELi8ELi1EEvPfPK15HIP_vector_typeIfLj2EEiiiiS1_IjLj3EES5_S5_S5_.kd
    .uniform_work_group_size: 1
    .uses_dynamic_stack: false
    .vgpr_count:     22
    .vgpr_spill_count: 0
    .wavefront_size: 64
  - .agpr_count:     0
    .args:
      - .address_space:  global
        .offset:         0
        .size:           8
        .value_kind:     global_buffer
      - .address_space:  global
        .offset:         8
        .size:           8
        .value_kind:     global_buffer
      - .address_space:  global
        .offset:         16
        .size:           8
        .value_kind:     global_buffer
      - .address_space:  global
        .offset:         24
        .size:           8
        .value_kind:     global_buffer
      - .address_space:  global
        .offset:         32
        .size:           8
        .value_kind:     global_buffer
      - .address_space:  global
        .offset:         40
        .size:           8
        .value_kind:     global_buffer
      - .address_space:  global
        .offset:         48
        .size:           8
        .value_kind:     global_buffer
      - .address_space:  global
        .offset:         56
        .size:           8
        .value_kind:     global_buffer
      - .offset:         64
        .size:           4
        .value_kind:     by_value
      - .offset:         68
        .size:           4
        .value_kind:     by_value
      - .offset:         72
        .size:           4
        .value_kind:     by_value
      - .offset:         76
        .size:           4
        .value_kind:     by_value
      - .offset:         80
        .size:           4
        .value_kind:     by_value
      - .offset:         84
        .size:           4
        .value_kind:     by_value
      - .offset:         88
        .size:           4
        .value_kind:     by_value
      - .offset:         92
        .size:           12
        .value_kind:     by_value
      - .offset:         104
        .size:           4
        .value_kind:     by_value
      - .offset:         108
        .size:           4
        .value_kind:     by_value
      - .offset:         112
        .size:           4
        .value_kind:     by_value
      - .offset:         116
        .size:           4
        .value_kind:     by_value
      - .offset:         120
        .size:           4
        .value_kind:     by_value
      - .offset:         124
        .size:           4
        .value_kind:     by_value
      - .offset:         128
        .size:           4
        .value_kind:     by_value
      - .offset:         132
        .size:           4
        .value_kind:     by_value
      - .offset:         136
        .size:           4
        .value_kind:     by_value
      - .offset:         140
        .size:           4
        .value_kind:     by_value
      - .offset:         144
        .size:           4
        .value_kind:     by_value
      - .offset:         152
        .size:           8
        .value_kind:     by_value
      - .offset:         160
        .size:           4
        .value_kind:     by_value
      - .offset:         164
        .size:           4
        .value_kind:     by_value
      - .offset:         168
        .size:           8
        .value_kind:     by_value
      - .offset:         176
        .size:           4
        .value_kind:     by_value
      - .offset:         180
        .size:           4
        .value_kind:     by_value
      - .offset:         184
        .size:           4
        .value_kind:     by_value
      - .offset:         188
        .size:           4
        .value_kind:     by_value
      - .offset:         192
        .size:           4
        .value_kind:     by_value
      - .offset:         200
        .size:           8
        .value_kind:     by_value
      - .offset:         208
        .size:           4
        .value_kind:     hidden_block_count_x
      - .offset:         212
        .size:           4
        .value_kind:     hidden_block_count_y
      - .offset:         216
        .size:           4
        .value_kind:     hidden_block_count_z
      - .offset:         220
        .size:           2
        .value_kind:     hidden_group_size_x
      - .offset:         222
        .size:           2
        .value_kind:     hidden_group_size_y
      - .offset:         224
        .size:           2
        .value_kind:     hidden_group_size_z
      - .offset:         226
        .size:           2
        .value_kind:     hidden_remainder_x
      - .offset:         228
        .size:           2
        .value_kind:     hidden_remainder_y
      - .offset:         230
        .size:           2
        .value_kind:     hidden_remainder_z
      - .offset:         248
        .size:           8
        .value_kind:     hidden_global_offset_x
      - .offset:         256
        .size:           8
        .value_kind:     hidden_global_offset_y
      - .offset:         264
        .size:           8
        .value_kind:     hidden_global_offset_z
      - .offset:         272
        .size:           2
        .value_kind:     hidden_grid_dims
    .group_segment_fixed_size: 10240
    .kernarg_segment_align: 8
    .kernarg_segment_size: 464
    .language:       OpenCL C
    .language_version:
      - 2
      - 0
    .max_flat_workgroup_size: 128
    .name:           _ZL15flash_attn_tileILi64ELi64ELi4ELi1ELb0EEvPKcS1_S1_S1_S1_PKiPfP15HIP_vector_typeIfLj2EEffffjfiS5_IjLj3EEiiiiiiiiiiiliiliiiiil
    .private_segment_fixed_size: 32
    .sgpr_count:     62
    .sgpr_spill_count: 0
    .symbol:         _ZL15flash_attn_tileILi64ELi64ELi4ELi1ELb0EEvPKcS1_S1_S1_S1_PKiPfP15HIP_vector_typeIfLj2EEffffjfiS5_IjLj3EEiiiiiiiiiiiliiliiiiil.kd
    .uniform_work_group_size: 1
    .uses_dynamic_stack: false
    .vgpr_count:     113
    .vgpr_spill_count: 0
    .wavefront_size: 64
  - .agpr_count:     0
    .args:
      - .address_space:  global
        .offset:         0
        .size:           8
        .value_kind:     global_buffer
      - .address_space:  global
        .offset:         8
        .size:           8
        .value_kind:     global_buffer
      - .offset:         16
        .size:           4
        .value_kind:     by_value
      - .offset:         20
        .size:           4
        .value_kind:     by_value
      - .offset:         24
        .size:           4
        .value_kind:     by_value
      - .offset:         28
        .size:           4
        .value_kind:     by_value
      - .offset:         32
        .size:           4
        .value_kind:     by_value
      - .offset:         36
        .size:           4
        .value_kind:     by_value
      - .offset:         40
        .size:           12
        .value_kind:     by_value
      - .offset:         52
        .size:           12
        .value_kind:     by_value
      - .offset:         64
        .size:           12
        .value_kind:     by_value
    .group_segment_fixed_size: 0
    .kernarg_segment_align: 8
    .kernarg_segment_size: 76
    .language:       OpenCL C
    .language_version:
      - 2
      - 0
    .max_flat_workgroup_size: 64
    .name:           _ZL33flash_attn_stream_k_fixup_uniformILi64ELi4ELi1EEvPfPK15HIP_vector_typeIfLj2EEiiiiiiS1_IjLj3EES5_S5_
    .private_segment_fixed_size: 0
    .sgpr_count:     24
    .sgpr_spill_count: 0
    .symbol:         _ZL33flash_attn_stream_k_fixup_uniformILi64ELi4ELi1EEvPfPK15HIP_vector_typeIfLj2EEiiiiiiS1_IjLj3EES5_S5_.kd
    .uniform_work_group_size: 1
    .uses_dynamic_stack: false
    .vgpr_count:     17
    .vgpr_spill_count: 0
    .wavefront_size: 64
  - .agpr_count:     0
    .args:
      - .address_space:  global
        .offset:         0
        .size:           8
        .value_kind:     global_buffer
      - .address_space:  global
        .offset:         8
        .size:           8
        .value_kind:     global_buffer
      - .offset:         16
        .size:           4
        .value_kind:     by_value
      - .offset:         20
        .size:           4
        .value_kind:     by_value
      - .offset:         24
        .size:           4
        .value_kind:     by_value
      - .offset:         28
        .size:           4
        .value_kind:     by_value
      - .offset:         32
        .size:           12
        .value_kind:     by_value
      - .offset:         44
        .size:           12
        .value_kind:     by_value
      - .offset:         56
        .size:           12
        .value_kind:     by_value
      - .offset:         68
        .size:           12
        .value_kind:     by_value
      - .offset:         80
        .size:           4
        .value_kind:     hidden_block_count_x
      - .offset:         84
        .size:           4
        .value_kind:     hidden_block_count_y
      - .offset:         88
        .size:           4
        .value_kind:     hidden_block_count_z
      - .offset:         92
        .size:           2
        .value_kind:     hidden_group_size_x
      - .offset:         94
        .size:           2
        .value_kind:     hidden_group_size_y
      - .offset:         96
        .size:           2
        .value_kind:     hidden_group_size_z
      - .offset:         98
        .size:           2
        .value_kind:     hidden_remainder_x
      - .offset:         100
        .size:           2
        .value_kind:     hidden_remainder_y
      - .offset:         102
        .size:           2
        .value_kind:     hidden_remainder_z
      - .offset:         120
        .size:           8
        .value_kind:     hidden_global_offset_x
      - .offset:         128
        .size:           8
        .value_kind:     hidden_global_offset_y
      - .offset:         136
        .size:           8
        .value_kind:     hidden_global_offset_z
      - .offset:         144
        .size:           2
        .value_kind:     hidden_grid_dims
    .group_segment_fixed_size: 0
    .kernarg_segment_align: 8
    .kernarg_segment_size: 336
    .language:       OpenCL C
    .language_version:
      - 2
      - 0
    .max_flat_workgroup_size: 64
    .name:           _ZL33flash_attn_stream_k_fixup_generalILi64ELi4ELi1EEvPfPK15HIP_vector_typeIfLj2EEiiiiS1_IjLj3EES5_S5_S5_
    .private_segment_fixed_size: 0
    .sgpr_count:     36
    .sgpr_spill_count: 0
    .symbol:         _ZL33flash_attn_stream_k_fixup_generalILi64ELi4ELi1EEvPfPK15HIP_vector_typeIfLj2EEiiiiS1_IjLj3EES5_S5_S5_.kd
    .uniform_work_group_size: 1
    .uses_dynamic_stack: false
    .vgpr_count:     22
    .vgpr_spill_count: 0
    .wavefront_size: 64
  - .agpr_count:     0
    .args:
      - .address_space:  global
        .offset:         0
        .size:           8
        .value_kind:     global_buffer
      - .address_space:  global
        .offset:         8
        .size:           8
        .value_kind:     global_buffer
      - .address_space:  global
        .offset:         16
        .size:           8
        .value_kind:     global_buffer
      - .address_space:  global
        .offset:         24
        .size:           8
        .value_kind:     global_buffer
      - .address_space:  global
        .offset:         32
        .size:           8
        .value_kind:     global_buffer
      - .address_space:  global
        .offset:         40
        .size:           8
        .value_kind:     global_buffer
      - .address_space:  global
        .offset:         48
        .size:           8
        .value_kind:     global_buffer
      - .address_space:  global
        .offset:         56
        .size:           8
        .value_kind:     global_buffer
      - .offset:         64
        .size:           4
        .value_kind:     by_value
      - .offset:         68
        .size:           4
        .value_kind:     by_value
      - .offset:         72
        .size:           4
        .value_kind:     by_value
      - .offset:         76
        .size:           4
        .value_kind:     by_value
      - .offset:         80
        .size:           4
        .value_kind:     by_value
      - .offset:         84
        .size:           4
        .value_kind:     by_value
      - .offset:         88
        .size:           4
        .value_kind:     by_value
      - .offset:         92
        .size:           12
        .value_kind:     by_value
      - .offset:         104
        .size:           4
        .value_kind:     by_value
      - .offset:         108
        .size:           4
        .value_kind:     by_value
      - .offset:         112
        .size:           4
        .value_kind:     by_value
      - .offset:         116
        .size:           4
        .value_kind:     by_value
      - .offset:         120
        .size:           4
        .value_kind:     by_value
      - .offset:         124
        .size:           4
        .value_kind:     by_value
      - .offset:         128
        .size:           4
        .value_kind:     by_value
      - .offset:         132
        .size:           4
        .value_kind:     by_value
      - .offset:         136
        .size:           4
        .value_kind:     by_value
      - .offset:         140
        .size:           4
        .value_kind:     by_value
      - .offset:         144
        .size:           4
        .value_kind:     by_value
      - .offset:         152
        .size:           8
        .value_kind:     by_value
      - .offset:         160
        .size:           4
        .value_kind:     by_value
      - .offset:         164
        .size:           4
        .value_kind:     by_value
      - .offset:         168
        .size:           8
        .value_kind:     by_value
      - .offset:         176
        .size:           4
        .value_kind:     by_value
      - .offset:         180
        .size:           4
        .value_kind:     by_value
      - .offset:         184
        .size:           4
        .value_kind:     by_value
      - .offset:         188
        .size:           4
        .value_kind:     by_value
      - .offset:         192
        .size:           4
        .value_kind:     by_value
      - .offset:         200
        .size:           8
        .value_kind:     by_value
      - .offset:         208
        .size:           4
        .value_kind:     hidden_block_count_x
      - .offset:         212
        .size:           4
        .value_kind:     hidden_block_count_y
      - .offset:         216
        .size:           4
        .value_kind:     hidden_block_count_z
      - .offset:         220
        .size:           2
        .value_kind:     hidden_group_size_x
      - .offset:         222
        .size:           2
        .value_kind:     hidden_group_size_y
      - .offset:         224
        .size:           2
        .value_kind:     hidden_group_size_z
      - .offset:         226
        .size:           2
        .value_kind:     hidden_remainder_x
      - .offset:         228
        .size:           2
        .value_kind:     hidden_remainder_y
      - .offset:         230
        .size:           2
        .value_kind:     hidden_remainder_z
      - .offset:         248
        .size:           8
        .value_kind:     hidden_global_offset_x
      - .offset:         256
        .size:           8
        .value_kind:     hidden_global_offset_y
      - .offset:         264
        .size:           8
        .value_kind:     hidden_global_offset_z
      - .offset:         272
        .size:           2
        .value_kind:     hidden_grid_dims
    .group_segment_fixed_size: 4992
    .kernarg_segment_align: 8
    .kernarg_segment_size: 464
    .language:       OpenCL C
    .language_version:
      - 2
      - 0
    .max_flat_workgroup_size: 64
    .name:           _ZL15flash_attn_tileILi64ELi64ELi2ELi1ELb0EEvPKcS1_S1_S1_S1_PKiPfP15HIP_vector_typeIfLj2EEffffjfiS5_IjLj3EEiiiiiiiiiiiliiliiiiil
    .private_segment_fixed_size: 32
    .sgpr_count:     62
    .sgpr_spill_count: 0
    .symbol:         _ZL15flash_attn_tileILi64ELi64ELi2ELi1ELb0EEvPKcS1_S1_S1_S1_PKiPfP15HIP_vector_typeIfLj2EEffffjfiS5_IjLj3EEiiiiiiiiiiiliiliiiiil.kd
    .uniform_work_group_size: 1
    .uses_dynamic_stack: false
    .vgpr_count:     66
    .vgpr_spill_count: 0
    .wavefront_size: 64
  - .agpr_count:     0
    .args:
      - .address_space:  global
        .offset:         0
        .size:           8
        .value_kind:     global_buffer
      - .address_space:  global
        .offset:         8
        .size:           8
        .value_kind:     global_buffer
      - .offset:         16
        .size:           4
        .value_kind:     by_value
      - .offset:         20
        .size:           4
        .value_kind:     by_value
      - .offset:         24
        .size:           4
        .value_kind:     by_value
      - .offset:         28
        .size:           4
        .value_kind:     by_value
      - .offset:         32
        .size:           4
        .value_kind:     by_value
      - .offset:         36
        .size:           4
        .value_kind:     by_value
      - .offset:         40
        .size:           12
        .value_kind:     by_value
      - .offset:         52
        .size:           12
        .value_kind:     by_value
      - .offset:         64
        .size:           12
        .value_kind:     by_value
    .group_segment_fixed_size: 0
    .kernarg_segment_align: 8
    .kernarg_segment_size: 76
    .language:       OpenCL C
    .language_version:
      - 2
      - 0
    .max_flat_workgroup_size: 64
    .name:           _ZL33flash_attn_stream_k_fixup_uniformILi64ELi2ELi1EEvPfPK15HIP_vector_typeIfLj2EEiiiiiiS1_IjLj3EES5_S5_
    .private_segment_fixed_size: 0
    .sgpr_count:     24
    .sgpr_spill_count: 0
    .symbol:         _ZL33flash_attn_stream_k_fixup_uniformILi64ELi2ELi1EEvPfPK15HIP_vector_typeIfLj2EEiiiiiiS1_IjLj3EES5_S5_.kd
    .uniform_work_group_size: 1
    .uses_dynamic_stack: false
    .vgpr_count:     17
    .vgpr_spill_count: 0
    .wavefront_size: 64
  - .agpr_count:     0
    .args:
      - .address_space:  global
        .offset:         0
        .size:           8
        .value_kind:     global_buffer
      - .address_space:  global
        .offset:         8
        .size:           8
        .value_kind:     global_buffer
      - .offset:         16
        .size:           4
        .value_kind:     by_value
      - .offset:         20
        .size:           4
        .value_kind:     by_value
      - .offset:         24
        .size:           4
        .value_kind:     by_value
      - .offset:         28
        .size:           4
        .value_kind:     by_value
      - .offset:         32
        .size:           12
        .value_kind:     by_value
      - .offset:         44
        .size:           12
        .value_kind:     by_value
      - .offset:         56
        .size:           12
        .value_kind:     by_value
      - .offset:         68
        .size:           12
        .value_kind:     by_value
      - .offset:         80
        .size:           4
        .value_kind:     hidden_block_count_x
      - .offset:         84
        .size:           4
        .value_kind:     hidden_block_count_y
      - .offset:         88
        .size:           4
        .value_kind:     hidden_block_count_z
      - .offset:         92
        .size:           2
        .value_kind:     hidden_group_size_x
      - .offset:         94
        .size:           2
        .value_kind:     hidden_group_size_y
      - .offset:         96
        .size:           2
        .value_kind:     hidden_group_size_z
      - .offset:         98
        .size:           2
        .value_kind:     hidden_remainder_x
      - .offset:         100
        .size:           2
        .value_kind:     hidden_remainder_y
      - .offset:         102
        .size:           2
        .value_kind:     hidden_remainder_z
      - .offset:         120
        .size:           8
        .value_kind:     hidden_global_offset_x
      - .offset:         128
        .size:           8
        .value_kind:     hidden_global_offset_y
      - .offset:         136
        .size:           8
        .value_kind:     hidden_global_offset_z
      - .offset:         144
        .size:           2
        .value_kind:     hidden_grid_dims
    .group_segment_fixed_size: 0
    .kernarg_segment_align: 8
    .kernarg_segment_size: 336
    .language:       OpenCL C
    .language_version:
      - 2
      - 0
    .max_flat_workgroup_size: 64
    .name:           _ZL33flash_attn_stream_k_fixup_generalILi64ELi2ELi1EEvPfPK15HIP_vector_typeIfLj2EEiiiiS1_IjLj3EES5_S5_S5_
    .private_segment_fixed_size: 0
    .sgpr_count:     36
    .sgpr_spill_count: 0
    .symbol:         _ZL33flash_attn_stream_k_fixup_generalILi64ELi2ELi1EEvPfPK15HIP_vector_typeIfLj2EEiiiiS1_IjLj3EES5_S5_S5_.kd
    .uniform_work_group_size: 1
    .uses_dynamic_stack: false
    .vgpr_count:     22
    .vgpr_spill_count: 0
    .wavefront_size: 64
  - .agpr_count:     0
    .args:
      - .address_space:  global
        .offset:         0
        .size:           8
        .value_kind:     global_buffer
      - .address_space:  global
        .offset:         8
        .size:           8
        .value_kind:     global_buffer
      - .address_space:  global
        .offset:         16
        .size:           8
        .value_kind:     global_buffer
      - .address_space:  global
        .offset:         24
        .size:           8
        .value_kind:     global_buffer
      - .address_space:  global
        .offset:         32
        .size:           8
        .value_kind:     global_buffer
      - .address_space:  global
        .offset:         40
        .size:           8
        .value_kind:     global_buffer
      - .address_space:  global
        .offset:         48
        .size:           8
        .value_kind:     global_buffer
      - .address_space:  global
        .offset:         56
        .size:           8
        .value_kind:     global_buffer
      - .offset:         64
        .size:           4
        .value_kind:     by_value
      - .offset:         68
        .size:           4
        .value_kind:     by_value
      - .offset:         72
        .size:           4
        .value_kind:     by_value
      - .offset:         76
        .size:           4
        .value_kind:     by_value
      - .offset:         80
        .size:           4
        .value_kind:     by_value
      - .offset:         84
        .size:           4
        .value_kind:     by_value
      - .offset:         88
        .size:           4
        .value_kind:     by_value
      - .offset:         92
        .size:           12
        .value_kind:     by_value
      - .offset:         104
        .size:           4
        .value_kind:     by_value
      - .offset:         108
        .size:           4
        .value_kind:     by_value
      - .offset:         112
        .size:           4
        .value_kind:     by_value
      - .offset:         116
        .size:           4
        .value_kind:     by_value
      - .offset:         120
        .size:           4
        .value_kind:     by_value
      - .offset:         124
        .size:           4
        .value_kind:     by_value
      - .offset:         128
        .size:           4
        .value_kind:     by_value
      - .offset:         132
        .size:           4
        .value_kind:     by_value
      - .offset:         136
        .size:           4
        .value_kind:     by_value
      - .offset:         140
        .size:           4
        .value_kind:     by_value
      - .offset:         144
        .size:           4
        .value_kind:     by_value
      - .offset:         152
        .size:           8
        .value_kind:     by_value
      - .offset:         160
        .size:           4
        .value_kind:     by_value
      - .offset:         164
        .size:           4
        .value_kind:     by_value
      - .offset:         168
        .size:           8
        .value_kind:     by_value
      - .offset:         176
        .size:           4
        .value_kind:     by_value
      - .offset:         180
        .size:           4
        .value_kind:     by_value
      - .offset:         184
        .size:           4
        .value_kind:     by_value
      - .offset:         188
        .size:           4
        .value_kind:     by_value
      - .offset:         192
        .size:           4
        .value_kind:     by_value
      - .offset:         200
        .size:           8
        .value_kind:     by_value
      - .offset:         208
        .size:           4
        .value_kind:     hidden_block_count_x
      - .offset:         212
        .size:           4
        .value_kind:     hidden_block_count_y
      - .offset:         216
        .size:           4
        .value_kind:     hidden_block_count_z
      - .offset:         220
        .size:           2
        .value_kind:     hidden_group_size_x
      - .offset:         222
        .size:           2
        .value_kind:     hidden_group_size_y
      - .offset:         224
        .size:           2
        .value_kind:     hidden_group_size_z
      - .offset:         226
        .size:           2
        .value_kind:     hidden_remainder_x
      - .offset:         228
        .size:           2
        .value_kind:     hidden_remainder_y
      - .offset:         230
        .size:           2
        .value_kind:     hidden_remainder_z
      - .offset:         248
        .size:           8
        .value_kind:     hidden_global_offset_x
      - .offset:         256
        .size:           8
        .value_kind:     hidden_global_offset_y
      - .offset:         264
        .size:           8
        .value_kind:     hidden_global_offset_z
      - .offset:         272
        .size:           2
        .value_kind:     hidden_grid_dims
      - .offset:         288
        .size:           8
        .value_kind:     hidden_hostcall_buffer
    .group_segment_fixed_size: 0
    .kernarg_segment_align: 8
    .kernarg_segment_size: 464
    .language:       OpenCL C
    .language_version:
      - 2
      - 0
    .max_flat_workgroup_size: 256
    .name:           _ZL15flash_attn_tileILi64ELi64ELi8ELi8ELb1EEvPKcS1_S1_S1_S1_PKiPfP15HIP_vector_typeIfLj2EEffffjfiS5_IjLj3EEiiiiiiiiiiiliiliiiiil
    .private_segment_fixed_size: 16
    .sgpr_count:     40
    .sgpr_spill_count: 0
    .symbol:         _ZL15flash_attn_tileILi64ELi64ELi8ELi8ELb1EEvPKcS1_S1_S1_S1_PKiPfP15HIP_vector_typeIfLj2EEffffjfiS5_IjLj3EEiiiiiiiiiiiliiliiiiil.kd
    .uniform_work_group_size: 1
    .uses_dynamic_stack: false
    .vgpr_count:     39
    .vgpr_spill_count: 0
    .wavefront_size: 64
  - .agpr_count:     0
    .args:
      - .address_space:  global
        .offset:         0
        .size:           8
        .value_kind:     global_buffer
      - .address_space:  global
        .offset:         8
        .size:           8
        .value_kind:     global_buffer
      - .address_space:  global
        .offset:         16
        .size:           8
        .value_kind:     global_buffer
      - .address_space:  global
        .offset:         24
        .size:           8
        .value_kind:     global_buffer
      - .address_space:  global
        .offset:         32
        .size:           8
        .value_kind:     global_buffer
      - .address_space:  global
        .offset:         40
        .size:           8
        .value_kind:     global_buffer
      - .address_space:  global
        .offset:         48
        .size:           8
        .value_kind:     global_buffer
      - .address_space:  global
        .offset:         56
        .size:           8
        .value_kind:     global_buffer
      - .offset:         64
        .size:           4
        .value_kind:     by_value
      - .offset:         68
        .size:           4
        .value_kind:     by_value
      - .offset:         72
        .size:           4
        .value_kind:     by_value
      - .offset:         76
        .size:           4
        .value_kind:     by_value
      - .offset:         80
        .size:           4
        .value_kind:     by_value
      - .offset:         84
        .size:           4
        .value_kind:     by_value
      - .offset:         88
        .size:           4
        .value_kind:     by_value
      - .offset:         92
        .size:           12
        .value_kind:     by_value
      - .offset:         104
        .size:           4
        .value_kind:     by_value
      - .offset:         108
        .size:           4
        .value_kind:     by_value
      - .offset:         112
        .size:           4
        .value_kind:     by_value
      - .offset:         116
        .size:           4
        .value_kind:     by_value
      - .offset:         120
        .size:           4
        .value_kind:     by_value
      - .offset:         124
        .size:           4
        .value_kind:     by_value
      - .offset:         128
        .size:           4
        .value_kind:     by_value
      - .offset:         132
        .size:           4
        .value_kind:     by_value
      - .offset:         136
        .size:           4
        .value_kind:     by_value
      - .offset:         140
        .size:           4
        .value_kind:     by_value
      - .offset:         144
        .size:           4
        .value_kind:     by_value
      - .offset:         152
        .size:           8
        .value_kind:     by_value
      - .offset:         160
        .size:           4
        .value_kind:     by_value
      - .offset:         164
        .size:           4
        .value_kind:     by_value
      - .offset:         168
        .size:           8
        .value_kind:     by_value
      - .offset:         176
        .size:           4
        .value_kind:     by_value
      - .offset:         180
        .size:           4
        .value_kind:     by_value
      - .offset:         184
        .size:           4
        .value_kind:     by_value
      - .offset:         188
        .size:           4
        .value_kind:     by_value
      - .offset:         192
        .size:           4
        .value_kind:     by_value
      - .offset:         200
        .size:           8
        .value_kind:     by_value
      - .offset:         208
        .size:           4
        .value_kind:     hidden_block_count_x
      - .offset:         212
        .size:           4
        .value_kind:     hidden_block_count_y
      - .offset:         216
        .size:           4
        .value_kind:     hidden_block_count_z
      - .offset:         220
        .size:           2
        .value_kind:     hidden_group_size_x
      - .offset:         222
        .size:           2
        .value_kind:     hidden_group_size_y
      - .offset:         224
        .size:           2
        .value_kind:     hidden_group_size_z
      - .offset:         226
        .size:           2
        .value_kind:     hidden_remainder_x
      - .offset:         228
        .size:           2
        .value_kind:     hidden_remainder_y
      - .offset:         230
        .size:           2
        .value_kind:     hidden_remainder_z
      - .offset:         248
        .size:           8
        .value_kind:     hidden_global_offset_x
      - .offset:         256
        .size:           8
        .value_kind:     hidden_global_offset_y
      - .offset:         264
        .size:           8
        .value_kind:     hidden_global_offset_z
      - .offset:         272
        .size:           2
        .value_kind:     hidden_grid_dims
      - .offset:         288
        .size:           8
        .value_kind:     hidden_hostcall_buffer
    .group_segment_fixed_size: 0
    .kernarg_segment_align: 8
    .kernarg_segment_size: 464
    .language:       OpenCL C
    .language_version:
      - 2
      - 0
    .max_flat_workgroup_size: 256
    .name:           _ZL15flash_attn_tileILi64ELi64ELi4ELi8ELb1EEvPKcS1_S1_S1_S1_PKiPfP15HIP_vector_typeIfLj2EEffffjfiS5_IjLj3EEiiiiiiiiiiiliiliiiiil
    .private_segment_fixed_size: 16
    .sgpr_count:     40
    .sgpr_spill_count: 0
    .symbol:         _ZL15flash_attn_tileILi64ELi64ELi4ELi8ELb1EEvPKcS1_S1_S1_S1_PKiPfP15HIP_vector_typeIfLj2EEffffjfiS5_IjLj3EEiiiiiiiiiiiliiliiiiil.kd
    .uniform_work_group_size: 1
    .uses_dynamic_stack: false
    .vgpr_count:     39
    .vgpr_spill_count: 0
    .wavefront_size: 64
  - .agpr_count:     0
    .args:
      - .address_space:  global
        .offset:         0
        .size:           8
        .value_kind:     global_buffer
      - .address_space:  global
        .offset:         8
        .size:           8
        .value_kind:     global_buffer
      - .address_space:  global
        .offset:         16
        .size:           8
        .value_kind:     global_buffer
      - .address_space:  global
        .offset:         24
        .size:           8
        .value_kind:     global_buffer
      - .address_space:  global
        .offset:         32
        .size:           8
        .value_kind:     global_buffer
      - .address_space:  global
        .offset:         40
        .size:           8
        .value_kind:     global_buffer
      - .address_space:  global
        .offset:         48
        .size:           8
        .value_kind:     global_buffer
      - .address_space:  global
        .offset:         56
        .size:           8
        .value_kind:     global_buffer
      - .offset:         64
        .size:           4
        .value_kind:     by_value
      - .offset:         68
        .size:           4
        .value_kind:     by_value
      - .offset:         72
        .size:           4
        .value_kind:     by_value
      - .offset:         76
        .size:           4
        .value_kind:     by_value
      - .offset:         80
        .size:           4
        .value_kind:     by_value
      - .offset:         84
        .size:           4
        .value_kind:     by_value
      - .offset:         88
        .size:           4
        .value_kind:     by_value
      - .offset:         92
        .size:           12
        .value_kind:     by_value
      - .offset:         104
        .size:           4
        .value_kind:     by_value
      - .offset:         108
        .size:           4
        .value_kind:     by_value
      - .offset:         112
        .size:           4
        .value_kind:     by_value
      - .offset:         116
        .size:           4
        .value_kind:     by_value
      - .offset:         120
        .size:           4
        .value_kind:     by_value
      - .offset:         124
        .size:           4
        .value_kind:     by_value
      - .offset:         128
        .size:           4
        .value_kind:     by_value
      - .offset:         132
        .size:           4
        .value_kind:     by_value
      - .offset:         136
        .size:           4
        .value_kind:     by_value
      - .offset:         140
        .size:           4
        .value_kind:     by_value
      - .offset:         144
        .size:           4
        .value_kind:     by_value
      - .offset:         152
        .size:           8
        .value_kind:     by_value
      - .offset:         160
        .size:           4
        .value_kind:     by_value
      - .offset:         164
        .size:           4
        .value_kind:     by_value
      - .offset:         168
        .size:           8
        .value_kind:     by_value
      - .offset:         176
        .size:           4
        .value_kind:     by_value
      - .offset:         180
        .size:           4
        .value_kind:     by_value
      - .offset:         184
        .size:           4
        .value_kind:     by_value
      - .offset:         188
        .size:           4
        .value_kind:     by_value
      - .offset:         192
        .size:           4
        .value_kind:     by_value
      - .offset:         200
        .size:           8
        .value_kind:     by_value
      - .offset:         208
        .size:           4
        .value_kind:     hidden_block_count_x
      - .offset:         212
        .size:           4
        .value_kind:     hidden_block_count_y
      - .offset:         216
        .size:           4
        .value_kind:     hidden_block_count_z
      - .offset:         220
        .size:           2
        .value_kind:     hidden_group_size_x
      - .offset:         222
        .size:           2
        .value_kind:     hidden_group_size_y
      - .offset:         224
        .size:           2
        .value_kind:     hidden_group_size_z
      - .offset:         226
        .size:           2
        .value_kind:     hidden_remainder_x
      - .offset:         228
        .size:           2
        .value_kind:     hidden_remainder_y
      - .offset:         230
        .size:           2
        .value_kind:     hidden_remainder_z
      - .offset:         248
        .size:           8
        .value_kind:     hidden_global_offset_x
      - .offset:         256
        .size:           8
        .value_kind:     hidden_global_offset_y
      - .offset:         264
        .size:           8
        .value_kind:     hidden_global_offset_z
      - .offset:         272
        .size:           2
        .value_kind:     hidden_grid_dims
      - .offset:         288
        .size:           8
        .value_kind:     hidden_hostcall_buffer
    .group_segment_fixed_size: 0
    .kernarg_segment_align: 8
    .kernarg_segment_size: 464
    .language:       OpenCL C
    .language_version:
      - 2
      - 0
    .max_flat_workgroup_size: 256
    .name:           _ZL15flash_attn_tileILi64ELi64ELi2ELi8ELb1EEvPKcS1_S1_S1_S1_PKiPfP15HIP_vector_typeIfLj2EEffffjfiS5_IjLj3EEiiiiiiiiiiiliiliiiiil
    .private_segment_fixed_size: 16
    .sgpr_count:     40
    .sgpr_spill_count: 0
    .symbol:         _ZL15flash_attn_tileILi64ELi64ELi2ELi8ELb1EEvPKcS1_S1_S1_S1_PKiPfP15HIP_vector_typeIfLj2EEffffjfiS5_IjLj3EEiiiiiiiiiiiliiliiiiil.kd
    .uniform_work_group_size: 1
    .uses_dynamic_stack: false
    .vgpr_count:     39
    .vgpr_spill_count: 0
    .wavefront_size: 64
  - .agpr_count:     0
    .args:
      - .address_space:  global
        .offset:         0
        .size:           8
        .value_kind:     global_buffer
      - .address_space:  global
        .offset:         8
        .size:           8
        .value_kind:     global_buffer
      - .address_space:  global
        .offset:         16
        .size:           8
        .value_kind:     global_buffer
      - .address_space:  global
        .offset:         24
        .size:           8
        .value_kind:     global_buffer
      - .address_space:  global
        .offset:         32
        .size:           8
        .value_kind:     global_buffer
      - .address_space:  global
        .offset:         40
        .size:           8
        .value_kind:     global_buffer
      - .address_space:  global
        .offset:         48
        .size:           8
        .value_kind:     global_buffer
      - .address_space:  global
        .offset:         56
        .size:           8
        .value_kind:     global_buffer
      - .offset:         64
        .size:           4
        .value_kind:     by_value
      - .offset:         68
        .size:           4
        .value_kind:     by_value
      - .offset:         72
        .size:           4
        .value_kind:     by_value
      - .offset:         76
        .size:           4
        .value_kind:     by_value
      - .offset:         80
        .size:           4
        .value_kind:     by_value
      - .offset:         84
        .size:           4
        .value_kind:     by_value
      - .offset:         88
        .size:           4
        .value_kind:     by_value
      - .offset:         92
        .size:           12
        .value_kind:     by_value
      - .offset:         104
        .size:           4
        .value_kind:     by_value
      - .offset:         108
        .size:           4
        .value_kind:     by_value
      - .offset:         112
        .size:           4
        .value_kind:     by_value
      - .offset:         116
        .size:           4
        .value_kind:     by_value
      - .offset:         120
        .size:           4
        .value_kind:     by_value
      - .offset:         124
        .size:           4
        .value_kind:     by_value
      - .offset:         128
        .size:           4
        .value_kind:     by_value
      - .offset:         132
        .size:           4
        .value_kind:     by_value
      - .offset:         136
        .size:           4
        .value_kind:     by_value
      - .offset:         140
        .size:           4
        .value_kind:     by_value
      - .offset:         144
        .size:           4
        .value_kind:     by_value
      - .offset:         152
        .size:           8
        .value_kind:     by_value
      - .offset:         160
        .size:           4
        .value_kind:     by_value
      - .offset:         164
        .size:           4
        .value_kind:     by_value
      - .offset:         168
        .size:           8
        .value_kind:     by_value
      - .offset:         176
        .size:           4
        .value_kind:     by_value
      - .offset:         180
        .size:           4
        .value_kind:     by_value
      - .offset:         184
        .size:           4
        .value_kind:     by_value
      - .offset:         188
        .size:           4
        .value_kind:     by_value
      - .offset:         192
        .size:           4
        .value_kind:     by_value
      - .offset:         200
        .size:           8
        .value_kind:     by_value
      - .offset:         208
        .size:           4
        .value_kind:     hidden_block_count_x
      - .offset:         212
        .size:           4
        .value_kind:     hidden_block_count_y
      - .offset:         216
        .size:           4
        .value_kind:     hidden_block_count_z
      - .offset:         220
        .size:           2
        .value_kind:     hidden_group_size_x
      - .offset:         222
        .size:           2
        .value_kind:     hidden_group_size_y
      - .offset:         224
        .size:           2
        .value_kind:     hidden_group_size_z
      - .offset:         226
        .size:           2
        .value_kind:     hidden_remainder_x
      - .offset:         228
        .size:           2
        .value_kind:     hidden_remainder_y
      - .offset:         230
        .size:           2
        .value_kind:     hidden_remainder_z
      - .offset:         248
        .size:           8
        .value_kind:     hidden_global_offset_x
      - .offset:         256
        .size:           8
        .value_kind:     hidden_global_offset_y
      - .offset:         264
        .size:           8
        .value_kind:     hidden_global_offset_z
      - .offset:         272
        .size:           2
        .value_kind:     hidden_grid_dims
      - .offset:         288
        .size:           8
        .value_kind:     hidden_hostcall_buffer
    .group_segment_fixed_size: 0
    .kernarg_segment_align: 8
    .kernarg_segment_size: 464
    .language:       OpenCL C
    .language_version:
      - 2
      - 0
    .max_flat_workgroup_size: 128
    .name:           _ZL15flash_attn_tileILi64ELi64ELi1ELi8ELb1EEvPKcS1_S1_S1_S1_PKiPfP15HIP_vector_typeIfLj2EEffffjfiS5_IjLj3EEiiiiiiiiiiiliiliiiiil
    .private_segment_fixed_size: 16
    .sgpr_count:     40
    .sgpr_spill_count: 0
    .symbol:         _ZL15flash_attn_tileILi64ELi64ELi1ELi8ELb1EEvPKcS1_S1_S1_S1_PKiPfP15HIP_vector_typeIfLj2EEffffjfiS5_IjLj3EEiiiiiiiiiiiliiliiiiil.kd
    .uniform_work_group_size: 1
    .uses_dynamic_stack: false
    .vgpr_count:     39
    .vgpr_spill_count: 0
    .wavefront_size: 64
  - .agpr_count:     0
    .args:
      - .address_space:  global
        .offset:         0
        .size:           8
        .value_kind:     global_buffer
      - .address_space:  global
        .offset:         8
        .size:           8
        .value_kind:     global_buffer
      - .address_space:  global
        .offset:         16
        .size:           8
        .value_kind:     global_buffer
      - .address_space:  global
        .offset:         24
        .size:           8
        .value_kind:     global_buffer
      - .address_space:  global
        .offset:         32
        .size:           8
        .value_kind:     global_buffer
      - .address_space:  global
        .offset:         40
        .size:           8
        .value_kind:     global_buffer
      - .address_space:  global
        .offset:         48
        .size:           8
        .value_kind:     global_buffer
      - .address_space:  global
        .offset:         56
        .size:           8
        .value_kind:     global_buffer
      - .offset:         64
        .size:           4
        .value_kind:     by_value
      - .offset:         68
        .size:           4
        .value_kind:     by_value
      - .offset:         72
        .size:           4
        .value_kind:     by_value
      - .offset:         76
        .size:           4
        .value_kind:     by_value
      - .offset:         80
        .size:           4
        .value_kind:     by_value
      - .offset:         84
        .size:           4
        .value_kind:     by_value
      - .offset:         88
        .size:           4
        .value_kind:     by_value
      - .offset:         92
        .size:           12
        .value_kind:     by_value
      - .offset:         104
        .size:           4
        .value_kind:     by_value
      - .offset:         108
        .size:           4
        .value_kind:     by_value
      - .offset:         112
        .size:           4
        .value_kind:     by_value
      - .offset:         116
        .size:           4
        .value_kind:     by_value
      - .offset:         120
        .size:           4
        .value_kind:     by_value
      - .offset:         124
        .size:           4
        .value_kind:     by_value
      - .offset:         128
        .size:           4
        .value_kind:     by_value
      - .offset:         132
        .size:           4
        .value_kind:     by_value
      - .offset:         136
        .size:           4
        .value_kind:     by_value
      - .offset:         140
        .size:           4
        .value_kind:     by_value
      - .offset:         144
        .size:           4
        .value_kind:     by_value
      - .offset:         152
        .size:           8
        .value_kind:     by_value
      - .offset:         160
        .size:           4
        .value_kind:     by_value
      - .offset:         164
        .size:           4
        .value_kind:     by_value
      - .offset:         168
        .size:           8
        .value_kind:     by_value
      - .offset:         176
        .size:           4
        .value_kind:     by_value
      - .offset:         180
        .size:           4
        .value_kind:     by_value
      - .offset:         184
        .size:           4
        .value_kind:     by_value
      - .offset:         188
        .size:           4
        .value_kind:     by_value
      - .offset:         192
        .size:           4
        .value_kind:     by_value
      - .offset:         200
        .size:           8
        .value_kind:     by_value
      - .offset:         208
        .size:           4
        .value_kind:     hidden_block_count_x
      - .offset:         212
        .size:           4
        .value_kind:     hidden_block_count_y
      - .offset:         216
        .size:           4
        .value_kind:     hidden_block_count_z
      - .offset:         220
        .size:           2
        .value_kind:     hidden_group_size_x
      - .offset:         222
        .size:           2
        .value_kind:     hidden_group_size_y
      - .offset:         224
        .size:           2
        .value_kind:     hidden_group_size_z
      - .offset:         226
        .size:           2
        .value_kind:     hidden_remainder_x
      - .offset:         228
        .size:           2
        .value_kind:     hidden_remainder_y
      - .offset:         230
        .size:           2
        .value_kind:     hidden_remainder_z
      - .offset:         248
        .size:           8
        .value_kind:     hidden_global_offset_x
      - .offset:         256
        .size:           8
        .value_kind:     hidden_global_offset_y
      - .offset:         264
        .size:           8
        .value_kind:     hidden_global_offset_z
      - .offset:         272
        .size:           2
        .value_kind:     hidden_grid_dims
      - .offset:         288
        .size:           8
        .value_kind:     hidden_hostcall_buffer
    .group_segment_fixed_size: 0
    .kernarg_segment_align: 8
    .kernarg_segment_size: 464
    .language:       OpenCL C
    .language_version:
      - 2
      - 0
    .max_flat_workgroup_size: 256
    .name:           _ZL15flash_attn_tileILi64ELi64ELi16ELi4ELb1EEvPKcS1_S1_S1_S1_PKiPfP15HIP_vector_typeIfLj2EEffffjfiS5_IjLj3EEiiiiiiiiiiiliiliiiiil
    .private_segment_fixed_size: 16
    .sgpr_count:     40
    .sgpr_spill_count: 0
    .symbol:         _ZL15flash_attn_tileILi64ELi64ELi16ELi4ELb1EEvPKcS1_S1_S1_S1_PKiPfP15HIP_vector_typeIfLj2EEffffjfiS5_IjLj3EEiiiiiiiiiiiliiliiiiil.kd
    .uniform_work_group_size: 1
    .uses_dynamic_stack: false
    .vgpr_count:     39
    .vgpr_spill_count: 0
    .wavefront_size: 64
  - .agpr_count:     0
    .args:
      - .address_space:  global
        .offset:         0
        .size:           8
        .value_kind:     global_buffer
      - .address_space:  global
        .offset:         8
        .size:           8
        .value_kind:     global_buffer
      - .address_space:  global
        .offset:         16
        .size:           8
        .value_kind:     global_buffer
      - .address_space:  global
        .offset:         24
        .size:           8
        .value_kind:     global_buffer
      - .address_space:  global
        .offset:         32
        .size:           8
        .value_kind:     global_buffer
      - .address_space:  global
        .offset:         40
        .size:           8
        .value_kind:     global_buffer
      - .address_space:  global
        .offset:         48
        .size:           8
        .value_kind:     global_buffer
      - .address_space:  global
        .offset:         56
        .size:           8
        .value_kind:     global_buffer
      - .offset:         64
        .size:           4
        .value_kind:     by_value
      - .offset:         68
        .size:           4
        .value_kind:     by_value
      - .offset:         72
        .size:           4
        .value_kind:     by_value
      - .offset:         76
        .size:           4
        .value_kind:     by_value
      - .offset:         80
        .size:           4
        .value_kind:     by_value
      - .offset:         84
        .size:           4
        .value_kind:     by_value
      - .offset:         88
        .size:           4
        .value_kind:     by_value
      - .offset:         92
        .size:           12
        .value_kind:     by_value
      - .offset:         104
        .size:           4
        .value_kind:     by_value
      - .offset:         108
        .size:           4
        .value_kind:     by_value
      - .offset:         112
        .size:           4
        .value_kind:     by_value
      - .offset:         116
        .size:           4
        .value_kind:     by_value
      - .offset:         120
        .size:           4
        .value_kind:     by_value
      - .offset:         124
        .size:           4
        .value_kind:     by_value
      - .offset:         128
        .size:           4
        .value_kind:     by_value
      - .offset:         132
        .size:           4
        .value_kind:     by_value
      - .offset:         136
        .size:           4
        .value_kind:     by_value
      - .offset:         140
        .size:           4
        .value_kind:     by_value
      - .offset:         144
        .size:           4
        .value_kind:     by_value
      - .offset:         152
        .size:           8
        .value_kind:     by_value
      - .offset:         160
        .size:           4
        .value_kind:     by_value
      - .offset:         164
        .size:           4
        .value_kind:     by_value
      - .offset:         168
        .size:           8
        .value_kind:     by_value
      - .offset:         176
        .size:           4
        .value_kind:     by_value
      - .offset:         180
        .size:           4
        .value_kind:     by_value
      - .offset:         184
        .size:           4
        .value_kind:     by_value
      - .offset:         188
        .size:           4
        .value_kind:     by_value
      - .offset:         192
        .size:           4
        .value_kind:     by_value
      - .offset:         200
        .size:           8
        .value_kind:     by_value
      - .offset:         208
        .size:           4
        .value_kind:     hidden_block_count_x
      - .offset:         212
        .size:           4
        .value_kind:     hidden_block_count_y
      - .offset:         216
        .size:           4
        .value_kind:     hidden_block_count_z
      - .offset:         220
        .size:           2
        .value_kind:     hidden_group_size_x
      - .offset:         222
        .size:           2
        .value_kind:     hidden_group_size_y
      - .offset:         224
        .size:           2
        .value_kind:     hidden_group_size_z
      - .offset:         226
        .size:           2
        .value_kind:     hidden_remainder_x
      - .offset:         228
        .size:           2
        .value_kind:     hidden_remainder_y
      - .offset:         230
        .size:           2
        .value_kind:     hidden_remainder_z
      - .offset:         248
        .size:           8
        .value_kind:     hidden_global_offset_x
      - .offset:         256
        .size:           8
        .value_kind:     hidden_global_offset_y
      - .offset:         264
        .size:           8
        .value_kind:     hidden_global_offset_z
      - .offset:         272
        .size:           2
        .value_kind:     hidden_grid_dims
      - .offset:         288
        .size:           8
        .value_kind:     hidden_hostcall_buffer
    .group_segment_fixed_size: 0
    .kernarg_segment_align: 8
    .kernarg_segment_size: 464
    .language:       OpenCL C
    .language_version:
      - 2
      - 0
    .max_flat_workgroup_size: 256
    .name:           _ZL15flash_attn_tileILi64ELi64ELi8ELi4ELb1EEvPKcS1_S1_S1_S1_PKiPfP15HIP_vector_typeIfLj2EEffffjfiS5_IjLj3EEiiiiiiiiiiiliiliiiiil
    .private_segment_fixed_size: 16
    .sgpr_count:     40
    .sgpr_spill_count: 0
    .symbol:         _ZL15flash_attn_tileILi64ELi64ELi8ELi4ELb1EEvPKcS1_S1_S1_S1_PKiPfP15HIP_vector_typeIfLj2EEffffjfiS5_IjLj3EEiiiiiiiiiiiliiliiiiil.kd
    .uniform_work_group_size: 1
    .uses_dynamic_stack: false
    .vgpr_count:     39
    .vgpr_spill_count: 0
    .wavefront_size: 64
  - .agpr_count:     0
    .args:
      - .address_space:  global
        .offset:         0
        .size:           8
        .value_kind:     global_buffer
      - .address_space:  global
        .offset:         8
        .size:           8
        .value_kind:     global_buffer
      - .address_space:  global
        .offset:         16
        .size:           8
        .value_kind:     global_buffer
      - .address_space:  global
        .offset:         24
        .size:           8
        .value_kind:     global_buffer
      - .address_space:  global
        .offset:         32
        .size:           8
        .value_kind:     global_buffer
      - .address_space:  global
        .offset:         40
        .size:           8
        .value_kind:     global_buffer
      - .address_space:  global
        .offset:         48
        .size:           8
        .value_kind:     global_buffer
      - .address_space:  global
        .offset:         56
        .size:           8
        .value_kind:     global_buffer
      - .offset:         64
        .size:           4
        .value_kind:     by_value
      - .offset:         68
        .size:           4
        .value_kind:     by_value
      - .offset:         72
        .size:           4
        .value_kind:     by_value
      - .offset:         76
        .size:           4
        .value_kind:     by_value
      - .offset:         80
        .size:           4
        .value_kind:     by_value
      - .offset:         84
        .size:           4
        .value_kind:     by_value
      - .offset:         88
        .size:           4
        .value_kind:     by_value
      - .offset:         92
        .size:           12
        .value_kind:     by_value
      - .offset:         104
        .size:           4
        .value_kind:     by_value
      - .offset:         108
        .size:           4
        .value_kind:     by_value
      - .offset:         112
        .size:           4
        .value_kind:     by_value
      - .offset:         116
        .size:           4
        .value_kind:     by_value
      - .offset:         120
        .size:           4
        .value_kind:     by_value
      - .offset:         124
        .size:           4
        .value_kind:     by_value
      - .offset:         128
        .size:           4
        .value_kind:     by_value
      - .offset:         132
        .size:           4
        .value_kind:     by_value
      - .offset:         136
        .size:           4
        .value_kind:     by_value
      - .offset:         140
        .size:           4
        .value_kind:     by_value
      - .offset:         144
        .size:           4
        .value_kind:     by_value
      - .offset:         152
        .size:           8
        .value_kind:     by_value
      - .offset:         160
        .size:           4
        .value_kind:     by_value
      - .offset:         164
        .size:           4
        .value_kind:     by_value
      - .offset:         168
        .size:           8
        .value_kind:     by_value
      - .offset:         176
        .size:           4
        .value_kind:     by_value
      - .offset:         180
        .size:           4
        .value_kind:     by_value
      - .offset:         184
        .size:           4
        .value_kind:     by_value
      - .offset:         188
        .size:           4
        .value_kind:     by_value
      - .offset:         192
        .size:           4
        .value_kind:     by_value
      - .offset:         200
        .size:           8
        .value_kind:     by_value
      - .offset:         208
        .size:           4
        .value_kind:     hidden_block_count_x
      - .offset:         212
        .size:           4
        .value_kind:     hidden_block_count_y
      - .offset:         216
        .size:           4
        .value_kind:     hidden_block_count_z
      - .offset:         220
        .size:           2
        .value_kind:     hidden_group_size_x
      - .offset:         222
        .size:           2
        .value_kind:     hidden_group_size_y
      - .offset:         224
        .size:           2
        .value_kind:     hidden_group_size_z
      - .offset:         226
        .size:           2
        .value_kind:     hidden_remainder_x
      - .offset:         228
        .size:           2
        .value_kind:     hidden_remainder_y
      - .offset:         230
        .size:           2
        .value_kind:     hidden_remainder_z
      - .offset:         248
        .size:           8
        .value_kind:     hidden_global_offset_x
      - .offset:         256
        .size:           8
        .value_kind:     hidden_global_offset_y
      - .offset:         264
        .size:           8
        .value_kind:     hidden_global_offset_z
      - .offset:         272
        .size:           2
        .value_kind:     hidden_grid_dims
      - .offset:         288
        .size:           8
        .value_kind:     hidden_hostcall_buffer
    .group_segment_fixed_size: 0
    .kernarg_segment_align: 8
    .kernarg_segment_size: 464
    .language:       OpenCL C
    .language_version:
      - 2
      - 0
    .max_flat_workgroup_size: 256
    .name:           _ZL15flash_attn_tileILi64ELi64ELi4ELi4ELb1EEvPKcS1_S1_S1_S1_PKiPfP15HIP_vector_typeIfLj2EEffffjfiS5_IjLj3EEiiiiiiiiiiiliiliiiiil
    .private_segment_fixed_size: 16
    .sgpr_count:     40
    .sgpr_spill_count: 0
    .symbol:         _ZL15flash_attn_tileILi64ELi64ELi4ELi4ELb1EEvPKcS1_S1_S1_S1_PKiPfP15HIP_vector_typeIfLj2EEffffjfiS5_IjLj3EEiiiiiiiiiiiliiliiiiil.kd
    .uniform_work_group_size: 1
    .uses_dynamic_stack: false
    .vgpr_count:     39
    .vgpr_spill_count: 0
    .wavefront_size: 64
  - .agpr_count:     0
    .args:
      - .address_space:  global
        .offset:         0
        .size:           8
        .value_kind:     global_buffer
      - .address_space:  global
        .offset:         8
        .size:           8
        .value_kind:     global_buffer
      - .address_space:  global
        .offset:         16
        .size:           8
        .value_kind:     global_buffer
      - .address_space:  global
        .offset:         24
        .size:           8
        .value_kind:     global_buffer
      - .address_space:  global
        .offset:         32
        .size:           8
        .value_kind:     global_buffer
      - .address_space:  global
        .offset:         40
        .size:           8
        .value_kind:     global_buffer
      - .address_space:  global
        .offset:         48
        .size:           8
        .value_kind:     global_buffer
      - .address_space:  global
        .offset:         56
        .size:           8
        .value_kind:     global_buffer
      - .offset:         64
        .size:           4
        .value_kind:     by_value
      - .offset:         68
        .size:           4
        .value_kind:     by_value
      - .offset:         72
        .size:           4
        .value_kind:     by_value
      - .offset:         76
        .size:           4
        .value_kind:     by_value
      - .offset:         80
        .size:           4
        .value_kind:     by_value
      - .offset:         84
        .size:           4
        .value_kind:     by_value
      - .offset:         88
        .size:           4
        .value_kind:     by_value
      - .offset:         92
        .size:           12
        .value_kind:     by_value
      - .offset:         104
        .size:           4
        .value_kind:     by_value
      - .offset:         108
        .size:           4
        .value_kind:     by_value
      - .offset:         112
        .size:           4
        .value_kind:     by_value
      - .offset:         116
        .size:           4
        .value_kind:     by_value
      - .offset:         120
        .size:           4
        .value_kind:     by_value
      - .offset:         124
        .size:           4
        .value_kind:     by_value
      - .offset:         128
        .size:           4
        .value_kind:     by_value
      - .offset:         132
        .size:           4
        .value_kind:     by_value
      - .offset:         136
        .size:           4
        .value_kind:     by_value
      - .offset:         140
        .size:           4
        .value_kind:     by_value
      - .offset:         144
        .size:           4
        .value_kind:     by_value
      - .offset:         152
        .size:           8
        .value_kind:     by_value
      - .offset:         160
        .size:           4
        .value_kind:     by_value
      - .offset:         164
        .size:           4
        .value_kind:     by_value
      - .offset:         168
        .size:           8
        .value_kind:     by_value
      - .offset:         176
        .size:           4
        .value_kind:     by_value
      - .offset:         180
        .size:           4
        .value_kind:     by_value
      - .offset:         184
        .size:           4
        .value_kind:     by_value
      - .offset:         188
        .size:           4
        .value_kind:     by_value
      - .offset:         192
        .size:           4
        .value_kind:     by_value
      - .offset:         200
        .size:           8
        .value_kind:     by_value
      - .offset:         208
        .size:           4
        .value_kind:     hidden_block_count_x
      - .offset:         212
        .size:           4
        .value_kind:     hidden_block_count_y
      - .offset:         216
        .size:           4
        .value_kind:     hidden_block_count_z
      - .offset:         220
        .size:           2
        .value_kind:     hidden_group_size_x
      - .offset:         222
        .size:           2
        .value_kind:     hidden_group_size_y
      - .offset:         224
        .size:           2
        .value_kind:     hidden_group_size_z
      - .offset:         226
        .size:           2
        .value_kind:     hidden_remainder_x
      - .offset:         228
        .size:           2
        .value_kind:     hidden_remainder_y
      - .offset:         230
        .size:           2
        .value_kind:     hidden_remainder_z
      - .offset:         248
        .size:           8
        .value_kind:     hidden_global_offset_x
      - .offset:         256
        .size:           8
        .value_kind:     hidden_global_offset_y
      - .offset:         264
        .size:           8
        .value_kind:     hidden_global_offset_z
      - .offset:         272
        .size:           2
        .value_kind:     hidden_grid_dims
      - .offset:         288
        .size:           8
        .value_kind:     hidden_hostcall_buffer
    .group_segment_fixed_size: 0
    .kernarg_segment_align: 8
    .kernarg_segment_size: 464
    .language:       OpenCL C
    .language_version:
      - 2
      - 0
    .max_flat_workgroup_size: 128
    .name:           _ZL15flash_attn_tileILi64ELi64ELi2ELi4ELb1EEvPKcS1_S1_S1_S1_PKiPfP15HIP_vector_typeIfLj2EEffffjfiS5_IjLj3EEiiiiiiiiiiiliiliiiiil
    .private_segment_fixed_size: 16
    .sgpr_count:     40
    .sgpr_spill_count: 0
    .symbol:         _ZL15flash_attn_tileILi64ELi64ELi2ELi4ELb1EEvPKcS1_S1_S1_S1_PKiPfP15HIP_vector_typeIfLj2EEffffjfiS5_IjLj3EEiiiiiiiiiiiliiliiiiil.kd
    .uniform_work_group_size: 1
    .uses_dynamic_stack: false
    .vgpr_count:     39
    .vgpr_spill_count: 0
    .wavefront_size: 64
  - .agpr_count:     0
    .args:
      - .address_space:  global
        .offset:         0
        .size:           8
        .value_kind:     global_buffer
      - .address_space:  global
        .offset:         8
        .size:           8
        .value_kind:     global_buffer
      - .address_space:  global
        .offset:         16
        .size:           8
        .value_kind:     global_buffer
      - .address_space:  global
        .offset:         24
        .size:           8
        .value_kind:     global_buffer
      - .address_space:  global
        .offset:         32
        .size:           8
        .value_kind:     global_buffer
      - .address_space:  global
        .offset:         40
        .size:           8
        .value_kind:     global_buffer
      - .address_space:  global
        .offset:         48
        .size:           8
        .value_kind:     global_buffer
      - .address_space:  global
        .offset:         56
        .size:           8
        .value_kind:     global_buffer
      - .offset:         64
        .size:           4
        .value_kind:     by_value
      - .offset:         68
        .size:           4
        .value_kind:     by_value
      - .offset:         72
        .size:           4
        .value_kind:     by_value
      - .offset:         76
        .size:           4
        .value_kind:     by_value
      - .offset:         80
        .size:           4
        .value_kind:     by_value
      - .offset:         84
        .size:           4
        .value_kind:     by_value
      - .offset:         88
        .size:           4
        .value_kind:     by_value
      - .offset:         92
        .size:           12
        .value_kind:     by_value
      - .offset:         104
        .size:           4
        .value_kind:     by_value
      - .offset:         108
        .size:           4
        .value_kind:     by_value
      - .offset:         112
        .size:           4
        .value_kind:     by_value
      - .offset:         116
        .size:           4
        .value_kind:     by_value
      - .offset:         120
        .size:           4
        .value_kind:     by_value
      - .offset:         124
        .size:           4
        .value_kind:     by_value
      - .offset:         128
        .size:           4
        .value_kind:     by_value
      - .offset:         132
        .size:           4
        .value_kind:     by_value
      - .offset:         136
        .size:           4
        .value_kind:     by_value
      - .offset:         140
        .size:           4
        .value_kind:     by_value
      - .offset:         144
        .size:           4
        .value_kind:     by_value
      - .offset:         152
        .size:           8
        .value_kind:     by_value
      - .offset:         160
        .size:           4
        .value_kind:     by_value
      - .offset:         164
        .size:           4
        .value_kind:     by_value
      - .offset:         168
        .size:           8
        .value_kind:     by_value
      - .offset:         176
        .size:           4
        .value_kind:     by_value
      - .offset:         180
        .size:           4
        .value_kind:     by_value
      - .offset:         184
        .size:           4
        .value_kind:     by_value
      - .offset:         188
        .size:           4
        .value_kind:     by_value
      - .offset:         192
        .size:           4
        .value_kind:     by_value
      - .offset:         200
        .size:           8
        .value_kind:     by_value
      - .offset:         208
        .size:           4
        .value_kind:     hidden_block_count_x
      - .offset:         212
        .size:           4
        .value_kind:     hidden_block_count_y
      - .offset:         216
        .size:           4
        .value_kind:     hidden_block_count_z
      - .offset:         220
        .size:           2
        .value_kind:     hidden_group_size_x
      - .offset:         222
        .size:           2
        .value_kind:     hidden_group_size_y
      - .offset:         224
        .size:           2
        .value_kind:     hidden_group_size_z
      - .offset:         226
        .size:           2
        .value_kind:     hidden_remainder_x
      - .offset:         228
        .size:           2
        .value_kind:     hidden_remainder_y
      - .offset:         230
        .size:           2
        .value_kind:     hidden_remainder_z
      - .offset:         248
        .size:           8
        .value_kind:     hidden_global_offset_x
      - .offset:         256
        .size:           8
        .value_kind:     hidden_global_offset_y
      - .offset:         264
        .size:           8
        .value_kind:     hidden_global_offset_z
      - .offset:         272
        .size:           2
        .value_kind:     hidden_grid_dims
      - .offset:         288
        .size:           8
        .value_kind:     hidden_hostcall_buffer
    .group_segment_fixed_size: 0
    .kernarg_segment_align: 8
    .kernarg_segment_size: 464
    .language:       OpenCL C
    .language_version:
      - 2
      - 0
    .max_flat_workgroup_size: 128
    .name:           _ZL15flash_attn_tileILi64ELi64ELi1ELi4ELb1EEvPKcS1_S1_S1_S1_PKiPfP15HIP_vector_typeIfLj2EEffffjfiS5_IjLj3EEiiiiiiiiiiiliiliiiiil
    .private_segment_fixed_size: 16
    .sgpr_count:     40
    .sgpr_spill_count: 0
    .symbol:         _ZL15flash_attn_tileILi64ELi64ELi1ELi4ELb1EEvPKcS1_S1_S1_S1_PKiPfP15HIP_vector_typeIfLj2EEffffjfiS5_IjLj3EEiiiiiiiiiiiliiliiiiil.kd
    .uniform_work_group_size: 1
    .uses_dynamic_stack: false
    .vgpr_count:     39
    .vgpr_spill_count: 0
    .wavefront_size: 64
  - .agpr_count:     0
    .args:
      - .address_space:  global
        .offset:         0
        .size:           8
        .value_kind:     global_buffer
      - .address_space:  global
        .offset:         8
        .size:           8
        .value_kind:     global_buffer
      - .address_space:  global
        .offset:         16
        .size:           8
        .value_kind:     global_buffer
      - .address_space:  global
        .offset:         24
        .size:           8
        .value_kind:     global_buffer
      - .address_space:  global
        .offset:         32
        .size:           8
        .value_kind:     global_buffer
      - .address_space:  global
        .offset:         40
        .size:           8
        .value_kind:     global_buffer
      - .address_space:  global
        .offset:         48
        .size:           8
        .value_kind:     global_buffer
      - .address_space:  global
        .offset:         56
        .size:           8
        .value_kind:     global_buffer
      - .offset:         64
        .size:           4
        .value_kind:     by_value
      - .offset:         68
        .size:           4
        .value_kind:     by_value
      - .offset:         72
        .size:           4
        .value_kind:     by_value
      - .offset:         76
        .size:           4
        .value_kind:     by_value
      - .offset:         80
        .size:           4
        .value_kind:     by_value
      - .offset:         84
        .size:           4
        .value_kind:     by_value
      - .offset:         88
        .size:           4
        .value_kind:     by_value
      - .offset:         92
        .size:           12
        .value_kind:     by_value
      - .offset:         104
        .size:           4
        .value_kind:     by_value
      - .offset:         108
        .size:           4
        .value_kind:     by_value
      - .offset:         112
        .size:           4
        .value_kind:     by_value
      - .offset:         116
        .size:           4
        .value_kind:     by_value
      - .offset:         120
        .size:           4
        .value_kind:     by_value
      - .offset:         124
        .size:           4
        .value_kind:     by_value
      - .offset:         128
        .size:           4
        .value_kind:     by_value
      - .offset:         132
        .size:           4
        .value_kind:     by_value
      - .offset:         136
        .size:           4
        .value_kind:     by_value
      - .offset:         140
        .size:           4
        .value_kind:     by_value
      - .offset:         144
        .size:           4
        .value_kind:     by_value
      - .offset:         152
        .size:           8
        .value_kind:     by_value
      - .offset:         160
        .size:           4
        .value_kind:     by_value
      - .offset:         164
        .size:           4
        .value_kind:     by_value
      - .offset:         168
        .size:           8
        .value_kind:     by_value
      - .offset:         176
        .size:           4
        .value_kind:     by_value
      - .offset:         180
        .size:           4
        .value_kind:     by_value
      - .offset:         184
        .size:           4
        .value_kind:     by_value
      - .offset:         188
        .size:           4
        .value_kind:     by_value
      - .offset:         192
        .size:           4
        .value_kind:     by_value
      - .offset:         200
        .size:           8
        .value_kind:     by_value
      - .offset:         208
        .size:           4
        .value_kind:     hidden_block_count_x
      - .offset:         212
        .size:           4
        .value_kind:     hidden_block_count_y
      - .offset:         216
        .size:           4
        .value_kind:     hidden_block_count_z
      - .offset:         220
        .size:           2
        .value_kind:     hidden_group_size_x
      - .offset:         222
        .size:           2
        .value_kind:     hidden_group_size_y
      - .offset:         224
        .size:           2
        .value_kind:     hidden_group_size_z
      - .offset:         226
        .size:           2
        .value_kind:     hidden_remainder_x
      - .offset:         228
        .size:           2
        .value_kind:     hidden_remainder_y
      - .offset:         230
        .size:           2
        .value_kind:     hidden_remainder_z
      - .offset:         248
        .size:           8
        .value_kind:     hidden_global_offset_x
      - .offset:         256
        .size:           8
        .value_kind:     hidden_global_offset_y
      - .offset:         264
        .size:           8
        .value_kind:     hidden_global_offset_z
      - .offset:         272
        .size:           2
        .value_kind:     hidden_grid_dims
      - .offset:         288
        .size:           8
        .value_kind:     hidden_hostcall_buffer
    .group_segment_fixed_size: 0
    .kernarg_segment_align: 8
    .kernarg_segment_size: 464
    .language:       OpenCL C
    .language_version:
      - 2
      - 0
    .max_flat_workgroup_size: 256
    .name:           _ZL15flash_attn_tileILi64ELi64ELi32ELi2ELb1EEvPKcS1_S1_S1_S1_PKiPfP15HIP_vector_typeIfLj2EEffffjfiS5_IjLj3EEiiiiiiiiiiiliiliiiiil
    .private_segment_fixed_size: 16
    .sgpr_count:     40
    .sgpr_spill_count: 0
    .symbol:         _ZL15flash_attn_tileILi64ELi64ELi32ELi2ELb1EEvPKcS1_S1_S1_S1_PKiPfP15HIP_vector_typeIfLj2EEffffjfiS5_IjLj3EEiiiiiiiiiiiliiliiiiil.kd
    .uniform_work_group_size: 1
    .uses_dynamic_stack: false
    .vgpr_count:     39
    .vgpr_spill_count: 0
    .wavefront_size: 64
  - .agpr_count:     0
    .args:
      - .address_space:  global
        .offset:         0
        .size:           8
        .value_kind:     global_buffer
      - .address_space:  global
        .offset:         8
        .size:           8
        .value_kind:     global_buffer
      - .address_space:  global
        .offset:         16
        .size:           8
        .value_kind:     global_buffer
      - .address_space:  global
        .offset:         24
        .size:           8
        .value_kind:     global_buffer
      - .address_space:  global
        .offset:         32
        .size:           8
        .value_kind:     global_buffer
      - .address_space:  global
        .offset:         40
        .size:           8
        .value_kind:     global_buffer
      - .address_space:  global
        .offset:         48
        .size:           8
        .value_kind:     global_buffer
      - .address_space:  global
        .offset:         56
        .size:           8
        .value_kind:     global_buffer
      - .offset:         64
        .size:           4
        .value_kind:     by_value
      - .offset:         68
        .size:           4
        .value_kind:     by_value
      - .offset:         72
        .size:           4
        .value_kind:     by_value
      - .offset:         76
        .size:           4
        .value_kind:     by_value
      - .offset:         80
        .size:           4
        .value_kind:     by_value
      - .offset:         84
        .size:           4
        .value_kind:     by_value
      - .offset:         88
        .size:           4
        .value_kind:     by_value
      - .offset:         92
        .size:           12
        .value_kind:     by_value
      - .offset:         104
        .size:           4
        .value_kind:     by_value
      - .offset:         108
        .size:           4
        .value_kind:     by_value
      - .offset:         112
        .size:           4
        .value_kind:     by_value
      - .offset:         116
        .size:           4
        .value_kind:     by_value
      - .offset:         120
        .size:           4
        .value_kind:     by_value
      - .offset:         124
        .size:           4
        .value_kind:     by_value
      - .offset:         128
        .size:           4
        .value_kind:     by_value
      - .offset:         132
        .size:           4
        .value_kind:     by_value
      - .offset:         136
        .size:           4
        .value_kind:     by_value
      - .offset:         140
        .size:           4
        .value_kind:     by_value
      - .offset:         144
        .size:           4
        .value_kind:     by_value
      - .offset:         152
        .size:           8
        .value_kind:     by_value
      - .offset:         160
        .size:           4
        .value_kind:     by_value
      - .offset:         164
        .size:           4
        .value_kind:     by_value
      - .offset:         168
        .size:           8
        .value_kind:     by_value
      - .offset:         176
        .size:           4
        .value_kind:     by_value
      - .offset:         180
        .size:           4
        .value_kind:     by_value
      - .offset:         184
        .size:           4
        .value_kind:     by_value
      - .offset:         188
        .size:           4
        .value_kind:     by_value
      - .offset:         192
        .size:           4
        .value_kind:     by_value
      - .offset:         200
        .size:           8
        .value_kind:     by_value
      - .offset:         208
        .size:           4
        .value_kind:     hidden_block_count_x
      - .offset:         212
        .size:           4
        .value_kind:     hidden_block_count_y
      - .offset:         216
        .size:           4
        .value_kind:     hidden_block_count_z
      - .offset:         220
        .size:           2
        .value_kind:     hidden_group_size_x
      - .offset:         222
        .size:           2
        .value_kind:     hidden_group_size_y
      - .offset:         224
        .size:           2
        .value_kind:     hidden_group_size_z
      - .offset:         226
        .size:           2
        .value_kind:     hidden_remainder_x
      - .offset:         228
        .size:           2
        .value_kind:     hidden_remainder_y
      - .offset:         230
        .size:           2
        .value_kind:     hidden_remainder_z
      - .offset:         248
        .size:           8
        .value_kind:     hidden_global_offset_x
      - .offset:         256
        .size:           8
        .value_kind:     hidden_global_offset_y
      - .offset:         264
        .size:           8
        .value_kind:     hidden_global_offset_z
      - .offset:         272
        .size:           2
        .value_kind:     hidden_grid_dims
      - .offset:         288
        .size:           8
        .value_kind:     hidden_hostcall_buffer
    .group_segment_fixed_size: 0
    .kernarg_segment_align: 8
    .kernarg_segment_size: 464
    .language:       OpenCL C
    .language_version:
      - 2
      - 0
    .max_flat_workgroup_size: 256
    .name:           _ZL15flash_attn_tileILi64ELi64ELi16ELi2ELb1EEvPKcS1_S1_S1_S1_PKiPfP15HIP_vector_typeIfLj2EEffffjfiS5_IjLj3EEiiiiiiiiiiiliiliiiiil
    .private_segment_fixed_size: 16
    .sgpr_count:     40
    .sgpr_spill_count: 0
    .symbol:         _ZL15flash_attn_tileILi64ELi64ELi16ELi2ELb1EEvPKcS1_S1_S1_S1_PKiPfP15HIP_vector_typeIfLj2EEffffjfiS5_IjLj3EEiiiiiiiiiiiliiliiiiil.kd
    .uniform_work_group_size: 1
    .uses_dynamic_stack: false
    .vgpr_count:     39
    .vgpr_spill_count: 0
    .wavefront_size: 64
  - .agpr_count:     0
    .args:
      - .address_space:  global
        .offset:         0
        .size:           8
        .value_kind:     global_buffer
      - .address_space:  global
        .offset:         8
        .size:           8
        .value_kind:     global_buffer
      - .address_space:  global
        .offset:         16
        .size:           8
        .value_kind:     global_buffer
      - .address_space:  global
        .offset:         24
        .size:           8
        .value_kind:     global_buffer
      - .address_space:  global
        .offset:         32
        .size:           8
        .value_kind:     global_buffer
      - .address_space:  global
        .offset:         40
        .size:           8
        .value_kind:     global_buffer
      - .address_space:  global
        .offset:         48
        .size:           8
        .value_kind:     global_buffer
      - .address_space:  global
        .offset:         56
        .size:           8
        .value_kind:     global_buffer
      - .offset:         64
        .size:           4
        .value_kind:     by_value
      - .offset:         68
        .size:           4
        .value_kind:     by_value
      - .offset:         72
        .size:           4
        .value_kind:     by_value
      - .offset:         76
        .size:           4
        .value_kind:     by_value
      - .offset:         80
        .size:           4
        .value_kind:     by_value
      - .offset:         84
        .size:           4
        .value_kind:     by_value
      - .offset:         88
        .size:           4
        .value_kind:     by_value
      - .offset:         92
        .size:           12
        .value_kind:     by_value
      - .offset:         104
        .size:           4
        .value_kind:     by_value
      - .offset:         108
        .size:           4
        .value_kind:     by_value
      - .offset:         112
        .size:           4
        .value_kind:     by_value
      - .offset:         116
        .size:           4
        .value_kind:     by_value
      - .offset:         120
        .size:           4
        .value_kind:     by_value
      - .offset:         124
        .size:           4
        .value_kind:     by_value
      - .offset:         128
        .size:           4
        .value_kind:     by_value
      - .offset:         132
        .size:           4
        .value_kind:     by_value
      - .offset:         136
        .size:           4
        .value_kind:     by_value
      - .offset:         140
        .size:           4
        .value_kind:     by_value
      - .offset:         144
        .size:           4
        .value_kind:     by_value
      - .offset:         152
        .size:           8
        .value_kind:     by_value
      - .offset:         160
        .size:           4
        .value_kind:     by_value
      - .offset:         164
        .size:           4
        .value_kind:     by_value
      - .offset:         168
        .size:           8
        .value_kind:     by_value
      - .offset:         176
        .size:           4
        .value_kind:     by_value
      - .offset:         180
        .size:           4
        .value_kind:     by_value
      - .offset:         184
        .size:           4
        .value_kind:     by_value
      - .offset:         188
        .size:           4
        .value_kind:     by_value
      - .offset:         192
        .size:           4
        .value_kind:     by_value
      - .offset:         200
        .size:           8
        .value_kind:     by_value
      - .offset:         208
        .size:           4
        .value_kind:     hidden_block_count_x
      - .offset:         212
        .size:           4
        .value_kind:     hidden_block_count_y
      - .offset:         216
        .size:           4
        .value_kind:     hidden_block_count_z
      - .offset:         220
        .size:           2
        .value_kind:     hidden_group_size_x
      - .offset:         222
        .size:           2
        .value_kind:     hidden_group_size_y
      - .offset:         224
        .size:           2
        .value_kind:     hidden_group_size_z
      - .offset:         226
        .size:           2
        .value_kind:     hidden_remainder_x
      - .offset:         228
        .size:           2
        .value_kind:     hidden_remainder_y
      - .offset:         230
        .size:           2
        .value_kind:     hidden_remainder_z
      - .offset:         248
        .size:           8
        .value_kind:     hidden_global_offset_x
      - .offset:         256
        .size:           8
        .value_kind:     hidden_global_offset_y
      - .offset:         264
        .size:           8
        .value_kind:     hidden_global_offset_z
      - .offset:         272
        .size:           2
        .value_kind:     hidden_grid_dims
      - .offset:         288
        .size:           8
        .value_kind:     hidden_hostcall_buffer
    .group_segment_fixed_size: 0
    .kernarg_segment_align: 8
    .kernarg_segment_size: 464
    .language:       OpenCL C
    .language_version:
      - 2
      - 0
    .max_flat_workgroup_size: 256
    .name:           _ZL15flash_attn_tileILi64ELi64ELi8ELi2ELb1EEvPKcS1_S1_S1_S1_PKiPfP15HIP_vector_typeIfLj2EEffffjfiS5_IjLj3EEiiiiiiiiiiiliiliiiiil
    .private_segment_fixed_size: 16
    .sgpr_count:     40
    .sgpr_spill_count: 0
    .symbol:         _ZL15flash_attn_tileILi64ELi64ELi8ELi2ELb1EEvPKcS1_S1_S1_S1_PKiPfP15HIP_vector_typeIfLj2EEffffjfiS5_IjLj3EEiiiiiiiiiiiliiliiiiil.kd
    .uniform_work_group_size: 1
    .uses_dynamic_stack: false
    .vgpr_count:     39
    .vgpr_spill_count: 0
    .wavefront_size: 64
  - .agpr_count:     0
    .args:
      - .address_space:  global
        .offset:         0
        .size:           8
        .value_kind:     global_buffer
      - .address_space:  global
        .offset:         8
        .size:           8
        .value_kind:     global_buffer
      - .address_space:  global
        .offset:         16
        .size:           8
        .value_kind:     global_buffer
      - .address_space:  global
        .offset:         24
        .size:           8
        .value_kind:     global_buffer
      - .address_space:  global
        .offset:         32
        .size:           8
        .value_kind:     global_buffer
      - .address_space:  global
        .offset:         40
        .size:           8
        .value_kind:     global_buffer
      - .address_space:  global
        .offset:         48
        .size:           8
        .value_kind:     global_buffer
      - .address_space:  global
        .offset:         56
        .size:           8
        .value_kind:     global_buffer
      - .offset:         64
        .size:           4
        .value_kind:     by_value
      - .offset:         68
        .size:           4
        .value_kind:     by_value
      - .offset:         72
        .size:           4
        .value_kind:     by_value
      - .offset:         76
        .size:           4
        .value_kind:     by_value
      - .offset:         80
        .size:           4
        .value_kind:     by_value
      - .offset:         84
        .size:           4
        .value_kind:     by_value
      - .offset:         88
        .size:           4
        .value_kind:     by_value
      - .offset:         92
        .size:           12
        .value_kind:     by_value
      - .offset:         104
        .size:           4
        .value_kind:     by_value
      - .offset:         108
        .size:           4
        .value_kind:     by_value
      - .offset:         112
        .size:           4
        .value_kind:     by_value
      - .offset:         116
        .size:           4
        .value_kind:     by_value
      - .offset:         120
        .size:           4
        .value_kind:     by_value
      - .offset:         124
        .size:           4
        .value_kind:     by_value
      - .offset:         128
        .size:           4
        .value_kind:     by_value
      - .offset:         132
        .size:           4
        .value_kind:     by_value
      - .offset:         136
        .size:           4
        .value_kind:     by_value
      - .offset:         140
        .size:           4
        .value_kind:     by_value
      - .offset:         144
        .size:           4
        .value_kind:     by_value
      - .offset:         152
        .size:           8
        .value_kind:     by_value
      - .offset:         160
        .size:           4
        .value_kind:     by_value
      - .offset:         164
        .size:           4
        .value_kind:     by_value
      - .offset:         168
        .size:           8
        .value_kind:     by_value
      - .offset:         176
        .size:           4
        .value_kind:     by_value
      - .offset:         180
        .size:           4
        .value_kind:     by_value
      - .offset:         184
        .size:           4
        .value_kind:     by_value
      - .offset:         188
        .size:           4
        .value_kind:     by_value
      - .offset:         192
        .size:           4
        .value_kind:     by_value
      - .offset:         200
        .size:           8
        .value_kind:     by_value
      - .offset:         208
        .size:           4
        .value_kind:     hidden_block_count_x
      - .offset:         212
        .size:           4
        .value_kind:     hidden_block_count_y
      - .offset:         216
        .size:           4
        .value_kind:     hidden_block_count_z
      - .offset:         220
        .size:           2
        .value_kind:     hidden_group_size_x
      - .offset:         222
        .size:           2
        .value_kind:     hidden_group_size_y
      - .offset:         224
        .size:           2
        .value_kind:     hidden_group_size_z
      - .offset:         226
        .size:           2
        .value_kind:     hidden_remainder_x
      - .offset:         228
        .size:           2
        .value_kind:     hidden_remainder_y
      - .offset:         230
        .size:           2
        .value_kind:     hidden_remainder_z
      - .offset:         248
        .size:           8
        .value_kind:     hidden_global_offset_x
      - .offset:         256
        .size:           8
        .value_kind:     hidden_global_offset_y
      - .offset:         264
        .size:           8
        .value_kind:     hidden_global_offset_z
      - .offset:         272
        .size:           2
        .value_kind:     hidden_grid_dims
      - .offset:         288
        .size:           8
        .value_kind:     hidden_hostcall_buffer
    .group_segment_fixed_size: 0
    .kernarg_segment_align: 8
    .kernarg_segment_size: 464
    .language:       OpenCL C
    .language_version:
      - 2
      - 0
    .max_flat_workgroup_size: 128
    .name:           _ZL15flash_attn_tileILi64ELi64ELi4ELi2ELb1EEvPKcS1_S1_S1_S1_PKiPfP15HIP_vector_typeIfLj2EEffffjfiS5_IjLj3EEiiiiiiiiiiiliiliiiiil
    .private_segment_fixed_size: 16
    .sgpr_count:     40
    .sgpr_spill_count: 0
    .symbol:         _ZL15flash_attn_tileILi64ELi64ELi4ELi2ELb1EEvPKcS1_S1_S1_S1_PKiPfP15HIP_vector_typeIfLj2EEffffjfiS5_IjLj3EEiiiiiiiiiiiliiliiiiil.kd
    .uniform_work_group_size: 1
    .uses_dynamic_stack: false
    .vgpr_count:     39
    .vgpr_spill_count: 0
    .wavefront_size: 64
  - .agpr_count:     0
    .args:
      - .address_space:  global
        .offset:         0
        .size:           8
        .value_kind:     global_buffer
      - .address_space:  global
        .offset:         8
        .size:           8
        .value_kind:     global_buffer
      - .address_space:  global
        .offset:         16
        .size:           8
        .value_kind:     global_buffer
      - .address_space:  global
        .offset:         24
        .size:           8
        .value_kind:     global_buffer
      - .address_space:  global
        .offset:         32
        .size:           8
        .value_kind:     global_buffer
      - .address_space:  global
        .offset:         40
        .size:           8
        .value_kind:     global_buffer
      - .address_space:  global
        .offset:         48
        .size:           8
        .value_kind:     global_buffer
      - .address_space:  global
        .offset:         56
        .size:           8
        .value_kind:     global_buffer
      - .offset:         64
        .size:           4
        .value_kind:     by_value
      - .offset:         68
        .size:           4
        .value_kind:     by_value
      - .offset:         72
        .size:           4
        .value_kind:     by_value
      - .offset:         76
        .size:           4
        .value_kind:     by_value
      - .offset:         80
        .size:           4
        .value_kind:     by_value
      - .offset:         84
        .size:           4
        .value_kind:     by_value
      - .offset:         88
        .size:           4
        .value_kind:     by_value
      - .offset:         92
        .size:           12
        .value_kind:     by_value
      - .offset:         104
        .size:           4
        .value_kind:     by_value
      - .offset:         108
        .size:           4
        .value_kind:     by_value
      - .offset:         112
        .size:           4
        .value_kind:     by_value
      - .offset:         116
        .size:           4
        .value_kind:     by_value
      - .offset:         120
        .size:           4
        .value_kind:     by_value
      - .offset:         124
        .size:           4
        .value_kind:     by_value
      - .offset:         128
        .size:           4
        .value_kind:     by_value
      - .offset:         132
        .size:           4
        .value_kind:     by_value
      - .offset:         136
        .size:           4
        .value_kind:     by_value
      - .offset:         140
        .size:           4
        .value_kind:     by_value
      - .offset:         144
        .size:           4
        .value_kind:     by_value
      - .offset:         152
        .size:           8
        .value_kind:     by_value
      - .offset:         160
        .size:           4
        .value_kind:     by_value
      - .offset:         164
        .size:           4
        .value_kind:     by_value
      - .offset:         168
        .size:           8
        .value_kind:     by_value
      - .offset:         176
        .size:           4
        .value_kind:     by_value
      - .offset:         180
        .size:           4
        .value_kind:     by_value
      - .offset:         184
        .size:           4
        .value_kind:     by_value
      - .offset:         188
        .size:           4
        .value_kind:     by_value
      - .offset:         192
        .size:           4
        .value_kind:     by_value
      - .offset:         200
        .size:           8
        .value_kind:     by_value
      - .offset:         208
        .size:           4
        .value_kind:     hidden_block_count_x
      - .offset:         212
        .size:           4
        .value_kind:     hidden_block_count_y
      - .offset:         216
        .size:           4
        .value_kind:     hidden_block_count_z
      - .offset:         220
        .size:           2
        .value_kind:     hidden_group_size_x
      - .offset:         222
        .size:           2
        .value_kind:     hidden_group_size_y
      - .offset:         224
        .size:           2
        .value_kind:     hidden_group_size_z
      - .offset:         226
        .size:           2
        .value_kind:     hidden_remainder_x
      - .offset:         228
        .size:           2
        .value_kind:     hidden_remainder_y
      - .offset:         230
        .size:           2
        .value_kind:     hidden_remainder_z
      - .offset:         248
        .size:           8
        .value_kind:     hidden_global_offset_x
      - .offset:         256
        .size:           8
        .value_kind:     hidden_global_offset_y
      - .offset:         264
        .size:           8
        .value_kind:     hidden_global_offset_z
      - .offset:         272
        .size:           2
        .value_kind:     hidden_grid_dims
      - .offset:         288
        .size:           8
        .value_kind:     hidden_hostcall_buffer
    .group_segment_fixed_size: 0
    .kernarg_segment_align: 8
    .kernarg_segment_size: 464
    .language:       OpenCL C
    .language_version:
      - 2
      - 0
    .max_flat_workgroup_size: 128
    .name:           _ZL15flash_attn_tileILi64ELi64ELi2ELi2ELb1EEvPKcS1_S1_S1_S1_PKiPfP15HIP_vector_typeIfLj2EEffffjfiS5_IjLj3EEiiiiiiiiiiiliiliiiiil
    .private_segment_fixed_size: 16
    .sgpr_count:     40
    .sgpr_spill_count: 0
    .symbol:         _ZL15flash_attn_tileILi64ELi64ELi2ELi2ELb1EEvPKcS1_S1_S1_S1_PKiPfP15HIP_vector_typeIfLj2EEffffjfiS5_IjLj3EEiiiiiiiiiiiliiliiiiil.kd
    .uniform_work_group_size: 1
    .uses_dynamic_stack: false
    .vgpr_count:     39
    .vgpr_spill_count: 0
    .wavefront_size: 64
  - .agpr_count:     0
    .args:
      - .address_space:  global
        .offset:         0
        .size:           8
        .value_kind:     global_buffer
      - .address_space:  global
        .offset:         8
        .size:           8
        .value_kind:     global_buffer
      - .address_space:  global
        .offset:         16
        .size:           8
        .value_kind:     global_buffer
      - .address_space:  global
        .offset:         24
        .size:           8
        .value_kind:     global_buffer
      - .address_space:  global
        .offset:         32
        .size:           8
        .value_kind:     global_buffer
      - .address_space:  global
        .offset:         40
        .size:           8
        .value_kind:     global_buffer
      - .address_space:  global
        .offset:         48
        .size:           8
        .value_kind:     global_buffer
      - .address_space:  global
        .offset:         56
        .size:           8
        .value_kind:     global_buffer
      - .offset:         64
        .size:           4
        .value_kind:     by_value
      - .offset:         68
        .size:           4
        .value_kind:     by_value
      - .offset:         72
        .size:           4
        .value_kind:     by_value
      - .offset:         76
        .size:           4
        .value_kind:     by_value
      - .offset:         80
        .size:           4
        .value_kind:     by_value
      - .offset:         84
        .size:           4
        .value_kind:     by_value
      - .offset:         88
        .size:           4
        .value_kind:     by_value
      - .offset:         92
        .size:           12
        .value_kind:     by_value
      - .offset:         104
        .size:           4
        .value_kind:     by_value
      - .offset:         108
        .size:           4
        .value_kind:     by_value
      - .offset:         112
        .size:           4
        .value_kind:     by_value
      - .offset:         116
        .size:           4
        .value_kind:     by_value
      - .offset:         120
        .size:           4
        .value_kind:     by_value
      - .offset:         124
        .size:           4
        .value_kind:     by_value
      - .offset:         128
        .size:           4
        .value_kind:     by_value
      - .offset:         132
        .size:           4
        .value_kind:     by_value
      - .offset:         136
        .size:           4
        .value_kind:     by_value
      - .offset:         140
        .size:           4
        .value_kind:     by_value
      - .offset:         144
        .size:           4
        .value_kind:     by_value
      - .offset:         152
        .size:           8
        .value_kind:     by_value
      - .offset:         160
        .size:           4
        .value_kind:     by_value
      - .offset:         164
        .size:           4
        .value_kind:     by_value
      - .offset:         168
        .size:           8
        .value_kind:     by_value
      - .offset:         176
        .size:           4
        .value_kind:     by_value
      - .offset:         180
        .size:           4
        .value_kind:     by_value
      - .offset:         184
        .size:           4
        .value_kind:     by_value
      - .offset:         188
        .size:           4
        .value_kind:     by_value
      - .offset:         192
        .size:           4
        .value_kind:     by_value
      - .offset:         200
        .size:           8
        .value_kind:     by_value
      - .offset:         208
        .size:           4
        .value_kind:     hidden_block_count_x
      - .offset:         212
        .size:           4
        .value_kind:     hidden_block_count_y
      - .offset:         216
        .size:           4
        .value_kind:     hidden_block_count_z
      - .offset:         220
        .size:           2
        .value_kind:     hidden_group_size_x
      - .offset:         222
        .size:           2
        .value_kind:     hidden_group_size_y
      - .offset:         224
        .size:           2
        .value_kind:     hidden_group_size_z
      - .offset:         226
        .size:           2
        .value_kind:     hidden_remainder_x
      - .offset:         228
        .size:           2
        .value_kind:     hidden_remainder_y
      - .offset:         230
        .size:           2
        .value_kind:     hidden_remainder_z
      - .offset:         248
        .size:           8
        .value_kind:     hidden_global_offset_x
      - .offset:         256
        .size:           8
        .value_kind:     hidden_global_offset_y
      - .offset:         264
        .size:           8
        .value_kind:     hidden_global_offset_z
      - .offset:         272
        .size:           2
        .value_kind:     hidden_grid_dims
      - .offset:         288
        .size:           8
        .value_kind:     hidden_hostcall_buffer
    .group_segment_fixed_size: 0
    .kernarg_segment_align: 8
    .kernarg_segment_size: 464
    .language:       OpenCL C
    .language_version:
      - 2
      - 0
    .max_flat_workgroup_size: 64
    .name:           _ZL15flash_attn_tileILi64ELi64ELi1ELi2ELb1EEvPKcS1_S1_S1_S1_PKiPfP15HIP_vector_typeIfLj2EEffffjfiS5_IjLj3EEiiiiiiiiiiiliiliiiiil
    .private_segment_fixed_size: 16
    .sgpr_count:     40
    .sgpr_spill_count: 0
    .symbol:         _ZL15flash_attn_tileILi64ELi64ELi1ELi2ELb1EEvPKcS1_S1_S1_S1_PKiPfP15HIP_vector_typeIfLj2EEffffjfiS5_IjLj3EEiiiiiiiiiiiliiliiiiil.kd
    .uniform_work_group_size: 1
    .uses_dynamic_stack: false
    .vgpr_count:     39
    .vgpr_spill_count: 0
    .wavefront_size: 64
  - .agpr_count:     0
    .args:
      - .address_space:  global
        .offset:         0
        .size:           8
        .value_kind:     global_buffer
      - .address_space:  global
        .offset:         8
        .size:           8
        .value_kind:     global_buffer
      - .address_space:  global
        .offset:         16
        .size:           8
        .value_kind:     global_buffer
      - .address_space:  global
        .offset:         24
        .size:           8
        .value_kind:     global_buffer
      - .address_space:  global
        .offset:         32
        .size:           8
        .value_kind:     global_buffer
      - .address_space:  global
        .offset:         40
        .size:           8
        .value_kind:     global_buffer
      - .address_space:  global
        .offset:         48
        .size:           8
        .value_kind:     global_buffer
      - .address_space:  global
        .offset:         56
        .size:           8
        .value_kind:     global_buffer
      - .offset:         64
        .size:           4
        .value_kind:     by_value
      - .offset:         68
        .size:           4
        .value_kind:     by_value
      - .offset:         72
        .size:           4
        .value_kind:     by_value
      - .offset:         76
        .size:           4
        .value_kind:     by_value
      - .offset:         80
        .size:           4
        .value_kind:     by_value
      - .offset:         84
        .size:           4
        .value_kind:     by_value
      - .offset:         88
        .size:           4
        .value_kind:     by_value
      - .offset:         92
        .size:           12
        .value_kind:     by_value
      - .offset:         104
        .size:           4
        .value_kind:     by_value
      - .offset:         108
        .size:           4
        .value_kind:     by_value
      - .offset:         112
        .size:           4
        .value_kind:     by_value
      - .offset:         116
        .size:           4
        .value_kind:     by_value
      - .offset:         120
        .size:           4
        .value_kind:     by_value
      - .offset:         124
        .size:           4
        .value_kind:     by_value
      - .offset:         128
        .size:           4
        .value_kind:     by_value
      - .offset:         132
        .size:           4
        .value_kind:     by_value
      - .offset:         136
        .size:           4
        .value_kind:     by_value
      - .offset:         140
        .size:           4
        .value_kind:     by_value
      - .offset:         144
        .size:           4
        .value_kind:     by_value
      - .offset:         152
        .size:           8
        .value_kind:     by_value
      - .offset:         160
        .size:           4
        .value_kind:     by_value
      - .offset:         164
        .size:           4
        .value_kind:     by_value
      - .offset:         168
        .size:           8
        .value_kind:     by_value
      - .offset:         176
        .size:           4
        .value_kind:     by_value
      - .offset:         180
        .size:           4
        .value_kind:     by_value
      - .offset:         184
        .size:           4
        .value_kind:     by_value
      - .offset:         188
        .size:           4
        .value_kind:     by_value
      - .offset:         192
        .size:           4
        .value_kind:     by_value
      - .offset:         200
        .size:           8
        .value_kind:     by_value
      - .offset:         208
        .size:           4
        .value_kind:     hidden_block_count_x
      - .offset:         212
        .size:           4
        .value_kind:     hidden_block_count_y
      - .offset:         216
        .size:           4
        .value_kind:     hidden_block_count_z
      - .offset:         220
        .size:           2
        .value_kind:     hidden_group_size_x
      - .offset:         222
        .size:           2
        .value_kind:     hidden_group_size_y
      - .offset:         224
        .size:           2
        .value_kind:     hidden_group_size_z
      - .offset:         226
        .size:           2
        .value_kind:     hidden_remainder_x
      - .offset:         228
        .size:           2
        .value_kind:     hidden_remainder_y
      - .offset:         230
        .size:           2
        .value_kind:     hidden_remainder_z
      - .offset:         248
        .size:           8
        .value_kind:     hidden_global_offset_x
      - .offset:         256
        .size:           8
        .value_kind:     hidden_global_offset_y
      - .offset:         264
        .size:           8
        .value_kind:     hidden_global_offset_z
      - .offset:         272
        .size:           2
        .value_kind:     hidden_grid_dims
      - .offset:         288
        .size:           8
        .value_kind:     hidden_hostcall_buffer
    .group_segment_fixed_size: 0
    .kernarg_segment_align: 8
    .kernarg_segment_size: 464
    .language:       OpenCL C
    .language_version:
      - 2
      - 0
    .max_flat_workgroup_size: 256
    .name:           _ZL15flash_attn_tileILi64ELi64ELi64ELi1ELb1EEvPKcS1_S1_S1_S1_PKiPfP15HIP_vector_typeIfLj2EEffffjfiS5_IjLj3EEiiiiiiiiiiiliiliiiiil
    .private_segment_fixed_size: 16
    .sgpr_count:     40
    .sgpr_spill_count: 0
    .symbol:         _ZL15flash_attn_tileILi64ELi64ELi64ELi1ELb1EEvPKcS1_S1_S1_S1_PKiPfP15HIP_vector_typeIfLj2EEffffjfiS5_IjLj3EEiiiiiiiiiiiliiliiiiil.kd
    .uniform_work_group_size: 1
    .uses_dynamic_stack: false
    .vgpr_count:     39
    .vgpr_spill_count: 0
    .wavefront_size: 64
  - .agpr_count:     0
    .args:
      - .address_space:  global
        .offset:         0
        .size:           8
        .value_kind:     global_buffer
      - .address_space:  global
        .offset:         8
        .size:           8
        .value_kind:     global_buffer
      - .address_space:  global
        .offset:         16
        .size:           8
        .value_kind:     global_buffer
      - .address_space:  global
        .offset:         24
        .size:           8
        .value_kind:     global_buffer
      - .address_space:  global
        .offset:         32
        .size:           8
        .value_kind:     global_buffer
      - .address_space:  global
        .offset:         40
        .size:           8
        .value_kind:     global_buffer
      - .address_space:  global
        .offset:         48
        .size:           8
        .value_kind:     global_buffer
      - .address_space:  global
        .offset:         56
        .size:           8
        .value_kind:     global_buffer
      - .offset:         64
        .size:           4
        .value_kind:     by_value
      - .offset:         68
        .size:           4
        .value_kind:     by_value
      - .offset:         72
        .size:           4
        .value_kind:     by_value
      - .offset:         76
        .size:           4
        .value_kind:     by_value
      - .offset:         80
        .size:           4
        .value_kind:     by_value
      - .offset:         84
        .size:           4
        .value_kind:     by_value
      - .offset:         88
        .size:           4
        .value_kind:     by_value
      - .offset:         92
        .size:           12
        .value_kind:     by_value
      - .offset:         104
        .size:           4
        .value_kind:     by_value
      - .offset:         108
        .size:           4
        .value_kind:     by_value
      - .offset:         112
        .size:           4
        .value_kind:     by_value
      - .offset:         116
        .size:           4
        .value_kind:     by_value
      - .offset:         120
        .size:           4
        .value_kind:     by_value
      - .offset:         124
        .size:           4
        .value_kind:     by_value
      - .offset:         128
        .size:           4
        .value_kind:     by_value
      - .offset:         132
        .size:           4
        .value_kind:     by_value
      - .offset:         136
        .size:           4
        .value_kind:     by_value
      - .offset:         140
        .size:           4
        .value_kind:     by_value
      - .offset:         144
        .size:           4
        .value_kind:     by_value
      - .offset:         152
        .size:           8
        .value_kind:     by_value
      - .offset:         160
        .size:           4
        .value_kind:     by_value
      - .offset:         164
        .size:           4
        .value_kind:     by_value
      - .offset:         168
        .size:           8
        .value_kind:     by_value
      - .offset:         176
        .size:           4
        .value_kind:     by_value
      - .offset:         180
        .size:           4
        .value_kind:     by_value
      - .offset:         184
        .size:           4
        .value_kind:     by_value
      - .offset:         188
        .size:           4
        .value_kind:     by_value
      - .offset:         192
        .size:           4
        .value_kind:     by_value
      - .offset:         200
        .size:           8
        .value_kind:     by_value
      - .offset:         208
        .size:           4
        .value_kind:     hidden_block_count_x
      - .offset:         212
        .size:           4
        .value_kind:     hidden_block_count_y
      - .offset:         216
        .size:           4
        .value_kind:     hidden_block_count_z
      - .offset:         220
        .size:           2
        .value_kind:     hidden_group_size_x
      - .offset:         222
        .size:           2
        .value_kind:     hidden_group_size_y
      - .offset:         224
        .size:           2
        .value_kind:     hidden_group_size_z
      - .offset:         226
        .size:           2
        .value_kind:     hidden_remainder_x
      - .offset:         228
        .size:           2
        .value_kind:     hidden_remainder_y
      - .offset:         230
        .size:           2
        .value_kind:     hidden_remainder_z
      - .offset:         248
        .size:           8
        .value_kind:     hidden_global_offset_x
      - .offset:         256
        .size:           8
        .value_kind:     hidden_global_offset_y
      - .offset:         264
        .size:           8
        .value_kind:     hidden_global_offset_z
      - .offset:         272
        .size:           2
        .value_kind:     hidden_grid_dims
      - .offset:         288
        .size:           8
        .value_kind:     hidden_hostcall_buffer
    .group_segment_fixed_size: 0
    .kernarg_segment_align: 8
    .kernarg_segment_size: 464
    .language:       OpenCL C
    .language_version:
      - 2
      - 0
    .max_flat_workgroup_size: 256
    .name:           _ZL15flash_attn_tileILi64ELi64ELi32ELi1ELb1EEvPKcS1_S1_S1_S1_PKiPfP15HIP_vector_typeIfLj2EEffffjfiS5_IjLj3EEiiiiiiiiiiiliiliiiiil
    .private_segment_fixed_size: 16
    .sgpr_count:     40
    .sgpr_spill_count: 0
    .symbol:         _ZL15flash_attn_tileILi64ELi64ELi32ELi1ELb1EEvPKcS1_S1_S1_S1_PKiPfP15HIP_vector_typeIfLj2EEffffjfiS5_IjLj3EEiiiiiiiiiiiliiliiiiil.kd
    .uniform_work_group_size: 1
    .uses_dynamic_stack: false
    .vgpr_count:     39
    .vgpr_spill_count: 0
    .wavefront_size: 64
  - .agpr_count:     0
    .args:
      - .address_space:  global
        .offset:         0
        .size:           8
        .value_kind:     global_buffer
      - .address_space:  global
        .offset:         8
        .size:           8
        .value_kind:     global_buffer
      - .address_space:  global
        .offset:         16
        .size:           8
        .value_kind:     global_buffer
      - .address_space:  global
        .offset:         24
        .size:           8
        .value_kind:     global_buffer
      - .address_space:  global
        .offset:         32
        .size:           8
        .value_kind:     global_buffer
      - .address_space:  global
        .offset:         40
        .size:           8
        .value_kind:     global_buffer
      - .address_space:  global
        .offset:         48
        .size:           8
        .value_kind:     global_buffer
      - .address_space:  global
        .offset:         56
        .size:           8
        .value_kind:     global_buffer
      - .offset:         64
        .size:           4
        .value_kind:     by_value
      - .offset:         68
        .size:           4
        .value_kind:     by_value
      - .offset:         72
        .size:           4
        .value_kind:     by_value
      - .offset:         76
        .size:           4
        .value_kind:     by_value
      - .offset:         80
        .size:           4
        .value_kind:     by_value
      - .offset:         84
        .size:           4
        .value_kind:     by_value
      - .offset:         88
        .size:           4
        .value_kind:     by_value
      - .offset:         92
        .size:           12
        .value_kind:     by_value
      - .offset:         104
        .size:           4
        .value_kind:     by_value
      - .offset:         108
        .size:           4
        .value_kind:     by_value
      - .offset:         112
        .size:           4
        .value_kind:     by_value
      - .offset:         116
        .size:           4
        .value_kind:     by_value
      - .offset:         120
        .size:           4
        .value_kind:     by_value
      - .offset:         124
        .size:           4
        .value_kind:     by_value
      - .offset:         128
        .size:           4
        .value_kind:     by_value
      - .offset:         132
        .size:           4
        .value_kind:     by_value
      - .offset:         136
        .size:           4
        .value_kind:     by_value
      - .offset:         140
        .size:           4
        .value_kind:     by_value
      - .offset:         144
        .size:           4
        .value_kind:     by_value
      - .offset:         152
        .size:           8
        .value_kind:     by_value
      - .offset:         160
        .size:           4
        .value_kind:     by_value
      - .offset:         164
        .size:           4
        .value_kind:     by_value
      - .offset:         168
        .size:           8
        .value_kind:     by_value
      - .offset:         176
        .size:           4
        .value_kind:     by_value
      - .offset:         180
        .size:           4
        .value_kind:     by_value
      - .offset:         184
        .size:           4
        .value_kind:     by_value
      - .offset:         188
        .size:           4
        .value_kind:     by_value
      - .offset:         192
        .size:           4
        .value_kind:     by_value
      - .offset:         200
        .size:           8
        .value_kind:     by_value
      - .offset:         208
        .size:           4
        .value_kind:     hidden_block_count_x
      - .offset:         212
        .size:           4
        .value_kind:     hidden_block_count_y
      - .offset:         216
        .size:           4
        .value_kind:     hidden_block_count_z
      - .offset:         220
        .size:           2
        .value_kind:     hidden_group_size_x
      - .offset:         222
        .size:           2
        .value_kind:     hidden_group_size_y
      - .offset:         224
        .size:           2
        .value_kind:     hidden_group_size_z
      - .offset:         226
        .size:           2
        .value_kind:     hidden_remainder_x
      - .offset:         228
        .size:           2
        .value_kind:     hidden_remainder_y
      - .offset:         230
        .size:           2
        .value_kind:     hidden_remainder_z
      - .offset:         248
        .size:           8
        .value_kind:     hidden_global_offset_x
      - .offset:         256
        .size:           8
        .value_kind:     hidden_global_offset_y
      - .offset:         264
        .size:           8
        .value_kind:     hidden_global_offset_z
      - .offset:         272
        .size:           2
        .value_kind:     hidden_grid_dims
      - .offset:         288
        .size:           8
        .value_kind:     hidden_hostcall_buffer
    .group_segment_fixed_size: 0
    .kernarg_segment_align: 8
    .kernarg_segment_size: 464
    .language:       OpenCL C
    .language_version:
      - 2
      - 0
    .max_flat_workgroup_size: 256
    .name:           _ZL15flash_attn_tileILi64ELi64ELi16ELi1ELb1EEvPKcS1_S1_S1_S1_PKiPfP15HIP_vector_typeIfLj2EEffffjfiS5_IjLj3EEiiiiiiiiiiiliiliiiiil
    .private_segment_fixed_size: 16
    .sgpr_count:     40
    .sgpr_spill_count: 0
    .symbol:         _ZL15flash_attn_tileILi64ELi64ELi16ELi1ELb1EEvPKcS1_S1_S1_S1_PKiPfP15HIP_vector_typeIfLj2EEffffjfiS5_IjLj3EEiiiiiiiiiiiliiliiiiil.kd
    .uniform_work_group_size: 1
    .uses_dynamic_stack: false
    .vgpr_count:     39
    .vgpr_spill_count: 0
    .wavefront_size: 64
  - .agpr_count:     0
    .args:
      - .address_space:  global
        .offset:         0
        .size:           8
        .value_kind:     global_buffer
      - .address_space:  global
        .offset:         8
        .size:           8
        .value_kind:     global_buffer
      - .address_space:  global
        .offset:         16
        .size:           8
        .value_kind:     global_buffer
      - .address_space:  global
        .offset:         24
        .size:           8
        .value_kind:     global_buffer
      - .address_space:  global
        .offset:         32
        .size:           8
        .value_kind:     global_buffer
      - .address_space:  global
        .offset:         40
        .size:           8
        .value_kind:     global_buffer
      - .address_space:  global
        .offset:         48
        .size:           8
        .value_kind:     global_buffer
      - .address_space:  global
        .offset:         56
        .size:           8
        .value_kind:     global_buffer
      - .offset:         64
        .size:           4
        .value_kind:     by_value
      - .offset:         68
        .size:           4
        .value_kind:     by_value
      - .offset:         72
        .size:           4
        .value_kind:     by_value
      - .offset:         76
        .size:           4
        .value_kind:     by_value
      - .offset:         80
        .size:           4
        .value_kind:     by_value
      - .offset:         84
        .size:           4
        .value_kind:     by_value
      - .offset:         88
        .size:           4
        .value_kind:     by_value
      - .offset:         92
        .size:           12
        .value_kind:     by_value
      - .offset:         104
        .size:           4
        .value_kind:     by_value
      - .offset:         108
        .size:           4
        .value_kind:     by_value
      - .offset:         112
        .size:           4
        .value_kind:     by_value
      - .offset:         116
        .size:           4
        .value_kind:     by_value
      - .offset:         120
        .size:           4
        .value_kind:     by_value
      - .offset:         124
        .size:           4
        .value_kind:     by_value
      - .offset:         128
        .size:           4
        .value_kind:     by_value
      - .offset:         132
        .size:           4
        .value_kind:     by_value
      - .offset:         136
        .size:           4
        .value_kind:     by_value
      - .offset:         140
        .size:           4
        .value_kind:     by_value
      - .offset:         144
        .size:           4
        .value_kind:     by_value
      - .offset:         152
        .size:           8
        .value_kind:     by_value
      - .offset:         160
        .size:           4
        .value_kind:     by_value
      - .offset:         164
        .size:           4
        .value_kind:     by_value
      - .offset:         168
        .size:           8
        .value_kind:     by_value
      - .offset:         176
        .size:           4
        .value_kind:     by_value
      - .offset:         180
        .size:           4
        .value_kind:     by_value
      - .offset:         184
        .size:           4
        .value_kind:     by_value
      - .offset:         188
        .size:           4
        .value_kind:     by_value
      - .offset:         192
        .size:           4
        .value_kind:     by_value
      - .offset:         200
        .size:           8
        .value_kind:     by_value
      - .offset:         208
        .size:           4
        .value_kind:     hidden_block_count_x
      - .offset:         212
        .size:           4
        .value_kind:     hidden_block_count_y
      - .offset:         216
        .size:           4
        .value_kind:     hidden_block_count_z
      - .offset:         220
        .size:           2
        .value_kind:     hidden_group_size_x
      - .offset:         222
        .size:           2
        .value_kind:     hidden_group_size_y
      - .offset:         224
        .size:           2
        .value_kind:     hidden_group_size_z
      - .offset:         226
        .size:           2
        .value_kind:     hidden_remainder_x
      - .offset:         228
        .size:           2
        .value_kind:     hidden_remainder_y
      - .offset:         230
        .size:           2
        .value_kind:     hidden_remainder_z
      - .offset:         248
        .size:           8
        .value_kind:     hidden_global_offset_x
      - .offset:         256
        .size:           8
        .value_kind:     hidden_global_offset_y
      - .offset:         264
        .size:           8
        .value_kind:     hidden_global_offset_z
      - .offset:         272
        .size:           2
        .value_kind:     hidden_grid_dims
      - .offset:         288
        .size:           8
        .value_kind:     hidden_hostcall_buffer
    .group_segment_fixed_size: 0
    .kernarg_segment_align: 8
    .kernarg_segment_size: 464
    .language:       OpenCL C
    .language_version:
      - 2
      - 0
    .max_flat_workgroup_size: 128
    .name:           _ZL15flash_attn_tileILi64ELi64ELi8ELi1ELb1EEvPKcS1_S1_S1_S1_PKiPfP15HIP_vector_typeIfLj2EEffffjfiS5_IjLj3EEiiiiiiiiiiiliiliiiiil
    .private_segment_fixed_size: 16
    .sgpr_count:     40
    .sgpr_spill_count: 0
    .symbol:         _ZL15flash_attn_tileILi64ELi64ELi8ELi1ELb1EEvPKcS1_S1_S1_S1_PKiPfP15HIP_vector_typeIfLj2EEffffjfiS5_IjLj3EEiiiiiiiiiiiliiliiiiil.kd
    .uniform_work_group_size: 1
    .uses_dynamic_stack: false
    .vgpr_count:     39
    .vgpr_spill_count: 0
    .wavefront_size: 64
  - .agpr_count:     0
    .args:
      - .address_space:  global
        .offset:         0
        .size:           8
        .value_kind:     global_buffer
      - .address_space:  global
        .offset:         8
        .size:           8
        .value_kind:     global_buffer
      - .address_space:  global
        .offset:         16
        .size:           8
        .value_kind:     global_buffer
      - .address_space:  global
        .offset:         24
        .size:           8
        .value_kind:     global_buffer
      - .address_space:  global
        .offset:         32
        .size:           8
        .value_kind:     global_buffer
      - .address_space:  global
        .offset:         40
        .size:           8
        .value_kind:     global_buffer
      - .address_space:  global
        .offset:         48
        .size:           8
        .value_kind:     global_buffer
      - .address_space:  global
        .offset:         56
        .size:           8
        .value_kind:     global_buffer
      - .offset:         64
        .size:           4
        .value_kind:     by_value
      - .offset:         68
        .size:           4
        .value_kind:     by_value
      - .offset:         72
        .size:           4
        .value_kind:     by_value
      - .offset:         76
        .size:           4
        .value_kind:     by_value
      - .offset:         80
        .size:           4
        .value_kind:     by_value
      - .offset:         84
        .size:           4
        .value_kind:     by_value
      - .offset:         88
        .size:           4
        .value_kind:     by_value
      - .offset:         92
        .size:           12
        .value_kind:     by_value
      - .offset:         104
        .size:           4
        .value_kind:     by_value
      - .offset:         108
        .size:           4
        .value_kind:     by_value
      - .offset:         112
        .size:           4
        .value_kind:     by_value
      - .offset:         116
        .size:           4
        .value_kind:     by_value
      - .offset:         120
        .size:           4
        .value_kind:     by_value
      - .offset:         124
        .size:           4
        .value_kind:     by_value
      - .offset:         128
        .size:           4
        .value_kind:     by_value
      - .offset:         132
        .size:           4
        .value_kind:     by_value
      - .offset:         136
        .size:           4
        .value_kind:     by_value
      - .offset:         140
        .size:           4
        .value_kind:     by_value
      - .offset:         144
        .size:           4
        .value_kind:     by_value
      - .offset:         152
        .size:           8
        .value_kind:     by_value
      - .offset:         160
        .size:           4
        .value_kind:     by_value
      - .offset:         164
        .size:           4
        .value_kind:     by_value
      - .offset:         168
        .size:           8
        .value_kind:     by_value
      - .offset:         176
        .size:           4
        .value_kind:     by_value
      - .offset:         180
        .size:           4
        .value_kind:     by_value
      - .offset:         184
        .size:           4
        .value_kind:     by_value
      - .offset:         188
        .size:           4
        .value_kind:     by_value
      - .offset:         192
        .size:           4
        .value_kind:     by_value
      - .offset:         200
        .size:           8
        .value_kind:     by_value
      - .offset:         208
        .size:           4
        .value_kind:     hidden_block_count_x
      - .offset:         212
        .size:           4
        .value_kind:     hidden_block_count_y
      - .offset:         216
        .size:           4
        .value_kind:     hidden_block_count_z
      - .offset:         220
        .size:           2
        .value_kind:     hidden_group_size_x
      - .offset:         222
        .size:           2
        .value_kind:     hidden_group_size_y
      - .offset:         224
        .size:           2
        .value_kind:     hidden_group_size_z
      - .offset:         226
        .size:           2
        .value_kind:     hidden_remainder_x
      - .offset:         228
        .size:           2
        .value_kind:     hidden_remainder_y
      - .offset:         230
        .size:           2
        .value_kind:     hidden_remainder_z
      - .offset:         248
        .size:           8
        .value_kind:     hidden_global_offset_x
      - .offset:         256
        .size:           8
        .value_kind:     hidden_global_offset_y
      - .offset:         264
        .size:           8
        .value_kind:     hidden_global_offset_z
      - .offset:         272
        .size:           2
        .value_kind:     hidden_grid_dims
      - .offset:         288
        .size:           8
        .value_kind:     hidden_hostcall_buffer
    .group_segment_fixed_size: 0
    .kernarg_segment_align: 8
    .kernarg_segment_size: 464
    .language:       OpenCL C
    .language_version:
      - 2
      - 0
    .max_flat_workgroup_size: 128
    .name:           _ZL15flash_attn_tileILi64ELi64ELi4ELi1ELb1EEvPKcS1_S1_S1_S1_PKiPfP15HIP_vector_typeIfLj2EEffffjfiS5_IjLj3EEiiiiiiiiiiiliiliiiiil
    .private_segment_fixed_size: 16
    .sgpr_count:     40
    .sgpr_spill_count: 0
    .symbol:         _ZL15flash_attn_tileILi64ELi64ELi4ELi1ELb1EEvPKcS1_S1_S1_S1_PKiPfP15HIP_vector_typeIfLj2EEffffjfiS5_IjLj3EEiiiiiiiiiiiliiliiiiil.kd
    .uniform_work_group_size: 1
    .uses_dynamic_stack: false
    .vgpr_count:     39
    .vgpr_spill_count: 0
    .wavefront_size: 64
  - .agpr_count:     0
    .args:
      - .address_space:  global
        .offset:         0
        .size:           8
        .value_kind:     global_buffer
      - .address_space:  global
        .offset:         8
        .size:           8
        .value_kind:     global_buffer
      - .address_space:  global
        .offset:         16
        .size:           8
        .value_kind:     global_buffer
      - .address_space:  global
        .offset:         24
        .size:           8
        .value_kind:     global_buffer
      - .address_space:  global
        .offset:         32
        .size:           8
        .value_kind:     global_buffer
      - .address_space:  global
        .offset:         40
        .size:           8
        .value_kind:     global_buffer
      - .address_space:  global
        .offset:         48
        .size:           8
        .value_kind:     global_buffer
      - .address_space:  global
        .offset:         56
        .size:           8
        .value_kind:     global_buffer
      - .offset:         64
        .size:           4
        .value_kind:     by_value
      - .offset:         68
        .size:           4
        .value_kind:     by_value
      - .offset:         72
        .size:           4
        .value_kind:     by_value
      - .offset:         76
        .size:           4
        .value_kind:     by_value
      - .offset:         80
        .size:           4
        .value_kind:     by_value
      - .offset:         84
        .size:           4
        .value_kind:     by_value
      - .offset:         88
        .size:           4
        .value_kind:     by_value
      - .offset:         92
        .size:           12
        .value_kind:     by_value
      - .offset:         104
        .size:           4
        .value_kind:     by_value
      - .offset:         108
        .size:           4
        .value_kind:     by_value
      - .offset:         112
        .size:           4
        .value_kind:     by_value
      - .offset:         116
        .size:           4
        .value_kind:     by_value
      - .offset:         120
        .size:           4
        .value_kind:     by_value
      - .offset:         124
        .size:           4
        .value_kind:     by_value
      - .offset:         128
        .size:           4
        .value_kind:     by_value
      - .offset:         132
        .size:           4
        .value_kind:     by_value
      - .offset:         136
        .size:           4
        .value_kind:     by_value
      - .offset:         140
        .size:           4
        .value_kind:     by_value
      - .offset:         144
        .size:           4
        .value_kind:     by_value
      - .offset:         152
        .size:           8
        .value_kind:     by_value
      - .offset:         160
        .size:           4
        .value_kind:     by_value
      - .offset:         164
        .size:           4
        .value_kind:     by_value
      - .offset:         168
        .size:           8
        .value_kind:     by_value
      - .offset:         176
        .size:           4
        .value_kind:     by_value
      - .offset:         180
        .size:           4
        .value_kind:     by_value
      - .offset:         184
        .size:           4
        .value_kind:     by_value
      - .offset:         188
        .size:           4
        .value_kind:     by_value
      - .offset:         192
        .size:           4
        .value_kind:     by_value
      - .offset:         200
        .size:           8
        .value_kind:     by_value
      - .offset:         208
        .size:           4
        .value_kind:     hidden_block_count_x
      - .offset:         212
        .size:           4
        .value_kind:     hidden_block_count_y
      - .offset:         216
        .size:           4
        .value_kind:     hidden_block_count_z
      - .offset:         220
        .size:           2
        .value_kind:     hidden_group_size_x
      - .offset:         222
        .size:           2
        .value_kind:     hidden_group_size_y
      - .offset:         224
        .size:           2
        .value_kind:     hidden_group_size_z
      - .offset:         226
        .size:           2
        .value_kind:     hidden_remainder_x
      - .offset:         228
        .size:           2
        .value_kind:     hidden_remainder_y
      - .offset:         230
        .size:           2
        .value_kind:     hidden_remainder_z
      - .offset:         248
        .size:           8
        .value_kind:     hidden_global_offset_x
      - .offset:         256
        .size:           8
        .value_kind:     hidden_global_offset_y
      - .offset:         264
        .size:           8
        .value_kind:     hidden_global_offset_z
      - .offset:         272
        .size:           2
        .value_kind:     hidden_grid_dims
      - .offset:         288
        .size:           8
        .value_kind:     hidden_hostcall_buffer
    .group_segment_fixed_size: 0
    .kernarg_segment_align: 8
    .kernarg_segment_size: 464
    .language:       OpenCL C
    .language_version:
      - 2
      - 0
    .max_flat_workgroup_size: 64
    .name:           _ZL15flash_attn_tileILi64ELi64ELi2ELi1ELb1EEvPKcS1_S1_S1_S1_PKiPfP15HIP_vector_typeIfLj2EEffffjfiS5_IjLj3EEiiiiiiiiiiiliiliiiiil
    .private_segment_fixed_size: 16
    .sgpr_count:     40
    .sgpr_spill_count: 0
    .symbol:         _ZL15flash_attn_tileILi64ELi64ELi2ELi1ELb1EEvPKcS1_S1_S1_S1_PKiPfP15HIP_vector_typeIfLj2EEffffjfiS5_IjLj3EEiiiiiiiiiiiliiliiiiil.kd
    .uniform_work_group_size: 1
    .uses_dynamic_stack: false
    .vgpr_count:     39
    .vgpr_spill_count: 0
    .wavefront_size: 64
amdhsa.target:   amdgcn-amd-amdhsa--gfx90a
amdhsa.version:
  - 1
  - 2
...

	.end_amdgpu_metadata
